;; amdgpu-corpus repo=ROCm/hipCUB kind=compiled arch=gfx90a opt=O3
	.text
	.amdgcn_target "amdgcn-amd-amdhsa--gfx90a"
	.amdhsa_code_object_version 6
	.section	.text._ZN7rocprim6detail31init_lookback_scan_state_kernelINS0_19lookback_scan_stateIiLb1ELb1EEEEEvT_jjPNS4_10value_typeE,"axG",@progbits,_ZN7rocprim6detail31init_lookback_scan_state_kernelINS0_19lookback_scan_stateIiLb1ELb1EEEEEvT_jjPNS4_10value_typeE,comdat
	.protected	_ZN7rocprim6detail31init_lookback_scan_state_kernelINS0_19lookback_scan_stateIiLb1ELb1EEEEEvT_jjPNS4_10value_typeE ; -- Begin function _ZN7rocprim6detail31init_lookback_scan_state_kernelINS0_19lookback_scan_stateIiLb1ELb1EEEEEvT_jjPNS4_10value_typeE
	.globl	_ZN7rocprim6detail31init_lookback_scan_state_kernelINS0_19lookback_scan_stateIiLb1ELb1EEEEEvT_jjPNS4_10value_typeE
	.p2align	8
	.type	_ZN7rocprim6detail31init_lookback_scan_state_kernelINS0_19lookback_scan_stateIiLb1ELb1EEEEEvT_jjPNS4_10value_typeE,@function
_ZN7rocprim6detail31init_lookback_scan_state_kernelINS0_19lookback_scan_stateIiLb1ELb1EEEEEvT_jjPNS4_10value_typeE: ; @_ZN7rocprim6detail31init_lookback_scan_state_kernelINS0_19lookback_scan_stateIiLb1ELb1EEEEEvT_jjPNS4_10value_typeE
; %bb.0:
	s_load_dword s7, s[4:5], 0x24
	s_load_dwordx2 s[8:9], s[4:5], 0x10
	s_load_dwordx4 s[0:3], s[4:5], 0x0
	s_waitcnt lgkmcnt(0)
	s_and_b32 s4, s7, 0xffff
	s_mul_i32 s6, s6, s4
	s_cmp_eq_u64 s[8:9], 0
	v_add_u32_e32 v0, s6, v0
	s_cbranch_scc1 .LBB0_9
; %bb.1:
	s_cmp_lt_u32 s3, s2
	s_cselect_b32 s4, s3, 0
	s_mov_b32 s7, 0
	v_cmp_eq_u32_e32 vcc, s4, v0
	s_and_saveexec_b64 s[4:5], vcc
	s_cbranch_execz .LBB0_8
; %bb.2:
	s_add_i32 s6, s3, 64
	s_lshl_b64 s[6:7], s[6:7], 3
	s_add_u32 s6, s0, s6
	s_addc_u32 s7, s1, s7
	v_mov_b32_e32 v2, 0
	global_load_dwordx2 v[4:5], v2, s[6:7] glc
	s_waitcnt vmcnt(0)
	v_and_b32_e32 v3, 0xff, v5
	v_cmp_ne_u64_e32 vcc, 0, v[2:3]
	s_cbranch_vccnz .LBB0_7
; %bb.3:
	s_mov_b32 s3, 1
.LBB0_4:                                ; =>This Loop Header: Depth=1
                                        ;     Child Loop BB0_5 Depth 2
	s_max_u32 s10, s3, 1
.LBB0_5:                                ;   Parent Loop BB0_4 Depth=1
                                        ; =>  This Inner Loop Header: Depth=2
	s_add_i32 s10, s10, -1
	s_cmp_eq_u32 s10, 0
	s_sleep 1
	s_cbranch_scc0 .LBB0_5
; %bb.6:                                ;   in Loop: Header=BB0_4 Depth=1
	global_load_dwordx2 v[4:5], v2, s[6:7] glc
	s_cmp_lt_u32 s3, 32
	s_cselect_b64 s[10:11], -1, 0
	s_cmp_lg_u64 s[10:11], 0
	s_addc_u32 s3, s3, 0
	s_waitcnt vmcnt(0)
	v_and_b32_e32 v3, 0xff, v5
	v_cmp_ne_u64_e32 vcc, 0, v[2:3]
	s_cbranch_vccz .LBB0_4
.LBB0_7:
	v_mov_b32_e32 v1, 0
	global_store_dword v1, v4, s[8:9]
.LBB0_8:
	s_or_b64 exec, exec, s[4:5]
.LBB0_9:
	v_cmp_gt_u32_e32 vcc, s2, v0
	s_and_saveexec_b64 s[2:3], vcc
	s_cbranch_execnz .LBB0_12
; %bb.10:
	s_or_b64 exec, exec, s[2:3]
	v_cmp_gt_u32_e32 vcc, 64, v0
	s_and_saveexec_b64 s[2:3], vcc
	s_cbranch_execnz .LBB0_13
.LBB0_11:
	s_endpgm
.LBB0_12:
	v_add_u32_e32 v2, 64, v0
	v_mov_b32_e32 v3, 0
	v_lshlrev_b64 v[4:5], 3, v[2:3]
	v_mov_b32_e32 v1, s1
	v_add_co_u32_e32 v4, vcc, s0, v4
	v_addc_co_u32_e32 v5, vcc, v1, v5, vcc
	v_mov_b32_e32 v2, v3
	global_store_dwordx2 v[4:5], v[2:3], off
	s_or_b64 exec, exec, s[2:3]
	v_cmp_gt_u32_e32 vcc, 64, v0
	s_and_saveexec_b64 s[2:3], vcc
	s_cbranch_execz .LBB0_11
.LBB0_13:
	v_mov_b32_e32 v1, 0
	v_lshlrev_b64 v[2:3], 3, v[0:1]
	v_mov_b32_e32 v0, s1
	v_add_co_u32_e32 v2, vcc, s0, v2
	v_addc_co_u32_e32 v3, vcc, v0, v3, vcc
	v_mov_b32_e32 v5, 0xff
	v_mov_b32_e32 v4, v1
	global_store_dwordx2 v[2:3], v[4:5], off
	s_endpgm
	.section	.rodata,"a",@progbits
	.p2align	6, 0x0
	.amdhsa_kernel _ZN7rocprim6detail31init_lookback_scan_state_kernelINS0_19lookback_scan_stateIiLb1ELb1EEEEEvT_jjPNS4_10value_typeE
		.amdhsa_group_segment_fixed_size 0
		.amdhsa_private_segment_fixed_size 0
		.amdhsa_kernarg_size 280
		.amdhsa_user_sgpr_count 6
		.amdhsa_user_sgpr_private_segment_buffer 1
		.amdhsa_user_sgpr_dispatch_ptr 0
		.amdhsa_user_sgpr_queue_ptr 0
		.amdhsa_user_sgpr_kernarg_segment_ptr 1
		.amdhsa_user_sgpr_dispatch_id 0
		.amdhsa_user_sgpr_flat_scratch_init 0
		.amdhsa_user_sgpr_kernarg_preload_length 0
		.amdhsa_user_sgpr_kernarg_preload_offset 0
		.amdhsa_user_sgpr_private_segment_size 0
		.amdhsa_uses_dynamic_stack 0
		.amdhsa_system_sgpr_private_segment_wavefront_offset 0
		.amdhsa_system_sgpr_workgroup_id_x 1
		.amdhsa_system_sgpr_workgroup_id_y 0
		.amdhsa_system_sgpr_workgroup_id_z 0
		.amdhsa_system_sgpr_workgroup_info 0
		.amdhsa_system_vgpr_workitem_id 0
		.amdhsa_next_free_vgpr 6
		.amdhsa_next_free_sgpr 12
		.amdhsa_accum_offset 8
		.amdhsa_reserve_vcc 1
		.amdhsa_reserve_flat_scratch 0
		.amdhsa_float_round_mode_32 0
		.amdhsa_float_round_mode_16_64 0
		.amdhsa_float_denorm_mode_32 3
		.amdhsa_float_denorm_mode_16_64 3
		.amdhsa_dx10_clamp 1
		.amdhsa_ieee_mode 1
		.amdhsa_fp16_overflow 0
		.amdhsa_tg_split 0
		.amdhsa_exception_fp_ieee_invalid_op 0
		.amdhsa_exception_fp_denorm_src 0
		.amdhsa_exception_fp_ieee_div_zero 0
		.amdhsa_exception_fp_ieee_overflow 0
		.amdhsa_exception_fp_ieee_underflow 0
		.amdhsa_exception_fp_ieee_inexact 0
		.amdhsa_exception_int_div_zero 0
	.end_amdhsa_kernel
	.section	.text._ZN7rocprim6detail31init_lookback_scan_state_kernelINS0_19lookback_scan_stateIiLb1ELb1EEEEEvT_jjPNS4_10value_typeE,"axG",@progbits,_ZN7rocprim6detail31init_lookback_scan_state_kernelINS0_19lookback_scan_stateIiLb1ELb1EEEEEvT_jjPNS4_10value_typeE,comdat
.Lfunc_end0:
	.size	_ZN7rocprim6detail31init_lookback_scan_state_kernelINS0_19lookback_scan_stateIiLb1ELb1EEEEEvT_jjPNS4_10value_typeE, .Lfunc_end0-_ZN7rocprim6detail31init_lookback_scan_state_kernelINS0_19lookback_scan_stateIiLb1ELb1EEEEEvT_jjPNS4_10value_typeE
                                        ; -- End function
	.section	.AMDGPU.csdata,"",@progbits
; Kernel info:
; codeLenInByte = 344
; NumSgprs: 16
; NumVgprs: 6
; NumAgprs: 0
; TotalNumVgprs: 6
; ScratchSize: 0
; MemoryBound: 0
; FloatMode: 240
; IeeeMode: 1
; LDSByteSize: 0 bytes/workgroup (compile time only)
; SGPRBlocks: 1
; VGPRBlocks: 0
; NumSGPRsForWavesPerEU: 16
; NumVGPRsForWavesPerEU: 6
; AccumOffset: 8
; Occupancy: 8
; WaveLimiterHint : 0
; COMPUTE_PGM_RSRC2:SCRATCH_EN: 0
; COMPUTE_PGM_RSRC2:USER_SGPR: 6
; COMPUTE_PGM_RSRC2:TRAP_HANDLER: 0
; COMPUTE_PGM_RSRC2:TGID_X_EN: 1
; COMPUTE_PGM_RSRC2:TGID_Y_EN: 0
; COMPUTE_PGM_RSRC2:TGID_Z_EN: 0
; COMPUTE_PGM_RSRC2:TIDIG_COMP_CNT: 0
; COMPUTE_PGM_RSRC3_GFX90A:ACCUM_OFFSET: 1
; COMPUTE_PGM_RSRC3_GFX90A:TG_SPLIT: 0
	.section	.text._ZN7rocprim6detail31init_lookback_scan_state_kernelINS0_19lookback_scan_stateIiLb0ELb1EEEEEvT_jjPNS4_10value_typeE,"axG",@progbits,_ZN7rocprim6detail31init_lookback_scan_state_kernelINS0_19lookback_scan_stateIiLb0ELb1EEEEEvT_jjPNS4_10value_typeE,comdat
	.protected	_ZN7rocprim6detail31init_lookback_scan_state_kernelINS0_19lookback_scan_stateIiLb0ELb1EEEEEvT_jjPNS4_10value_typeE ; -- Begin function _ZN7rocprim6detail31init_lookback_scan_state_kernelINS0_19lookback_scan_stateIiLb0ELb1EEEEEvT_jjPNS4_10value_typeE
	.globl	_ZN7rocprim6detail31init_lookback_scan_state_kernelINS0_19lookback_scan_stateIiLb0ELb1EEEEEvT_jjPNS4_10value_typeE
	.p2align	8
	.type	_ZN7rocprim6detail31init_lookback_scan_state_kernelINS0_19lookback_scan_stateIiLb0ELb1EEEEEvT_jjPNS4_10value_typeE,@function
_ZN7rocprim6detail31init_lookback_scan_state_kernelINS0_19lookback_scan_stateIiLb0ELb1EEEEEvT_jjPNS4_10value_typeE: ; @_ZN7rocprim6detail31init_lookback_scan_state_kernelINS0_19lookback_scan_stateIiLb0ELb1EEEEEvT_jjPNS4_10value_typeE
; %bb.0:
	s_load_dword s7, s[4:5], 0x24
	s_load_dwordx2 s[8:9], s[4:5], 0x10
	s_load_dwordx4 s[0:3], s[4:5], 0x0
	s_waitcnt lgkmcnt(0)
	s_and_b32 s4, s7, 0xffff
	s_mul_i32 s6, s6, s4
	s_cmp_eq_u64 s[8:9], 0
	v_add_u32_e32 v0, s6, v0
	s_cbranch_scc1 .LBB1_6
; %bb.1:
	s_cmp_lt_u32 s3, s2
	s_cselect_b32 s4, s3, 0
	s_mov_b32 s7, 0
	v_cmp_eq_u32_e32 vcc, s4, v0
	s_and_saveexec_b64 s[4:5], vcc
	s_cbranch_execz .LBB1_5
; %bb.2:
	s_add_i32 s6, s3, 64
	s_lshl_b64 s[6:7], s[6:7], 3
	s_add_u32 s6, s0, s6
	s_addc_u32 s7, s1, s7
	v_mov_b32_e32 v4, 0
	global_load_dwordx2 v[2:3], v4, s[6:7] glc
	s_waitcnt vmcnt(0)
	v_and_b32_e32 v5, 0xff, v3
	v_cmp_ne_u64_e32 vcc, 0, v[4:5]
	s_cbranch_vccnz .LBB1_4
.LBB1_3:                                ; =>This Inner Loop Header: Depth=1
	global_load_dwordx2 v[2:3], v4, s[6:7] glc
	s_waitcnt vmcnt(0)
	v_and_b32_e32 v5, 0xff, v3
	v_cmp_eq_u64_e32 vcc, 0, v[4:5]
	s_cbranch_vccnz .LBB1_3
.LBB1_4:
	v_mov_b32_e32 v1, 0
	global_store_dword v1, v2, s[8:9]
.LBB1_5:
	s_or_b64 exec, exec, s[4:5]
.LBB1_6:
	v_cmp_gt_u32_e32 vcc, s2, v0
	s_and_saveexec_b64 s[2:3], vcc
	s_cbranch_execnz .LBB1_9
; %bb.7:
	s_or_b64 exec, exec, s[2:3]
	v_cmp_gt_u32_e32 vcc, 64, v0
	s_and_saveexec_b64 s[2:3], vcc
	s_cbranch_execnz .LBB1_10
.LBB1_8:
	s_endpgm
.LBB1_9:
	v_add_u32_e32 v2, 64, v0
	v_mov_b32_e32 v3, 0
	v_lshlrev_b64 v[4:5], 3, v[2:3]
	v_mov_b32_e32 v1, s1
	v_add_co_u32_e32 v4, vcc, s0, v4
	v_addc_co_u32_e32 v5, vcc, v1, v5, vcc
	v_mov_b32_e32 v2, v3
	global_store_dwordx2 v[4:5], v[2:3], off
	s_or_b64 exec, exec, s[2:3]
	v_cmp_gt_u32_e32 vcc, 64, v0
	s_and_saveexec_b64 s[2:3], vcc
	s_cbranch_execz .LBB1_8
.LBB1_10:
	v_mov_b32_e32 v1, 0
	v_lshlrev_b64 v[2:3], 3, v[0:1]
	v_mov_b32_e32 v0, s1
	v_add_co_u32_e32 v2, vcc, s0, v2
	v_addc_co_u32_e32 v3, vcc, v0, v3, vcc
	v_mov_b32_e32 v5, 0xff
	v_mov_b32_e32 v4, v1
	global_store_dwordx2 v[2:3], v[4:5], off
	s_endpgm
	.section	.rodata,"a",@progbits
	.p2align	6, 0x0
	.amdhsa_kernel _ZN7rocprim6detail31init_lookback_scan_state_kernelINS0_19lookback_scan_stateIiLb0ELb1EEEEEvT_jjPNS4_10value_typeE
		.amdhsa_group_segment_fixed_size 0
		.amdhsa_private_segment_fixed_size 0
		.amdhsa_kernarg_size 280
		.amdhsa_user_sgpr_count 6
		.amdhsa_user_sgpr_private_segment_buffer 1
		.amdhsa_user_sgpr_dispatch_ptr 0
		.amdhsa_user_sgpr_queue_ptr 0
		.amdhsa_user_sgpr_kernarg_segment_ptr 1
		.amdhsa_user_sgpr_dispatch_id 0
		.amdhsa_user_sgpr_flat_scratch_init 0
		.amdhsa_user_sgpr_kernarg_preload_length 0
		.amdhsa_user_sgpr_kernarg_preload_offset 0
		.amdhsa_user_sgpr_private_segment_size 0
		.amdhsa_uses_dynamic_stack 0
		.amdhsa_system_sgpr_private_segment_wavefront_offset 0
		.amdhsa_system_sgpr_workgroup_id_x 1
		.amdhsa_system_sgpr_workgroup_id_y 0
		.amdhsa_system_sgpr_workgroup_id_z 0
		.amdhsa_system_sgpr_workgroup_info 0
		.amdhsa_system_vgpr_workitem_id 0
		.amdhsa_next_free_vgpr 6
		.amdhsa_next_free_sgpr 10
		.amdhsa_accum_offset 8
		.amdhsa_reserve_vcc 1
		.amdhsa_reserve_flat_scratch 0
		.amdhsa_float_round_mode_32 0
		.amdhsa_float_round_mode_16_64 0
		.amdhsa_float_denorm_mode_32 3
		.amdhsa_float_denorm_mode_16_64 3
		.amdhsa_dx10_clamp 1
		.amdhsa_ieee_mode 1
		.amdhsa_fp16_overflow 0
		.amdhsa_tg_split 0
		.amdhsa_exception_fp_ieee_invalid_op 0
		.amdhsa_exception_fp_denorm_src 0
		.amdhsa_exception_fp_ieee_div_zero 0
		.amdhsa_exception_fp_ieee_overflow 0
		.amdhsa_exception_fp_ieee_underflow 0
		.amdhsa_exception_fp_ieee_inexact 0
		.amdhsa_exception_int_div_zero 0
	.end_amdhsa_kernel
	.section	.text._ZN7rocprim6detail31init_lookback_scan_state_kernelINS0_19lookback_scan_stateIiLb0ELb1EEEEEvT_jjPNS4_10value_typeE,"axG",@progbits,_ZN7rocprim6detail31init_lookback_scan_state_kernelINS0_19lookback_scan_stateIiLb0ELb1EEEEEvT_jjPNS4_10value_typeE,comdat
.Lfunc_end1:
	.size	_ZN7rocprim6detail31init_lookback_scan_state_kernelINS0_19lookback_scan_stateIiLb0ELb1EEEEEvT_jjPNS4_10value_typeE, .Lfunc_end1-_ZN7rocprim6detail31init_lookback_scan_state_kernelINS0_19lookback_scan_stateIiLb0ELb1EEEEEvT_jjPNS4_10value_typeE
                                        ; -- End function
	.section	.AMDGPU.csdata,"",@progbits
; Kernel info:
; codeLenInByte = 304
; NumSgprs: 14
; NumVgprs: 6
; NumAgprs: 0
; TotalNumVgprs: 6
; ScratchSize: 0
; MemoryBound: 0
; FloatMode: 240
; IeeeMode: 1
; LDSByteSize: 0 bytes/workgroup (compile time only)
; SGPRBlocks: 1
; VGPRBlocks: 0
; NumSGPRsForWavesPerEU: 14
; NumVGPRsForWavesPerEU: 6
; AccumOffset: 8
; Occupancy: 8
; WaveLimiterHint : 0
; COMPUTE_PGM_RSRC2:SCRATCH_EN: 0
; COMPUTE_PGM_RSRC2:USER_SGPR: 6
; COMPUTE_PGM_RSRC2:TRAP_HANDLER: 0
; COMPUTE_PGM_RSRC2:TGID_X_EN: 1
; COMPUTE_PGM_RSRC2:TGID_Y_EN: 0
; COMPUTE_PGM_RSRC2:TGID_Z_EN: 0
; COMPUTE_PGM_RSRC2:TIDIG_COMP_CNT: 0
; COMPUTE_PGM_RSRC3_GFX90A:ACCUM_OFFSET: 1
; COMPUTE_PGM_RSRC3_GFX90A:TG_SPLIT: 0
	.section	.text._ZN7rocprim6detail20lookback_scan_kernelILNS0_25lookback_scan_determinismE0ELb0ENS0_19wrapped_scan_configINS_14default_configEiEEN6hipcub22TransformInputIteratorIiNS6_6CastOpIiEEPilEEPlNS6_3SumEiiNS0_19lookback_scan_stateIiLb1ELb1EEEEEvT2_T3_mT5_T4_T7_jPT6_SM_bb,"axG",@progbits,_ZN7rocprim6detail20lookback_scan_kernelILNS0_25lookback_scan_determinismE0ELb0ENS0_19wrapped_scan_configINS_14default_configEiEEN6hipcub22TransformInputIteratorIiNS6_6CastOpIiEEPilEEPlNS6_3SumEiiNS0_19lookback_scan_stateIiLb1ELb1EEEEEvT2_T3_mT5_T4_T7_jPT6_SM_bb,comdat
	.protected	_ZN7rocprim6detail20lookback_scan_kernelILNS0_25lookback_scan_determinismE0ELb0ENS0_19wrapped_scan_configINS_14default_configEiEEN6hipcub22TransformInputIteratorIiNS6_6CastOpIiEEPilEEPlNS6_3SumEiiNS0_19lookback_scan_stateIiLb1ELb1EEEEEvT2_T3_mT5_T4_T7_jPT6_SM_bb ; -- Begin function _ZN7rocprim6detail20lookback_scan_kernelILNS0_25lookback_scan_determinismE0ELb0ENS0_19wrapped_scan_configINS_14default_configEiEEN6hipcub22TransformInputIteratorIiNS6_6CastOpIiEEPilEEPlNS6_3SumEiiNS0_19lookback_scan_stateIiLb1ELb1EEEEEvT2_T3_mT5_T4_T7_jPT6_SM_bb
	.globl	_ZN7rocprim6detail20lookback_scan_kernelILNS0_25lookback_scan_determinismE0ELb0ENS0_19wrapped_scan_configINS_14default_configEiEEN6hipcub22TransformInputIteratorIiNS6_6CastOpIiEEPilEEPlNS6_3SumEiiNS0_19lookback_scan_stateIiLb1ELb1EEEEEvT2_T3_mT5_T4_T7_jPT6_SM_bb
	.p2align	8
	.type	_ZN7rocprim6detail20lookback_scan_kernelILNS0_25lookback_scan_determinismE0ELb0ENS0_19wrapped_scan_configINS_14default_configEiEEN6hipcub22TransformInputIteratorIiNS6_6CastOpIiEEPilEEPlNS6_3SumEiiNS0_19lookback_scan_stateIiLb1ELb1EEEEEvT2_T3_mT5_T4_T7_jPT6_SM_bb,@function
_ZN7rocprim6detail20lookback_scan_kernelILNS0_25lookback_scan_determinismE0ELb0ENS0_19wrapped_scan_configINS_14default_configEiEEN6hipcub22TransformInputIteratorIiNS6_6CastOpIiEEPilEEPlNS6_3SumEiiNS0_19lookback_scan_stateIiLb1ELb1EEEEEvT2_T3_mT5_T4_T7_jPT6_SM_bb: ; @_ZN7rocprim6detail20lookback_scan_kernelILNS0_25lookback_scan_determinismE0ELb0ENS0_19wrapped_scan_configINS_14default_configEiEEN6hipcub22TransformInputIteratorIiNS6_6CastOpIiEEPilEEPlNS6_3SumEiiNS0_19lookback_scan_stateIiLb1ELb1EEEEEvT2_T3_mT5_T4_T7_jPT6_SM_bb
; %bb.0:
	s_endpgm
	.section	.rodata,"a",@progbits
	.p2align	6, 0x0
	.amdhsa_kernel _ZN7rocprim6detail20lookback_scan_kernelILNS0_25lookback_scan_determinismE0ELb0ENS0_19wrapped_scan_configINS_14default_configEiEEN6hipcub22TransformInputIteratorIiNS6_6CastOpIiEEPilEEPlNS6_3SumEiiNS0_19lookback_scan_stateIiLb1ELb1EEEEEvT2_T3_mT5_T4_T7_jPT6_SM_bb
		.amdhsa_group_segment_fixed_size 0
		.amdhsa_private_segment_fixed_size 0
		.amdhsa_kernarg_size 76
		.amdhsa_user_sgpr_count 6
		.amdhsa_user_sgpr_private_segment_buffer 1
		.amdhsa_user_sgpr_dispatch_ptr 0
		.amdhsa_user_sgpr_queue_ptr 0
		.amdhsa_user_sgpr_kernarg_segment_ptr 1
		.amdhsa_user_sgpr_dispatch_id 0
		.amdhsa_user_sgpr_flat_scratch_init 0
		.amdhsa_user_sgpr_kernarg_preload_length 0
		.amdhsa_user_sgpr_kernarg_preload_offset 0
		.amdhsa_user_sgpr_private_segment_size 0
		.amdhsa_uses_dynamic_stack 0
		.amdhsa_system_sgpr_private_segment_wavefront_offset 0
		.amdhsa_system_sgpr_workgroup_id_x 1
		.amdhsa_system_sgpr_workgroup_id_y 0
		.amdhsa_system_sgpr_workgroup_id_z 0
		.amdhsa_system_sgpr_workgroup_info 0
		.amdhsa_system_vgpr_workitem_id 0
		.amdhsa_next_free_vgpr 1
		.amdhsa_next_free_sgpr 0
		.amdhsa_accum_offset 4
		.amdhsa_reserve_vcc 0
		.amdhsa_reserve_flat_scratch 0
		.amdhsa_float_round_mode_32 0
		.amdhsa_float_round_mode_16_64 0
		.amdhsa_float_denorm_mode_32 3
		.amdhsa_float_denorm_mode_16_64 3
		.amdhsa_dx10_clamp 1
		.amdhsa_ieee_mode 1
		.amdhsa_fp16_overflow 0
		.amdhsa_tg_split 0
		.amdhsa_exception_fp_ieee_invalid_op 0
		.amdhsa_exception_fp_denorm_src 0
		.amdhsa_exception_fp_ieee_div_zero 0
		.amdhsa_exception_fp_ieee_overflow 0
		.amdhsa_exception_fp_ieee_underflow 0
		.amdhsa_exception_fp_ieee_inexact 0
		.amdhsa_exception_int_div_zero 0
	.end_amdhsa_kernel
	.section	.text._ZN7rocprim6detail20lookback_scan_kernelILNS0_25lookback_scan_determinismE0ELb0ENS0_19wrapped_scan_configINS_14default_configEiEEN6hipcub22TransformInputIteratorIiNS6_6CastOpIiEEPilEEPlNS6_3SumEiiNS0_19lookback_scan_stateIiLb1ELb1EEEEEvT2_T3_mT5_T4_T7_jPT6_SM_bb,"axG",@progbits,_ZN7rocprim6detail20lookback_scan_kernelILNS0_25lookback_scan_determinismE0ELb0ENS0_19wrapped_scan_configINS_14default_configEiEEN6hipcub22TransformInputIteratorIiNS6_6CastOpIiEEPilEEPlNS6_3SumEiiNS0_19lookback_scan_stateIiLb1ELb1EEEEEvT2_T3_mT5_T4_T7_jPT6_SM_bb,comdat
.Lfunc_end2:
	.size	_ZN7rocprim6detail20lookback_scan_kernelILNS0_25lookback_scan_determinismE0ELb0ENS0_19wrapped_scan_configINS_14default_configEiEEN6hipcub22TransformInputIteratorIiNS6_6CastOpIiEEPilEEPlNS6_3SumEiiNS0_19lookback_scan_stateIiLb1ELb1EEEEEvT2_T3_mT5_T4_T7_jPT6_SM_bb, .Lfunc_end2-_ZN7rocprim6detail20lookback_scan_kernelILNS0_25lookback_scan_determinismE0ELb0ENS0_19wrapped_scan_configINS_14default_configEiEEN6hipcub22TransformInputIteratorIiNS6_6CastOpIiEEPilEEPlNS6_3SumEiiNS0_19lookback_scan_stateIiLb1ELb1EEEEEvT2_T3_mT5_T4_T7_jPT6_SM_bb
                                        ; -- End function
	.section	.AMDGPU.csdata,"",@progbits
; Kernel info:
; codeLenInByte = 4
; NumSgprs: 4
; NumVgprs: 0
; NumAgprs: 0
; TotalNumVgprs: 0
; ScratchSize: 0
; MemoryBound: 0
; FloatMode: 240
; IeeeMode: 1
; LDSByteSize: 0 bytes/workgroup (compile time only)
; SGPRBlocks: 0
; VGPRBlocks: 0
; NumSGPRsForWavesPerEU: 4
; NumVGPRsForWavesPerEU: 1
; AccumOffset: 4
; Occupancy: 8
; WaveLimiterHint : 0
; COMPUTE_PGM_RSRC2:SCRATCH_EN: 0
; COMPUTE_PGM_RSRC2:USER_SGPR: 6
; COMPUTE_PGM_RSRC2:TRAP_HANDLER: 0
; COMPUTE_PGM_RSRC2:TGID_X_EN: 1
; COMPUTE_PGM_RSRC2:TGID_Y_EN: 0
; COMPUTE_PGM_RSRC2:TGID_Z_EN: 0
; COMPUTE_PGM_RSRC2:TIDIG_COMP_CNT: 0
; COMPUTE_PGM_RSRC3_GFX90A:ACCUM_OFFSET: 0
; COMPUTE_PGM_RSRC3_GFX90A:TG_SPLIT: 0
	.section	.text._ZN7rocprim6detail20lookback_scan_kernelILNS0_25lookback_scan_determinismE0ELb0ENS0_19wrapped_scan_configINS_14default_configEiEEN6hipcub22TransformInputIteratorIiNS6_6CastOpIiEEPilEEPlNS6_3SumEiiNS0_19lookback_scan_stateIiLb0ELb1EEEEEvT2_T3_mT5_T4_T7_jPT6_SM_bb,"axG",@progbits,_ZN7rocprim6detail20lookback_scan_kernelILNS0_25lookback_scan_determinismE0ELb0ENS0_19wrapped_scan_configINS_14default_configEiEEN6hipcub22TransformInputIteratorIiNS6_6CastOpIiEEPilEEPlNS6_3SumEiiNS0_19lookback_scan_stateIiLb0ELb1EEEEEvT2_T3_mT5_T4_T7_jPT6_SM_bb,comdat
	.protected	_ZN7rocprim6detail20lookback_scan_kernelILNS0_25lookback_scan_determinismE0ELb0ENS0_19wrapped_scan_configINS_14default_configEiEEN6hipcub22TransformInputIteratorIiNS6_6CastOpIiEEPilEEPlNS6_3SumEiiNS0_19lookback_scan_stateIiLb0ELb1EEEEEvT2_T3_mT5_T4_T7_jPT6_SM_bb ; -- Begin function _ZN7rocprim6detail20lookback_scan_kernelILNS0_25lookback_scan_determinismE0ELb0ENS0_19wrapped_scan_configINS_14default_configEiEEN6hipcub22TransformInputIteratorIiNS6_6CastOpIiEEPilEEPlNS6_3SumEiiNS0_19lookback_scan_stateIiLb0ELb1EEEEEvT2_T3_mT5_T4_T7_jPT6_SM_bb
	.globl	_ZN7rocprim6detail20lookback_scan_kernelILNS0_25lookback_scan_determinismE0ELb0ENS0_19wrapped_scan_configINS_14default_configEiEEN6hipcub22TransformInputIteratorIiNS6_6CastOpIiEEPilEEPlNS6_3SumEiiNS0_19lookback_scan_stateIiLb0ELb1EEEEEvT2_T3_mT5_T4_T7_jPT6_SM_bb
	.p2align	8
	.type	_ZN7rocprim6detail20lookback_scan_kernelILNS0_25lookback_scan_determinismE0ELb0ENS0_19wrapped_scan_configINS_14default_configEiEEN6hipcub22TransformInputIteratorIiNS6_6CastOpIiEEPilEEPlNS6_3SumEiiNS0_19lookback_scan_stateIiLb0ELb1EEEEEvT2_T3_mT5_T4_T7_jPT6_SM_bb,@function
_ZN7rocprim6detail20lookback_scan_kernelILNS0_25lookback_scan_determinismE0ELb0ENS0_19wrapped_scan_configINS_14default_configEiEEN6hipcub22TransformInputIteratorIiNS6_6CastOpIiEEPilEEPlNS6_3SumEiiNS0_19lookback_scan_stateIiLb0ELb1EEEEEvT2_T3_mT5_T4_T7_jPT6_SM_bb: ; @_ZN7rocprim6detail20lookback_scan_kernelILNS0_25lookback_scan_determinismE0ELb0ENS0_19wrapped_scan_configINS_14default_configEiEEN6hipcub22TransformInputIteratorIiNS6_6CastOpIiEEPilEEPlNS6_3SumEiiNS0_19lookback_scan_stateIiLb0ELb1EEEEEvT2_T3_mT5_T4_T7_jPT6_SM_bb
; %bb.0:
	s_load_dword s2, s[4:5], 0x30
	s_load_dwordx2 s[0:1], s[4:5], 0x0
	s_load_dwordx4 s[20:23], s[4:5], 0x10
	s_mul_i32 s18, s6, 0x500
	s_mov_b32 s19, 0
	s_waitcnt lgkmcnt(0)
	s_add_i32 s2, s2, -1
	s_mul_i32 s3, s2, 0x500
	s_sub_u32 s24, s22, s3
	s_subb_u32 s25, s23, 0
	s_cmp_lg_u32 s6, s2
	s_cselect_b64 s[22:23], -1, 0
	s_lshl_b64 s[2:3], s[18:19], 2
	s_add_u32 s2, s0, s2
	s_addc_u32 s3, s1, s3
	s_mov_b64 s[0:1], -1
	s_and_b64 vcc, exec, s[22:23]
	v_lshlrev_b32_e32 v23, 2, v0
	s_cbranch_vccz .LBB3_2
; %bb.1:
	v_mov_b32_e32 v1, s3
	v_add_co_u32_e32 v2, vcc, s2, v23
	v_addc_co_u32_e32 v1, vcc, 0, v1, vcc
	v_add_co_u32_e32 v2, vcc, 0x1000, v2
	v_addc_co_u32_e32 v3, vcc, 0, v1, vcc
	global_load_dword v4, v23, s[2:3]
	global_load_dword v5, v23, s[2:3] offset:512
	global_load_dword v6, v23, s[2:3] offset:1024
	;; [unrolled: 1-line block ×7, first 2 shown]
	global_load_dword v1, v[2:3], off
	global_load_dword v12, v[2:3], off offset:512
	s_mov_b64 s[0:1], 0
	s_waitcnt vmcnt(8)
	ds_write2st64_b32 v23, v4, v5 offset1:2
	s_waitcnt vmcnt(6)
	ds_write2st64_b32 v23, v6, v7 offset0:4 offset1:6
	s_waitcnt vmcnt(4)
	ds_write2st64_b32 v23, v8, v9 offset0:8 offset1:10
	;; [unrolled: 2-line block ×4, first 2 shown]
	s_waitcnt lgkmcnt(0)
	s_barrier
.LBB3_2:
	s_andn2_b64 vcc, exec, s[0:1]
	v_cmp_gt_u32_e64 s[0:1], s24, v0
	s_cbranch_vccnz .LBB3_24
; %bb.3:
	s_load_dword s8, s[2:3], 0x0
	v_mov_b32_e32 v1, s3
	v_add_co_u32_e32 v12, vcc, s2, v23
	v_addc_co_u32_e32 v13, vcc, 0, v1, vcc
	s_waitcnt lgkmcnt(0)
	s_mov_b32 s9, s8
	s_mov_b32 s10, s8
	;; [unrolled: 1-line block ×9, first 2 shown]
	v_pk_mov_b32 v[2:3], s[8:9], s[8:9] op_sel:[0,1]
	v_pk_mov_b32 v[4:5], s[10:11], s[10:11] op_sel:[0,1]
	;; [unrolled: 1-line block ×5, first 2 shown]
	v_mov_b32_e32 v1, s8
	s_and_saveexec_b64 s[2:3], s[0:1]
	s_cbranch_execz .LBB3_5
; %bb.4:
	global_load_dword v1, v[12:13], off
	v_pk_mov_b32 v[2:3], s[8:9], s[8:9] op_sel:[0,1]
	v_pk_mov_b32 v[4:5], s[10:11], s[10:11] op_sel:[0,1]
	;; [unrolled: 1-line block ×5, first 2 shown]
                                        ; kill: def $vgpr2 killed $vgpr1 killed $exec
.LBB3_5:
	s_or_b64 exec, exec, s[2:3]
	v_or_b32_e32 v2, 0x80, v0
	v_cmp_gt_u32_e32 vcc, s24, v2
	s_and_saveexec_b64 s[0:1], vcc
	s_cbranch_execz .LBB3_7
; %bb.6:
	global_load_dword v3, v[12:13], off offset:512
.LBB3_7:
	s_or_b64 exec, exec, s[0:1]
	v_or_b32_e32 v2, 0x100, v0
	v_cmp_gt_u32_e32 vcc, s24, v2
	s_and_saveexec_b64 s[0:1], vcc
	s_cbranch_execz .LBB3_9
; %bb.8:
	global_load_dword v4, v[12:13], off offset:1024
.LBB3_9:
	;; [unrolled: 8-line block ×7, first 2 shown]
	s_or_b64 exec, exec, s[0:1]
	v_or_b32_e32 v2, 0x400, v0
	v_cmp_gt_u32_e32 vcc, s24, v2
	s_and_saveexec_b64 s[0:1], vcc
	s_cbranch_execz .LBB3_21
; %bb.20:
	v_add_co_u32_e32 v14, vcc, 0x1000, v12
	v_addc_co_u32_e32 v15, vcc, 0, v13, vcc
	global_load_dword v10, v[14:15], off
.LBB3_21:
	s_or_b64 exec, exec, s[0:1]
	v_or_b32_e32 v2, 0x480, v0
	v_cmp_gt_u32_e32 vcc, s24, v2
	s_and_saveexec_b64 s[0:1], vcc
	s_cbranch_execz .LBB3_23
; %bb.22:
	v_add_co_u32_e32 v12, vcc, 0x1000, v12
	v_addc_co_u32_e32 v13, vcc, 0, v13, vcc
	global_load_dword v11, v[12:13], off offset:512
.LBB3_23:
	s_or_b64 exec, exec, s[0:1]
	s_waitcnt vmcnt(0)
	ds_write2st64_b32 v23, v1, v3 offset1:2
	ds_write2st64_b32 v23, v4, v5 offset0:4 offset1:6
	ds_write2st64_b32 v23, v6, v7 offset0:8 offset1:10
	;; [unrolled: 1-line block ×4, first 2 shown]
	s_waitcnt lgkmcnt(0)
	s_barrier
.LBB3_24:
	v_mul_u32_u24_e32 v22, 10, v0
	v_lshlrev_b32_e32 v1, 2, v22
	ds_read2_b64 v[16:19], v1 offset1:1
	ds_read2_b64 v[12:15], v1 offset0:2 offset1:3
	ds_read_b64 v[20:21], v1 offset:32
	s_load_dwordx2 s[12:13], s[4:5], 0x28
	s_cmp_lg_u32 s6, 0
	v_lshrrev_b32_e32 v24, 5, v0
	v_cmp_gt_u32_e32 vcc, 64, v0
	s_waitcnt lgkmcnt(0)
	s_barrier
	s_cbranch_scc0 .LBB3_49
; %bb.25:
	v_add_u32_e32 v2, v17, v16
	v_add3_u32 v2, v2, v18, v19
	v_add3_u32 v2, v2, v12, v13
	;; [unrolled: 1-line block ×4, first 2 shown]
	v_add_lshl_u32 v3, v24, v0, 2
	ds_write_b32 v3, v2
	s_waitcnt lgkmcnt(0)
	s_barrier
	s_and_saveexec_b64 s[2:3], vcc
	s_cbranch_execz .LBB3_27
; %bb.26:
	v_lshlrev_b32_e32 v3, 1, v0
	v_lshrrev_b32_e32 v4, 4, v0
	v_add_lshl_u32 v3, v4, v3, 2
	ds_read2_b32 v[4:5], v3 offset1:1
	v_mbcnt_lo_u32_b32 v6, -1, 0
	v_mbcnt_hi_u32_b32 v6, -1, v6
	v_and_b32_e32 v7, 15, v6
	v_cmp_ne_u32_e64 s[0:1], 0, v7
	s_waitcnt lgkmcnt(0)
	v_add_u32_e32 v8, v5, v4
	s_nop 1
	v_mov_b32_dpp v9, v8 row_shr:1 row_mask:0xf bank_mask:0xf
	v_cndmask_b32_e64 v9, 0, v9, s[0:1]
	v_add_u32_e32 v8, v9, v8
	v_cmp_lt_u32_e64 s[0:1], 1, v7
	s_nop 0
	v_mov_b32_dpp v9, v8 row_shr:2 row_mask:0xf bank_mask:0xf
	v_cndmask_b32_e64 v9, 0, v9, s[0:1]
	v_add_u32_e32 v8, v8, v9
	v_cmp_lt_u32_e64 s[0:1], 3, v7
	;; [unrolled: 5-line block ×3, first 2 shown]
	s_nop 0
	v_mov_b32_dpp v9, v8 row_shr:8 row_mask:0xf bank_mask:0xf
	v_cndmask_b32_e64 v7, 0, v9, s[0:1]
	v_add_u32_e32 v7, v8, v7
	v_bfe_i32 v9, v6, 4, 1
	v_cmp_lt_u32_e64 s[0:1], 31, v6
	v_mov_b32_dpp v8, v7 row_bcast:15 row_mask:0xf bank_mask:0xf
	v_and_b32_e32 v8, v9, v8
	v_add_u32_e32 v7, v7, v8
	v_and_b32_e32 v9, 64, v6
	s_nop 0
	v_mov_b32_dpp v8, v7 row_bcast:31 row_mask:0xf bank_mask:0xf
	v_cndmask_b32_e64 v8, 0, v8, s[0:1]
	v_add_u32_e32 v7, v7, v8
	v_add_u32_e32 v8, -1, v6
	v_cmp_lt_i32_e64 s[0:1], v8, v9
	v_cndmask_b32_e64 v6, v8, v6, s[0:1]
	v_lshlrev_b32_e32 v6, 2, v6
	ds_bpermute_b32 v6, v6, v7
	v_cmp_eq_u32_e64 s[0:1], 0, v0
	s_waitcnt lgkmcnt(0)
	v_add_u32_e32 v4, v6, v4
	v_cndmask_b32_e64 v2, v4, v2, s[0:1]
	v_add_u32_e32 v4, v2, v5
	ds_write2_b32 v3, v2, v4 offset1:1
.LBB3_27:
	s_or_b64 exec, exec, s[2:3]
	v_cmp_eq_u32_e64 s[0:1], 0, v0
	v_cmp_ne_u32_e64 s[2:3], 0, v0
	v_mov_b32_e32 v25, 0
	s_waitcnt lgkmcnt(0)
	s_barrier
	s_and_saveexec_b64 s[8:9], s[2:3]
	s_cbranch_execz .LBB3_29
; %bb.28:
	v_add_u32_e32 v2, -1, v0
	v_lshrrev_b32_e32 v3, 5, v2
	v_add_lshl_u32 v2, v3, v2, 2
	ds_read_b32 v25, v2
.LBB3_29:
	s_or_b64 exec, exec, s[8:9]
	s_and_saveexec_b64 s[8:9], vcc
	s_cbranch_execz .LBB3_48
; %bb.30:
	v_mov_b32_e32 v9, 0
	ds_read_b32 v2, v9 offset:520
	v_mbcnt_lo_u32_b32 v3, -1, 0
	v_mbcnt_hi_u32_b32 v5, -1, v3
	s_mov_b32 s15, 0
	v_cmp_eq_u32_e64 s[2:3], 0, v5
	s_and_saveexec_b64 s[10:11], s[2:3]
	s_cbranch_execz .LBB3_32
; %bb.31:
	s_add_i32 s14, s6, 64
	s_lshl_b64 s[14:15], s[14:15], 3
	s_add_u32 s14, s12, s14
	s_addc_u32 s15, s13, s15
	v_mov_b32_e32 v3, 1
	s_waitcnt lgkmcnt(0)
	global_store_dwordx2 v9, v[2:3], s[14:15]
.LBB3_32:
	s_or_b64 exec, exec, s[10:11]
	v_xad_u32 v4, v5, -1, s6
	v_add_u32_e32 v8, 64, v4
	v_lshlrev_b64 v[6:7], 3, v[8:9]
	v_mov_b32_e32 v3, s13
	v_add_co_u32_e32 v10, vcc, s12, v6
	v_addc_co_u32_e32 v11, vcc, v3, v7, vcc
	global_load_dwordx2 v[6:7], v[10:11], off glc
	s_waitcnt vmcnt(0)
	v_cmp_eq_u16_sdwa s[14:15], v7, v9 src0_sel:BYTE_0 src1_sel:DWORD
	s_and_saveexec_b64 s[10:11], s[14:15]
	s_cbranch_execz .LBB3_36
; %bb.33:
	s_mov_b64 s[14:15], 0
	v_mov_b32_e32 v3, 0
.LBB3_34:                               ; =>This Inner Loop Header: Depth=1
	global_load_dwordx2 v[6:7], v[10:11], off glc
	s_waitcnt vmcnt(0)
	v_cmp_ne_u16_sdwa s[16:17], v7, v3 src0_sel:BYTE_0 src1_sel:DWORD
	s_or_b64 s[14:15], s[16:17], s[14:15]
	s_andn2_b64 exec, exec, s[14:15]
	s_cbranch_execnz .LBB3_34
; %bb.35:
	s_or_b64 exec, exec, s[14:15]
.LBB3_36:
	s_or_b64 exec, exec, s[10:11]
	v_and_b32_e32 v34, 63, v5
	v_mov_b32_e32 v3, 2
	v_cmp_ne_u32_e32 vcc, 63, v34
	v_cmp_eq_u16_sdwa s[10:11], v7, v3 src0_sel:BYTE_0 src1_sel:DWORD
	v_lshlrev_b64 v[8:9], v5, -1
	v_addc_co_u32_e32 v26, vcc, 0, v5, vcc
	v_and_b32_e32 v10, s11, v9
	v_lshlrev_b32_e32 v26, 2, v26
	v_or_b32_e32 v10, 0x80000000, v10
	ds_bpermute_b32 v28, v26, v6
	v_and_b32_e32 v11, s10, v8
	v_ffbl_b32_e32 v10, v10
	v_add_u32_e32 v10, 32, v10
	v_ffbl_b32_e32 v11, v11
	v_min_u32_e32 v10, v11, v10
	v_add_u32_e32 v27, 1, v5
	v_cmp_le_u32_e32 vcc, v27, v10
	s_waitcnt lgkmcnt(0)
	v_cndmask_b32_e32 v11, 0, v28, vcc
	v_cmp_gt_u32_e32 vcc, 62, v34
	v_add_u32_e32 v6, v11, v6
	v_cndmask_b32_e64 v11, 0, 1, vcc
	v_lshlrev_b32_e32 v11, 1, v11
	v_add_lshl_u32 v28, v11, v5, 2
	ds_bpermute_b32 v11, v28, v6
	v_add_u32_e32 v29, 2, v5
	v_cmp_le_u32_e32 vcc, v29, v10
	v_add_u32_e32 v31, 4, v5
	v_add_u32_e32 v33, 8, v5
	s_waitcnt lgkmcnt(0)
	v_cndmask_b32_e32 v11, 0, v11, vcc
	v_cmp_gt_u32_e32 vcc, 60, v34
	v_add_u32_e32 v6, v6, v11
	v_cndmask_b32_e64 v11, 0, 1, vcc
	v_lshlrev_b32_e32 v11, 2, v11
	v_add_lshl_u32 v30, v11, v5, 2
	ds_bpermute_b32 v11, v30, v6
	v_cmp_le_u32_e32 vcc, v31, v10
	v_add_u32_e32 v36, 16, v5
	v_add_u32_e32 v38, 32, v5
	s_waitcnt lgkmcnt(0)
	v_cndmask_b32_e32 v11, 0, v11, vcc
	v_cmp_gt_u32_e32 vcc, 56, v34
	v_add_u32_e32 v6, v6, v11
	v_cndmask_b32_e64 v11, 0, 1, vcc
	v_lshlrev_b32_e32 v11, 3, v11
	v_add_lshl_u32 v32, v11, v5, 2
	ds_bpermute_b32 v11, v32, v6
	v_cmp_le_u32_e32 vcc, v33, v10
	s_waitcnt lgkmcnt(0)
	v_cndmask_b32_e32 v11, 0, v11, vcc
	v_cmp_gt_u32_e32 vcc, 48, v34
	v_add_u32_e32 v6, v6, v11
	v_cndmask_b32_e64 v11, 0, 1, vcc
	v_lshlrev_b32_e32 v11, 4, v11
	v_add_lshl_u32 v35, v11, v5, 2
	ds_bpermute_b32 v11, v35, v6
	v_cmp_le_u32_e32 vcc, v36, v10
	;; [unrolled: 9-line block ×3, first 2 shown]
	s_waitcnt lgkmcnt(0)
	v_cndmask_b32_e32 v5, 0, v11, vcc
	v_add_u32_e32 v6, v6, v5
	v_mov_b32_e32 v5, 0
	s_branch .LBB3_38
.LBB3_37:                               ;   in Loop: Header=BB3_38 Depth=1
	s_or_b64 exec, exec, s[10:11]
	v_cmp_eq_u16_sdwa s[10:11], v7, v3 src0_sel:BYTE_0 src1_sel:DWORD
	v_and_b32_e32 v10, s11, v9
	v_or_b32_e32 v10, 0x80000000, v10
	ds_bpermute_b32 v39, v26, v6
	v_and_b32_e32 v11, s10, v8
	v_ffbl_b32_e32 v10, v10
	v_add_u32_e32 v10, 32, v10
	v_ffbl_b32_e32 v11, v11
	v_min_u32_e32 v10, v11, v10
	v_cmp_le_u32_e32 vcc, v27, v10
	s_waitcnt lgkmcnt(0)
	v_cndmask_b32_e32 v11, 0, v39, vcc
	v_add_u32_e32 v6, v11, v6
	ds_bpermute_b32 v11, v28, v6
	v_cmp_le_u32_e32 vcc, v29, v10
	v_subrev_u32_e32 v4, 64, v4
	s_waitcnt lgkmcnt(0)
	v_cndmask_b32_e32 v11, 0, v11, vcc
	v_add_u32_e32 v6, v6, v11
	ds_bpermute_b32 v11, v30, v6
	v_cmp_le_u32_e32 vcc, v31, v10
	s_waitcnt lgkmcnt(0)
	v_cndmask_b32_e32 v11, 0, v11, vcc
	v_add_u32_e32 v6, v6, v11
	ds_bpermute_b32 v11, v32, v6
	v_cmp_le_u32_e32 vcc, v33, v10
	;; [unrolled: 5-line block ×4, first 2 shown]
	s_waitcnt lgkmcnt(0)
	v_cndmask_b32_e32 v10, 0, v11, vcc
	v_add3_u32 v6, v10, v34, v6
.LBB3_38:                               ; =>This Loop Header: Depth=1
                                        ;     Child Loop BB3_41 Depth 2
	v_cmp_ne_u16_sdwa s[10:11], v7, v3 src0_sel:BYTE_0 src1_sel:DWORD
	v_cndmask_b32_e64 v7, 0, 1, s[10:11]
	;;#ASMSTART
	;;#ASMEND
	v_cmp_ne_u32_e32 vcc, 0, v7
	s_cmp_lg_u64 vcc, exec
	v_mov_b32_e32 v34, v6
	s_cbranch_scc1 .LBB3_43
; %bb.39:                               ;   in Loop: Header=BB3_38 Depth=1
	v_lshlrev_b64 v[6:7], 3, v[4:5]
	v_mov_b32_e32 v11, s13
	v_add_co_u32_e32 v10, vcc, s12, v6
	v_addc_co_u32_e32 v11, vcc, v11, v7, vcc
	global_load_dwordx2 v[6:7], v[10:11], off glc
	s_waitcnt vmcnt(0)
	v_cmp_eq_u16_sdwa s[14:15], v7, v5 src0_sel:BYTE_0 src1_sel:DWORD
	s_and_saveexec_b64 s[10:11], s[14:15]
	s_cbranch_execz .LBB3_37
; %bb.40:                               ;   in Loop: Header=BB3_38 Depth=1
	s_mov_b64 s[14:15], 0
.LBB3_41:                               ;   Parent Loop BB3_38 Depth=1
                                        ; =>  This Inner Loop Header: Depth=2
	global_load_dwordx2 v[6:7], v[10:11], off glc
	s_waitcnt vmcnt(0)
	v_cmp_ne_u16_sdwa s[16:17], v7, v5 src0_sel:BYTE_0 src1_sel:DWORD
	s_or_b64 s[14:15], s[16:17], s[14:15]
	s_andn2_b64 exec, exec, s[14:15]
	s_cbranch_execnz .LBB3_41
; %bb.42:                               ;   in Loop: Header=BB3_38 Depth=1
	s_or_b64 exec, exec, s[14:15]
	s_branch .LBB3_37
.LBB3_43:                               ;   in Loop: Header=BB3_38 Depth=1
                                        ; implicit-def: $vgpr6
                                        ; implicit-def: $vgpr7
	s_cbranch_execz .LBB3_38
; %bb.44:
	s_and_saveexec_b64 s[10:11], s[2:3]
	s_cbranch_execz .LBB3_46
; %bb.45:
	s_add_i32 s2, s6, 64
	s_mov_b32 s3, 0
	s_lshl_b64 s[2:3], s[2:3], 3
	s_add_u32 s2, s12, s2
	s_addc_u32 s3, s13, s3
	v_mov_b32_e32 v4, 0
	v_add_u32_e32 v2, v34, v2
	v_mov_b32_e32 v3, 2
	global_store_dwordx2 v4, v[2:3], s[2:3]
.LBB3_46:
	s_or_b64 exec, exec, s[10:11]
	s_and_b64 exec, exec, s[0:1]
	s_cbranch_execz .LBB3_48
; %bb.47:
	v_mov_b32_e32 v2, 0
	ds_write_b32 v2, v34
.LBB3_48:
	s_or_b64 exec, exec, s[8:9]
	v_mov_b32_e32 v2, 0
	s_waitcnt lgkmcnt(0)
	s_barrier
	ds_read_b32 v2, v2
	s_waitcnt lgkmcnt(0)
	v_add3_u32 v2, v25, v16, v2
	v_add_u32_e32 v3, v2, v17
	v_add_u32_e32 v4, v3, v18
	;; [unrolled: 1-line block ×9, first 2 shown]
	s_load_dwordx4 s[8:11], s[4:5], 0x38
	s_branch .LBB3_59
.LBB3_49:
                                        ; implicit-def: $vgpr2_vgpr3_vgpr4_vgpr5_vgpr6_vgpr7_vgpr8_vgpr9_vgpr10_vgpr11
	s_load_dwordx4 s[8:11], s[4:5], 0x38
	s_cbranch_execz .LBB3_59
; %bb.50:
	s_load_dword s2, s[4:5], 0x48
	v_cmp_eq_u32_e32 vcc, 0, v0
	v_cmp_ne_u32_e64 s[0:1], 0, v0
	s_waitcnt lgkmcnt(0)
	s_bitcmp1_b32 s2, 0
	s_cselect_b64 s[2:3], -1, 0
	s_and_b64 s[6:7], vcc, s[2:3]
	s_and_saveexec_b64 s[2:3], s[6:7]
	s_cbranch_execz .LBB3_52
; %bb.51:
	s_load_dword s6, s[8:9], 0x0
	s_waitcnt lgkmcnt(0)
	v_add_u32_e32 v16, s6, v16
.LBB3_52:
	s_or_b64 exec, exec, s[2:3]
	v_add_u32_e32 v2, v17, v16
	v_add3_u32 v2, v2, v18, v19
	v_add3_u32 v2, v2, v12, v13
	;; [unrolled: 1-line block ×4, first 2 shown]
	v_add_lshl_u32 v3, v24, v0, 2
	v_cmp_gt_u32_e64 s[2:3], 64, v0
	ds_write_b32 v3, v2
	s_waitcnt lgkmcnt(0)
	s_barrier
	s_and_saveexec_b64 s[6:7], s[2:3]
	s_cbranch_execz .LBB3_54
; %bb.53:
	v_lshlrev_b32_e32 v3, 1, v0
	v_lshrrev_b32_e32 v4, 4, v0
	v_add_lshl_u32 v3, v4, v3, 2
	ds_read2_b32 v[4:5], v3 offset1:1
	v_mbcnt_lo_u32_b32 v6, -1, 0
	v_mbcnt_hi_u32_b32 v6, -1, v6
	v_and_b32_e32 v7, 15, v6
	v_cmp_ne_u32_e64 s[2:3], 0, v7
	s_waitcnt lgkmcnt(0)
	v_add_u32_e32 v8, v5, v4
	s_nop 1
	v_mov_b32_dpp v9, v8 row_shr:1 row_mask:0xf bank_mask:0xf
	v_cndmask_b32_e64 v9, 0, v9, s[2:3]
	v_add_u32_e32 v8, v9, v8
	v_cmp_lt_u32_e64 s[2:3], 1, v7
	s_nop 0
	v_mov_b32_dpp v9, v8 row_shr:2 row_mask:0xf bank_mask:0xf
	v_cndmask_b32_e64 v9, 0, v9, s[2:3]
	v_add_u32_e32 v8, v8, v9
	v_cmp_lt_u32_e64 s[2:3], 3, v7
	;; [unrolled: 5-line block ×3, first 2 shown]
	s_nop 0
	v_mov_b32_dpp v9, v8 row_shr:8 row_mask:0xf bank_mask:0xf
	v_cndmask_b32_e64 v7, 0, v9, s[2:3]
	v_add_u32_e32 v7, v8, v7
	v_bfe_i32 v9, v6, 4, 1
	v_cmp_lt_u32_e64 s[2:3], 31, v6
	v_mov_b32_dpp v8, v7 row_bcast:15 row_mask:0xf bank_mask:0xf
	v_and_b32_e32 v8, v9, v8
	v_add_u32_e32 v7, v7, v8
	v_and_b32_e32 v9, 64, v6
	s_nop 0
	v_mov_b32_dpp v8, v7 row_bcast:31 row_mask:0xf bank_mask:0xf
	v_cndmask_b32_e64 v8, 0, v8, s[2:3]
	v_add_u32_e32 v7, v7, v8
	v_add_u32_e32 v8, -1, v6
	v_cmp_lt_i32_e64 s[2:3], v8, v9
	v_cndmask_b32_e64 v6, v8, v6, s[2:3]
	v_lshlrev_b32_e32 v6, 2, v6
	ds_bpermute_b32 v6, v6, v7
	s_waitcnt lgkmcnt(0)
	v_add_u32_e32 v4, v6, v4
	v_cndmask_b32_e32 v2, v4, v2, vcc
	v_add_u32_e32 v4, v2, v5
	ds_write2_b32 v3, v2, v4 offset1:1
.LBB3_54:
	s_or_b64 exec, exec, s[6:7]
	v_mov_b32_e32 v2, 0
	s_waitcnt lgkmcnt(0)
	s_barrier
	s_and_saveexec_b64 s[2:3], s[0:1]
	s_cbranch_execz .LBB3_56
; %bb.55:
	v_add_u32_e32 v2, -1, v0
	v_lshrrev_b32_e32 v3, 5, v2
	v_add_lshl_u32 v2, v3, v2, 2
	ds_read_b32 v2, v2
.LBB3_56:
	s_or_b64 exec, exec, s[2:3]
	s_waitcnt lgkmcnt(0)
	v_add_u32_e32 v2, v2, v16
	v_add_u32_e32 v3, v2, v17
	;; [unrolled: 1-line block ×10, first 2 shown]
	s_and_saveexec_b64 s[0:1], vcc
	s_cbranch_execz .LBB3_58
; %bb.57:
	v_mov_b32_e32 v14, 0
	ds_read_b32 v12, v14 offset:520
	v_mov_b32_e32 v13, 2
	s_waitcnt lgkmcnt(0)
	global_store_dwordx2 v14, v[12:13], s[12:13] offset:512
.LBB3_58:
	s_or_b64 exec, exec, s[0:1]
.LBB3_59:
	s_lshl_b64 s[0:1], s[18:19], 3
	s_add_u32 s0, s20, s0
	s_addc_u32 s1, s21, s1
	s_mov_b64 s[2:3], -1
	s_and_b64 vcc, exec, s[22:23]
	v_lshlrev_b32_e32 v12, 3, v0
	s_waitcnt lgkmcnt(0)
	s_barrier
	s_cbranch_vccz .LBB3_61
; %bb.60:
	ds_write2_b64 v1, v[2:3], v[4:5] offset1:1
	ds_write2_b64 v1, v[6:7], v[8:9] offset0:2 offset1:3
	ds_write_b64 v1, v[10:11] offset:32
	s_waitcnt lgkmcnt(0)
	s_barrier
	ds_read2st64_b32 v[14:15], v23 offset1:2
	ds_read2st64_b32 v[18:19], v23 offset0:4 offset1:6
	ds_read2st64_b32 v[28:29], v23 offset0:12 offset1:14
	v_mov_b32_e32 v13, s1
	v_add_co_u32_e32 v38, vcc, s0, v12
	s_waitcnt lgkmcnt(2)
	v_ashrrev_i32_e32 v17, 31, v14
	v_mov_b32_e32 v16, v14
	v_ashrrev_i32_e32 v21, 31, v15
	v_mov_b32_e32 v20, v15
	ds_read2st64_b32 v[14:15], v23 offset0:8 offset1:10
	s_waitcnt lgkmcnt(2)
	v_ashrrev_i32_e32 v25, 31, v18
	v_mov_b32_e32 v24, v18
	v_ashrrev_i32_e32 v27, 31, v19
	v_mov_b32_e32 v26, v19
	s_waitcnt lgkmcnt(0)
	v_ashrrev_i32_e32 v19, 31, v14
	v_mov_b32_e32 v18, v14
	v_ashrrev_i32_e32 v31, 31, v15
	v_mov_b32_e32 v30, v15
	ds_read2st64_b32 v[14:15], v23 offset0:16 offset1:18
	v_addc_co_u32_e32 v13, vcc, 0, v13, vcc
	s_movk_i32 s2, 0x1000
	v_ashrrev_i32_e32 v33, 31, v28
	v_mov_b32_e32 v32, v28
	v_ashrrev_i32_e32 v35, 31, v29
	v_mov_b32_e32 v34, v29
	s_waitcnt lgkmcnt(0)
	v_ashrrev_i32_e32 v29, 31, v14
	v_mov_b32_e32 v28, v14
	v_add_co_u32_e32 v14, vcc, s2, v38
	v_ashrrev_i32_e32 v37, 31, v15
	v_mov_b32_e32 v36, v15
	v_addc_co_u32_e32 v15, vcc, 0, v13, vcc
	global_store_dwordx2 v12, v[16:17], s[0:1]
	global_store_dwordx2 v12, v[20:21], s[0:1] offset:1024
	global_store_dwordx2 v12, v[24:25], s[0:1] offset:2048
	;; [unrolled: 1-line block ×3, first 2 shown]
	global_store_dwordx2 v[14:15], v[18:19], off
	global_store_dwordx2 v[14:15], v[30:31], off offset:1024
	global_store_dwordx2 v[14:15], v[32:33], off offset:2048
	;; [unrolled: 1-line block ×3, first 2 shown]
	v_add_co_u32_e32 v14, vcc, 0x2000, v38
	v_addc_co_u32_e32 v15, vcc, 0, v13, vcc
	global_store_dwordx2 v[14:15], v[28:29], off
	global_store_dwordx2 v[14:15], v[36:37], off offset:1024
	s_mov_b64 s[2:3], 0
.LBB3_61:
	s_andn2_b64 vcc, exec, s[2:3]
	s_cbranch_vccnz .LBB3_117
; %bb.62:
	ds_write2_b64 v1, v[2:3], v[4:5] offset1:1
	ds_write2_b64 v1, v[6:7], v[8:9] offset0:2 offset1:3
	ds_write_b64 v1, v[10:11] offset:32
	s_waitcnt lgkmcnt(0)
	s_barrier
	ds_read2st64_b32 v[2:3], v23 offset1:2
	ds_read2st64_b32 v[6:7], v23 offset0:4 offset1:6
	ds_read2st64_b32 v[4:5], v23 offset0:8 offset1:10
	;; [unrolled: 1-line block ×4, first 2 shown]
	v_mov_b32_e32 v13, s1
	v_add_co_u32_e32 v12, vcc, s0, v12
	v_addc_co_u32_e32 v13, vcc, 0, v13, vcc
	v_mov_b32_e32 v1, 0
	v_cmp_gt_u32_e32 vcc, s24, v0
	s_and_saveexec_b64 s[0:1], vcc
	s_cbranch_execz .LBB3_64
; %bb.63:
	s_waitcnt lgkmcnt(4)
	v_ashrrev_i32_e32 v15, 31, v2
	v_mov_b32_e32 v14, v2
	global_store_dwordx2 v[12:13], v[14:15], off
.LBB3_64:
	s_or_b64 exec, exec, s[0:1]
	v_or_b32_e32 v14, 0x80, v0
	v_cmp_gt_u32_e32 vcc, s24, v14
	s_and_saveexec_b64 s[0:1], vcc
	s_cbranch_execz .LBB3_66
; %bb.65:
	s_waitcnt lgkmcnt(4)
	v_ashrrev_i32_e32 v15, 31, v3
	v_mov_b32_e32 v14, v3
	global_store_dwordx2 v[12:13], v[14:15], off offset:1024
.LBB3_66:
	s_or_b64 exec, exec, s[0:1]
	v_or_b32_e32 v14, 0x100, v0
	v_cmp_gt_u32_e32 vcc, s24, v14
	s_and_saveexec_b64 s[0:1], vcc
	s_cbranch_execz .LBB3_68
; %bb.67:
	s_waitcnt lgkmcnt(3)
	v_ashrrev_i32_e32 v15, 31, v6
	v_mov_b32_e32 v14, v6
	global_store_dwordx2 v[12:13], v[14:15], off offset:2048
.LBB3_68:
	;; [unrolled: 11-line block ×3, first 2 shown]
	s_or_b64 exec, exec, s[0:1]
	v_or_b32_e32 v14, 0x200, v0
	v_cmp_gt_u32_e32 vcc, s24, v14
	s_and_saveexec_b64 s[0:1], vcc
	s_cbranch_execz .LBB3_72
; %bb.71:
	v_add_co_u32_e32 v16, vcc, 0x1000, v12
	s_waitcnt lgkmcnt(2)
	v_ashrrev_i32_e32 v15, 31, v4
	v_mov_b32_e32 v14, v4
	v_addc_co_u32_e32 v17, vcc, 0, v13, vcc
	global_store_dwordx2 v[16:17], v[14:15], off
.LBB3_72:
	s_or_b64 exec, exec, s[0:1]
	v_or_b32_e32 v14, 0x280, v0
	v_cmp_gt_u32_e32 vcc, s24, v14
	s_and_saveexec_b64 s[0:1], vcc
	s_cbranch_execz .LBB3_74
; %bb.73:
	v_add_co_u32_e32 v16, vcc, 0x1000, v12
	s_waitcnt lgkmcnt(2)
	v_ashrrev_i32_e32 v15, 31, v5
	v_mov_b32_e32 v14, v5
	v_addc_co_u32_e32 v17, vcc, 0, v13, vcc
	global_store_dwordx2 v[16:17], v[14:15], off offset:1024
.LBB3_74:
	s_or_b64 exec, exec, s[0:1]
	v_or_b32_e32 v14, 0x300, v0
	v_cmp_gt_u32_e32 vcc, s24, v14
	s_and_saveexec_b64 s[0:1], vcc
	s_cbranch_execz .LBB3_76
; %bb.75:
	v_add_co_u32_e32 v16, vcc, 0x1000, v12
	s_waitcnt lgkmcnt(1)
	v_ashrrev_i32_e32 v15, 31, v8
	v_mov_b32_e32 v14, v8
	v_addc_co_u32_e32 v17, vcc, 0, v13, vcc
	global_store_dwordx2 v[16:17], v[14:15], off offset:2048
.LBB3_76:
	;; [unrolled: 13-line block ×3, first 2 shown]
	s_or_b64 exec, exec, s[0:1]
	v_or_b32_e32 v14, 0x400, v0
	v_cmp_gt_u32_e32 vcc, s24, v14
	s_and_saveexec_b64 s[0:1], vcc
	s_cbranch_execz .LBB3_80
; %bb.79:
	v_add_co_u32_e32 v16, vcc, 0x2000, v12
	s_waitcnt lgkmcnt(0)
	v_ashrrev_i32_e32 v15, 31, v10
	v_mov_b32_e32 v14, v10
	v_addc_co_u32_e32 v17, vcc, 0, v13, vcc
	global_store_dwordx2 v[16:17], v[14:15], off
.LBB3_80:
	s_or_b64 exec, exec, s[0:1]
	v_or_b32_e32 v14, 0x480, v0
	v_cmp_gt_u32_e32 vcc, s24, v14
	s_and_saveexec_b64 s[0:1], vcc
	s_cbranch_execz .LBB3_82
; %bb.81:
	v_add_co_u32_e32 v12, vcc, 0x2000, v12
	s_waitcnt lgkmcnt(0)
	v_ashrrev_i32_e32 v15, 31, v11
	v_mov_b32_e32 v14, v11
	v_addc_co_u32_e32 v13, vcc, 0, v13, vcc
	global_store_dwordx2 v[12:13], v[14:15], off offset:1024
.LBB3_82:
	s_or_b64 exec, exec, s[0:1]
	s_load_dword s0, s[4:5], 0x48
	s_waitcnt lgkmcnt(0)
	s_bfe_u32 s0, s0, 0x10008
	s_cmp_eq_u32 s0, 0
	s_cbranch_scc1 .LBB3_117
; %bb.83:
	s_add_u32 s0, s24, -1
	s_addc_u32 s1, s25, -1
	s_add_u32 s2, 0, 0x99986000
	s_addc_u32 s3, 0, 0x59
	s_add_i32 s3, s3, 0x19999940
	s_mul_hi_u32 s7, s2, -10
	s_sub_i32 s7, s7, s2
	s_mul_i32 s8, s3, -10
	s_mul_i32 s4, s2, -10
	s_add_i32 s7, s7, s8
	s_mul_hi_u32 s5, s3, s4
	s_mul_i32 s6, s3, s4
	s_mul_i32 s9, s2, s7
	s_mul_hi_u32 s4, s2, s4
	s_mul_hi_u32 s8, s2, s7
	s_add_u32 s4, s4, s9
	s_addc_u32 s8, 0, s8
	s_add_u32 s4, s4, s6
	s_mul_hi_u32 s9, s3, s7
	s_addc_u32 s4, s8, s5
	s_addc_u32 s5, s9, 0
	s_mul_i32 s6, s3, s7
	s_add_u32 s4, s4, s6
	v_mov_b32_e32 v12, s4
	s_addc_u32 s5, 0, s5
	v_add_co_u32_e32 v12, vcc, s2, v12
	s_cmp_lg_u64 vcc, 0
	s_addc_u32 s2, s3, s5
	v_readfirstlane_b32 s5, v12
	s_mul_i32 s4, s0, s2
	s_mul_hi_u32 s6, s0, s5
	s_mul_hi_u32 s3, s0, s2
	s_add_u32 s4, s6, s4
	s_addc_u32 s3, 0, s3
	s_mul_hi_u32 s7, s1, s5
	s_mul_i32 s5, s1, s5
	s_add_u32 s4, s4, s5
	s_mul_hi_u32 s6, s1, s2
	s_addc_u32 s3, s3, s7
	s_addc_u32 s4, s6, 0
	s_mul_i32 s2, s1, s2
	s_add_u32 s2, s3, s2
	s_addc_u32 s3, 0, s4
	s_add_u32 s4, s2, 1
	s_addc_u32 s5, s3, 0
	s_add_u32 s6, s2, 2
	s_mul_i32 s8, s3, 10
	s_mul_hi_u32 s9, s2, 10
	s_addc_u32 s7, s3, 0
	s_add_i32 s9, s9, s8
	s_mul_i32 s8, s2, 10
	v_mov_b32_e32 v12, s8
	v_sub_co_u32_e32 v12, vcc, s0, v12
	s_cmp_lg_u64 vcc, 0
	s_subb_u32 s8, s1, s9
	v_subrev_co_u32_e32 v13, vcc, 10, v12
	s_cmp_lg_u64 vcc, 0
	s_subb_u32 s9, s8, 0
	v_readfirstlane_b32 s12, v13
	s_cmp_gt_u32 s12, 9
	s_cselect_b32 s12, -1, 0
	s_cmp_eq_u32 s9, 0
	s_cselect_b32 s9, s12, -1
	s_cmp_lg_u32 s9, 0
	s_cselect_b32 s4, s6, s4
	v_readfirstlane_b32 s6, v12
	s_cselect_b32 s5, s7, s5
	s_cmp_gt_u32 s6, 9
	s_cselect_b32 s6, -1, 0
	s_cmp_eq_u32 s8, 0
	s_cselect_b32 s6, s6, -1
	s_cmp_lg_u32 s6, 0
	s_cselect_b32 s3, s5, s3
	s_cselect_b32 s2, s4, s2
	v_cmp_eq_u64_e32 vcc, s[2:3], v[0:1]
	s_and_saveexec_b64 s[2:3], vcc
	s_cbranch_execz .LBB3_117
; %bb.84:
	v_mul_hi_u32_u24_e32 v1, 10, v0
	v_mov_b32_e32 v12, s1
	v_sub_co_u32_e32 v0, vcc, s0, v22
	v_subb_co_u32_e32 v1, vcc, v12, v1, vcc
	v_cmp_lt_i64_e32 vcc, 4, v[0:1]
	s_and_saveexec_b64 s[0:1], vcc
	s_xor_b64 s[0:1], exec, s[0:1]
	s_cbranch_execz .LBB3_102
; %bb.85:
	v_cmp_lt_i64_e32 vcc, 6, v[0:1]
	s_and_saveexec_b64 s[2:3], vcc
	s_xor_b64 s[2:3], exec, s[2:3]
	s_cbranch_execz .LBB3_95
; %bb.86:
	;; [unrolled: 5-line block ×4, first 2 shown]
	v_mov_b32_e32 v0, 0
	global_store_dword v0, v11, s[10:11]
                                        ; implicit-def: $vgpr10_vgpr11
.LBB3_89:
	s_andn2_saveexec_b64 s[6:7], s[6:7]
	s_cbranch_execz .LBB3_91
; %bb.90:
	v_mov_b32_e32 v0, 0
	global_store_dword v0, v10, s[10:11]
.LBB3_91:
	s_or_b64 exec, exec, s[6:7]
                                        ; implicit-def: $vgpr8_vgpr9
.LBB3_92:
	s_andn2_saveexec_b64 s[4:5], s[4:5]
	s_cbranch_execz .LBB3_94
; %bb.93:
	v_mov_b32_e32 v0, 0
	global_store_dword v0, v9, s[10:11]
.LBB3_94:
	s_or_b64 exec, exec, s[4:5]
                                        ; implicit-def: $vgpr4_vgpr5
                                        ; implicit-def: $vgpr0_vgpr1
                                        ; implicit-def: $vgpr8_vgpr9
.LBB3_95:
	s_andn2_saveexec_b64 s[2:3], s[2:3]
	s_cbranch_execz .LBB3_101
; %bb.96:
	v_cmp_lt_i64_e32 vcc, 5, v[0:1]
	s_and_saveexec_b64 s[4:5], vcc
	s_xor_b64 s[4:5], exec, s[4:5]
	s_cbranch_execz .LBB3_98
; %bb.97:
	v_mov_b32_e32 v0, 0
	global_store_dword v0, v8, s[10:11]
                                        ; implicit-def: $vgpr4_vgpr5
.LBB3_98:
	s_andn2_saveexec_b64 s[4:5], s[4:5]
	s_cbranch_execz .LBB3_100
; %bb.99:
	v_mov_b32_e32 v0, 0
	global_store_dword v0, v5, s[10:11]
.LBB3_100:
	s_or_b64 exec, exec, s[4:5]
.LBB3_101:
	s_or_b64 exec, exec, s[2:3]
                                        ; implicit-def: $vgpr0_vgpr1
                                        ; implicit-def: $vgpr6_vgpr7
                                        ; implicit-def: $vgpr2_vgpr3
                                        ; implicit-def: $vgpr4_vgpr5
.LBB3_102:
	s_andn2_saveexec_b64 s[0:1], s[0:1]
	s_cbranch_execz .LBB3_117
; %bb.103:
	v_cmp_lt_i64_e32 vcc, 2, v[0:1]
	s_and_saveexec_b64 s[0:1], vcc
	s_xor_b64 s[0:1], exec, s[0:1]
	s_cbranch_execz .LBB3_109
; %bb.104:
	v_cmp_lt_i64_e32 vcc, 3, v[0:1]
	s_and_saveexec_b64 s[2:3], vcc
	s_xor_b64 s[2:3], exec, s[2:3]
	s_cbranch_execz .LBB3_106
; %bb.105:
	v_mov_b32_e32 v0, 0
	global_store_dword v0, v4, s[10:11]
                                        ; implicit-def: $vgpr6_vgpr7
.LBB3_106:
	s_andn2_saveexec_b64 s[2:3], s[2:3]
	s_cbranch_execz .LBB3_108
; %bb.107:
	v_mov_b32_e32 v0, 0
	global_store_dword v0, v7, s[10:11]
.LBB3_108:
	s_or_b64 exec, exec, s[2:3]
                                        ; implicit-def: $vgpr0_vgpr1
                                        ; implicit-def: $vgpr6_vgpr7
                                        ; implicit-def: $vgpr2_vgpr3
.LBB3_109:
	s_andn2_saveexec_b64 s[0:1], s[0:1]
	s_cbranch_execz .LBB3_117
; %bb.110:
	v_cmp_lt_i64_e32 vcc, 1, v[0:1]
	s_and_saveexec_b64 s[0:1], vcc
	s_xor_b64 s[0:1], exec, s[0:1]
	s_cbranch_execz .LBB3_112
; %bb.111:
	v_mov_b32_e32 v0, 0
	global_store_dword v0, v6, s[10:11]
                                        ; implicit-def: $vgpr2_vgpr3
                                        ; implicit-def: $vgpr0_vgpr1
.LBB3_112:
	s_andn2_saveexec_b64 s[0:1], s[0:1]
	s_cbranch_execz .LBB3_117
; %bb.113:
	v_cmp_ne_u64_e32 vcc, 1, v[0:1]
	s_and_saveexec_b64 s[0:1], vcc
	s_xor_b64 s[0:1], exec, s[0:1]
	s_cbranch_execz .LBB3_115
; %bb.114:
	v_mov_b32_e32 v0, 0
	global_store_dword v0, v2, s[10:11]
                                        ; implicit-def: $vgpr2_vgpr3
.LBB3_115:
	s_andn2_saveexec_b64 s[0:1], s[0:1]
	s_cbranch_execz .LBB3_117
; %bb.116:
	v_mov_b32_e32 v0, 0
	global_store_dword v0, v3, s[10:11]
.LBB3_117:
	s_endpgm
	.section	.rodata,"a",@progbits
	.p2align	6, 0x0
	.amdhsa_kernel _ZN7rocprim6detail20lookback_scan_kernelILNS0_25lookback_scan_determinismE0ELb0ENS0_19wrapped_scan_configINS_14default_configEiEEN6hipcub22TransformInputIteratorIiNS6_6CastOpIiEEPilEEPlNS6_3SumEiiNS0_19lookback_scan_stateIiLb0ELb1EEEEEvT2_T3_mT5_T4_T7_jPT6_SM_bb
		.amdhsa_group_segment_fixed_size 5120
		.amdhsa_private_segment_fixed_size 0
		.amdhsa_kernarg_size 76
		.amdhsa_user_sgpr_count 6
		.amdhsa_user_sgpr_private_segment_buffer 1
		.amdhsa_user_sgpr_dispatch_ptr 0
		.amdhsa_user_sgpr_queue_ptr 0
		.amdhsa_user_sgpr_kernarg_segment_ptr 1
		.amdhsa_user_sgpr_dispatch_id 0
		.amdhsa_user_sgpr_flat_scratch_init 0
		.amdhsa_user_sgpr_kernarg_preload_length 0
		.amdhsa_user_sgpr_kernarg_preload_offset 0
		.amdhsa_user_sgpr_private_segment_size 0
		.amdhsa_uses_dynamic_stack 0
		.amdhsa_system_sgpr_private_segment_wavefront_offset 0
		.amdhsa_system_sgpr_workgroup_id_x 1
		.amdhsa_system_sgpr_workgroup_id_y 0
		.amdhsa_system_sgpr_workgroup_id_z 0
		.amdhsa_system_sgpr_workgroup_info 0
		.amdhsa_system_vgpr_workitem_id 0
		.amdhsa_next_free_vgpr 40
		.amdhsa_next_free_sgpr 26
		.amdhsa_accum_offset 40
		.amdhsa_reserve_vcc 1
		.amdhsa_reserve_flat_scratch 0
		.amdhsa_float_round_mode_32 0
		.amdhsa_float_round_mode_16_64 0
		.amdhsa_float_denorm_mode_32 3
		.amdhsa_float_denorm_mode_16_64 3
		.amdhsa_dx10_clamp 1
		.amdhsa_ieee_mode 1
		.amdhsa_fp16_overflow 0
		.amdhsa_tg_split 0
		.amdhsa_exception_fp_ieee_invalid_op 0
		.amdhsa_exception_fp_denorm_src 0
		.amdhsa_exception_fp_ieee_div_zero 0
		.amdhsa_exception_fp_ieee_overflow 0
		.amdhsa_exception_fp_ieee_underflow 0
		.amdhsa_exception_fp_ieee_inexact 0
		.amdhsa_exception_int_div_zero 0
	.end_amdhsa_kernel
	.section	.text._ZN7rocprim6detail20lookback_scan_kernelILNS0_25lookback_scan_determinismE0ELb0ENS0_19wrapped_scan_configINS_14default_configEiEEN6hipcub22TransformInputIteratorIiNS6_6CastOpIiEEPilEEPlNS6_3SumEiiNS0_19lookback_scan_stateIiLb0ELb1EEEEEvT2_T3_mT5_T4_T7_jPT6_SM_bb,"axG",@progbits,_ZN7rocprim6detail20lookback_scan_kernelILNS0_25lookback_scan_determinismE0ELb0ENS0_19wrapped_scan_configINS_14default_configEiEEN6hipcub22TransformInputIteratorIiNS6_6CastOpIiEEPilEEPlNS6_3SumEiiNS0_19lookback_scan_stateIiLb0ELb1EEEEEvT2_T3_mT5_T4_T7_jPT6_SM_bb,comdat
.Lfunc_end3:
	.size	_ZN7rocprim6detail20lookback_scan_kernelILNS0_25lookback_scan_determinismE0ELb0ENS0_19wrapped_scan_configINS_14default_configEiEEN6hipcub22TransformInputIteratorIiNS6_6CastOpIiEEPilEEPlNS6_3SumEiiNS0_19lookback_scan_stateIiLb0ELb1EEEEEvT2_T3_mT5_T4_T7_jPT6_SM_bb, .Lfunc_end3-_ZN7rocprim6detail20lookback_scan_kernelILNS0_25lookback_scan_determinismE0ELb0ENS0_19wrapped_scan_configINS_14default_configEiEEN6hipcub22TransformInputIteratorIiNS6_6CastOpIiEEPilEEPlNS6_3SumEiiNS0_19lookback_scan_stateIiLb0ELb1EEEEEvT2_T3_mT5_T4_T7_jPT6_SM_bb
                                        ; -- End function
	.section	.AMDGPU.csdata,"",@progbits
; Kernel info:
; codeLenInByte = 4600
; NumSgprs: 30
; NumVgprs: 40
; NumAgprs: 0
; TotalNumVgprs: 40
; ScratchSize: 0
; MemoryBound: 0
; FloatMode: 240
; IeeeMode: 1
; LDSByteSize: 5120 bytes/workgroup (compile time only)
; SGPRBlocks: 3
; VGPRBlocks: 4
; NumSGPRsForWavesPerEU: 30
; NumVGPRsForWavesPerEU: 40
; AccumOffset: 40
; Occupancy: 6
; WaveLimiterHint : 1
; COMPUTE_PGM_RSRC2:SCRATCH_EN: 0
; COMPUTE_PGM_RSRC2:USER_SGPR: 6
; COMPUTE_PGM_RSRC2:TRAP_HANDLER: 0
; COMPUTE_PGM_RSRC2:TGID_X_EN: 1
; COMPUTE_PGM_RSRC2:TGID_Y_EN: 0
; COMPUTE_PGM_RSRC2:TGID_Z_EN: 0
; COMPUTE_PGM_RSRC2:TIDIG_COMP_CNT: 0
; COMPUTE_PGM_RSRC3_GFX90A:ACCUM_OFFSET: 9
; COMPUTE_PGM_RSRC3_GFX90A:TG_SPLIT: 0
	.section	.text._ZN7rocprim6detail16transform_kernelINS0_24wrapped_transform_configINS_14default_configEiEEiPiS5_NS_8identityIiEEEEvT1_mT2_T3_,"axG",@progbits,_ZN7rocprim6detail16transform_kernelINS0_24wrapped_transform_configINS_14default_configEiEEiPiS5_NS_8identityIiEEEEvT1_mT2_T3_,comdat
	.protected	_ZN7rocprim6detail16transform_kernelINS0_24wrapped_transform_configINS_14default_configEiEEiPiS5_NS_8identityIiEEEEvT1_mT2_T3_ ; -- Begin function _ZN7rocprim6detail16transform_kernelINS0_24wrapped_transform_configINS_14default_configEiEEiPiS5_NS_8identityIiEEEEvT1_mT2_T3_
	.globl	_ZN7rocprim6detail16transform_kernelINS0_24wrapped_transform_configINS_14default_configEiEEiPiS5_NS_8identityIiEEEEvT1_mT2_T3_
	.p2align	8
	.type	_ZN7rocprim6detail16transform_kernelINS0_24wrapped_transform_configINS_14default_configEiEEiPiS5_NS_8identityIiEEEEvT1_mT2_T3_,@function
_ZN7rocprim6detail16transform_kernelINS0_24wrapped_transform_configINS_14default_configEiEEiPiS5_NS_8identityIiEEEEvT1_mT2_T3_: ; @_ZN7rocprim6detail16transform_kernelINS0_24wrapped_transform_configINS_14default_configEiEEiPiS5_NS_8identityIiEEEEvT1_mT2_T3_
; %bb.0:
	s_load_dword s7, s[4:5], 0x20
	s_load_dwordx4 s[0:3], s[4:5], 0x0
	s_load_dwordx2 s[8:9], s[4:5], 0x10
	s_lshl_b32 s10, s6, 11
	s_mov_b32 s11, 0
	s_waitcnt lgkmcnt(0)
	s_add_i32 s7, s7, -1
	s_lshl_b64 s[4:5], s[10:11], 2
	s_add_u32 s0, s0, s4
	s_addc_u32 s1, s1, s5
	v_lshlrev_b32_e32 v1, 2, v0
	v_mov_b32_e32 v2, s1
	v_add_co_u32_e32 v4, vcc, s0, v1
	s_cmp_lg_u32 s6, s7
	v_addc_co_u32_e32 v5, vcc, 0, v2, vcc
	s_cbranch_scc0 .LBB4_2
; %bb.1:
	v_add_co_u32_e32 v2, vcc, 0x1000, v4
	global_load_dword v6, v[4:5], off
	v_addc_co_u32_e32 v3, vcc, 0, v5, vcc
	global_load_dword v3, v[2:3], off
	s_add_u32 s0, s8, s4
	s_addc_u32 s1, s9, s5
	s_mov_b64 s[6:7], -1
	s_waitcnt vmcnt(1)
	global_store_dword v1, v6, s[0:1]
	s_cbranch_execz .LBB4_3
	s_branch .LBB4_10
.LBB4_2:
	s_mov_b64 s[6:7], 0
                                        ; implicit-def: $vgpr3
.LBB4_3:
	s_sub_i32 s10, s2, s10
	v_cmp_gt_u32_e64 s[0:1], s10, v0
                                        ; implicit-def: $vgpr2_vgpr3
	s_and_saveexec_b64 s[2:3], s[0:1]
	s_cbranch_execz .LBB4_5
; %bb.4:
	global_load_dword v2, v[4:5], off
.LBB4_5:
	s_or_b64 exec, exec, s[2:3]
	v_or_b32_e32 v0, 0x400, v0
	v_cmp_gt_u32_e64 s[2:3], s10, v0
	s_and_saveexec_b64 s[10:11], s[2:3]
	s_cbranch_execnz .LBB4_13
; %bb.6:
	s_or_b64 exec, exec, s[10:11]
	s_and_saveexec_b64 s[10:11], s[0:1]
	s_cbranch_execnz .LBB4_14
.LBB4_7:
	s_or_b64 exec, exec, s[10:11]
	s_and_saveexec_b64 s[0:1], s[2:3]
.LBB4_8:
	s_or_b64 s[6:7], s[6:7], exec
.LBB4_9:
	s_or_b64 exec, exec, s[0:1]
.LBB4_10:
	s_and_saveexec_b64 s[0:1], s[6:7]
	s_cbranch_execnz .LBB4_12
; %bb.11:
	s_endpgm
.LBB4_12:
	s_add_u32 s0, s8, s4
	s_addc_u32 s1, s9, s5
	v_mov_b32_e32 v0, s1
	v_add_co_u32_e32 v1, vcc, s0, v1
	s_waitcnt vmcnt(0)
	v_addc_co_u32_e32 v2, vcc, 0, v0, vcc
	v_add_co_u32_e32 v0, vcc, 0x1000, v1
	v_addc_co_u32_e32 v1, vcc, 0, v2, vcc
	global_store_dword v[0:1], v3, off
	s_endpgm
.LBB4_13:
	v_add_co_u32_e32 v4, vcc, 0x1000, v4
	v_addc_co_u32_e32 v5, vcc, 0, v5, vcc
	global_load_dword v3, v[4:5], off
	s_or_b64 exec, exec, s[10:11]
	s_and_saveexec_b64 s[10:11], s[0:1]
	s_cbranch_execz .LBB4_7
.LBB4_14:
	s_add_u32 s0, s8, s4
	s_addc_u32 s1, s9, s5
	s_waitcnt vmcnt(0)
	global_store_dword v1, v2, s[0:1]
	s_or_b64 exec, exec, s[10:11]
	s_and_saveexec_b64 s[0:1], s[2:3]
	s_cbranch_execnz .LBB4_8
	s_branch .LBB4_9
	.section	.rodata,"a",@progbits
	.p2align	6, 0x0
	.amdhsa_kernel _ZN7rocprim6detail16transform_kernelINS0_24wrapped_transform_configINS_14default_configEiEEiPiS5_NS_8identityIiEEEEvT1_mT2_T3_
		.amdhsa_group_segment_fixed_size 0
		.amdhsa_private_segment_fixed_size 0
		.amdhsa_kernarg_size 288
		.amdhsa_user_sgpr_count 6
		.amdhsa_user_sgpr_private_segment_buffer 1
		.amdhsa_user_sgpr_dispatch_ptr 0
		.amdhsa_user_sgpr_queue_ptr 0
		.amdhsa_user_sgpr_kernarg_segment_ptr 1
		.amdhsa_user_sgpr_dispatch_id 0
		.amdhsa_user_sgpr_flat_scratch_init 0
		.amdhsa_user_sgpr_kernarg_preload_length 0
		.amdhsa_user_sgpr_kernarg_preload_offset 0
		.amdhsa_user_sgpr_private_segment_size 0
		.amdhsa_uses_dynamic_stack 0
		.amdhsa_system_sgpr_private_segment_wavefront_offset 0
		.amdhsa_system_sgpr_workgroup_id_x 1
		.amdhsa_system_sgpr_workgroup_id_y 0
		.amdhsa_system_sgpr_workgroup_id_z 0
		.amdhsa_system_sgpr_workgroup_info 0
		.amdhsa_system_vgpr_workitem_id 0
		.amdhsa_next_free_vgpr 7
		.amdhsa_next_free_sgpr 12
		.amdhsa_accum_offset 8
		.amdhsa_reserve_vcc 1
		.amdhsa_reserve_flat_scratch 0
		.amdhsa_float_round_mode_32 0
		.amdhsa_float_round_mode_16_64 0
		.amdhsa_float_denorm_mode_32 3
		.amdhsa_float_denorm_mode_16_64 3
		.amdhsa_dx10_clamp 1
		.amdhsa_ieee_mode 1
		.amdhsa_fp16_overflow 0
		.amdhsa_tg_split 0
		.amdhsa_exception_fp_ieee_invalid_op 0
		.amdhsa_exception_fp_denorm_src 0
		.amdhsa_exception_fp_ieee_div_zero 0
		.amdhsa_exception_fp_ieee_overflow 0
		.amdhsa_exception_fp_ieee_underflow 0
		.amdhsa_exception_fp_ieee_inexact 0
		.amdhsa_exception_int_div_zero 0
	.end_amdhsa_kernel
	.section	.text._ZN7rocprim6detail16transform_kernelINS0_24wrapped_transform_configINS_14default_configEiEEiPiS5_NS_8identityIiEEEEvT1_mT2_T3_,"axG",@progbits,_ZN7rocprim6detail16transform_kernelINS0_24wrapped_transform_configINS_14default_configEiEEiPiS5_NS_8identityIiEEEEvT1_mT2_T3_,comdat
.Lfunc_end4:
	.size	_ZN7rocprim6detail16transform_kernelINS0_24wrapped_transform_configINS_14default_configEiEEiPiS5_NS_8identityIiEEEEvT1_mT2_T3_, .Lfunc_end4-_ZN7rocprim6detail16transform_kernelINS0_24wrapped_transform_configINS_14default_configEiEEiPiS5_NS_8identityIiEEEEvT1_mT2_T3_
                                        ; -- End function
	.section	.AMDGPU.csdata,"",@progbits
; Kernel info:
; codeLenInByte = 352
; NumSgprs: 16
; NumVgprs: 7
; NumAgprs: 0
; TotalNumVgprs: 7
; ScratchSize: 0
; MemoryBound: 0
; FloatMode: 240
; IeeeMode: 1
; LDSByteSize: 0 bytes/workgroup (compile time only)
; SGPRBlocks: 1
; VGPRBlocks: 0
; NumSGPRsForWavesPerEU: 16
; NumVGPRsForWavesPerEU: 7
; AccumOffset: 8
; Occupancy: 8
; WaveLimiterHint : 1
; COMPUTE_PGM_RSRC2:SCRATCH_EN: 0
; COMPUTE_PGM_RSRC2:USER_SGPR: 6
; COMPUTE_PGM_RSRC2:TRAP_HANDLER: 0
; COMPUTE_PGM_RSRC2:TGID_X_EN: 1
; COMPUTE_PGM_RSRC2:TGID_Y_EN: 0
; COMPUTE_PGM_RSRC2:TGID_Z_EN: 0
; COMPUTE_PGM_RSRC2:TIDIG_COMP_CNT: 0
; COMPUTE_PGM_RSRC3_GFX90A:ACCUM_OFFSET: 1
; COMPUTE_PGM_RSRC3_GFX90A:TG_SPLIT: 0
	.section	.text._ZN7rocprim6detail18single_scan_kernelILb0ENS0_19wrapped_scan_configINS_14default_configEiEEN6hipcub22TransformInputIteratorIiNS5_6CastOpIiEEPilEEPlNS5_3SumEiiEEvT1_mT4_T2_T3_,"axG",@progbits,_ZN7rocprim6detail18single_scan_kernelILb0ENS0_19wrapped_scan_configINS_14default_configEiEEN6hipcub22TransformInputIteratorIiNS5_6CastOpIiEEPilEEPlNS5_3SumEiiEEvT1_mT4_T2_T3_,comdat
	.protected	_ZN7rocprim6detail18single_scan_kernelILb0ENS0_19wrapped_scan_configINS_14default_configEiEEN6hipcub22TransformInputIteratorIiNS5_6CastOpIiEEPilEEPlNS5_3SumEiiEEvT1_mT4_T2_T3_ ; -- Begin function _ZN7rocprim6detail18single_scan_kernelILb0ENS0_19wrapped_scan_configINS_14default_configEiEEN6hipcub22TransformInputIteratorIiNS5_6CastOpIiEEPilEEPlNS5_3SumEiiEEvT1_mT4_T2_T3_
	.globl	_ZN7rocprim6detail18single_scan_kernelILb0ENS0_19wrapped_scan_configINS_14default_configEiEEN6hipcub22TransformInputIteratorIiNS5_6CastOpIiEEPilEEPlNS5_3SumEiiEEvT1_mT4_T2_T3_
	.p2align	8
	.type	_ZN7rocprim6detail18single_scan_kernelILb0ENS0_19wrapped_scan_configINS_14default_configEiEEN6hipcub22TransformInputIteratorIiNS5_6CastOpIiEEPilEEPlNS5_3SumEiiEEvT1_mT4_T2_T3_,@function
_ZN7rocprim6detail18single_scan_kernelILb0ENS0_19wrapped_scan_configINS_14default_configEiEEN6hipcub22TransformInputIteratorIiNS5_6CastOpIiEEPilEEPlNS5_3SumEiiEEvT1_mT4_T2_T3_: ; @_ZN7rocprim6detail18single_scan_kernelILb0ENS0_19wrapped_scan_configINS_14default_configEiEEN6hipcub22TransformInputIteratorIiNS5_6CastOpIiEEPilEEPlNS5_3SumEiiEEvT1_mT4_T2_T3_
; %bb.0:
	s_load_dwordx2 s[0:1], s[4:5], 0x0
	s_load_dword s22, s[4:5], 0x10
	v_lshlrev_b32_e32 v14, 2, v0
	s_waitcnt lgkmcnt(0)
	s_load_dword s8, s[0:1], 0x0
	v_mov_b32_e32 v1, s1
	v_add_co_u32_e32 v12, vcc, s0, v14
	v_addc_co_u32_e32 v13, vcc, 0, v1, vcc
	s_waitcnt lgkmcnt(0)
	s_mov_b32 s9, s8
	s_mov_b32 s10, s8
	;; [unrolled: 1-line block ×9, first 2 shown]
	v_pk_mov_b32 v[2:3], s[8:9], s[8:9] op_sel:[0,1]
	v_cmp_gt_u32_e64 s[0:1], s22, v0
	v_pk_mov_b32 v[4:5], s[10:11], s[10:11] op_sel:[0,1]
	v_pk_mov_b32 v[6:7], s[12:13], s[12:13] op_sel:[0,1]
	;; [unrolled: 1-line block ×4, first 2 shown]
	v_mov_b32_e32 v1, s8
	s_and_saveexec_b64 s[2:3], s[0:1]
	s_cbranch_execz .LBB5_2
; %bb.1:
	global_load_dword v1, v[12:13], off
	v_pk_mov_b32 v[2:3], s[8:9], s[8:9] op_sel:[0,1]
	v_pk_mov_b32 v[4:5], s[10:11], s[10:11] op_sel:[0,1]
	;; [unrolled: 1-line block ×5, first 2 shown]
                                        ; kill: def $vgpr2 killed $vgpr1 killed $exec
.LBB5_2:
	s_or_b64 exec, exec, s[2:3]
	v_or_b32_e32 v2, 0x80, v0
	v_cmp_gt_u32_e64 s[2:3], s22, v2
	s_and_saveexec_b64 s[6:7], s[2:3]
	s_cbranch_execz .LBB5_4
; %bb.3:
	global_load_dword v3, v[12:13], off offset:512
.LBB5_4:
	s_or_b64 exec, exec, s[6:7]
	v_or_b32_e32 v2, 0x100, v0
	v_cmp_gt_u32_e64 s[20:21], s22, v2
	s_and_saveexec_b64 s[6:7], s[20:21]
	s_cbranch_execz .LBB5_6
; %bb.5:
	global_load_dword v4, v[12:13], off offset:1024
.LBB5_6:
	s_or_b64 exec, exec, s[6:7]
	v_or_b32_e32 v2, 0x180, v0
	v_cmp_gt_u32_e64 s[10:11], s22, v2
	s_and_saveexec_b64 s[6:7], s[10:11]
	s_cbranch_execz .LBB5_8
; %bb.7:
	global_load_dword v5, v[12:13], off offset:1536
.LBB5_8:
	s_or_b64 exec, exec, s[6:7]
	v_or_b32_e32 v2, 0x200, v0
	v_cmp_gt_u32_e64 s[18:19], s22, v2
	s_and_saveexec_b64 s[6:7], s[18:19]
	s_cbranch_execz .LBB5_10
; %bb.9:
	global_load_dword v6, v[12:13], off offset:2048
.LBB5_10:
	s_or_b64 exec, exec, s[6:7]
	v_or_b32_e32 v2, 0x280, v0
	v_cmp_gt_u32_e64 s[16:17], s22, v2
	s_and_saveexec_b64 s[6:7], s[16:17]
	s_cbranch_execz .LBB5_12
; %bb.11:
	global_load_dword v7, v[12:13], off offset:2560
.LBB5_12:
	s_or_b64 exec, exec, s[6:7]
	v_or_b32_e32 v2, 0x300, v0
	v_cmp_gt_u32_e64 s[12:13], s22, v2
	s_and_saveexec_b64 s[6:7], s[12:13]
	s_cbranch_execz .LBB5_14
; %bb.13:
	global_load_dword v8, v[12:13], off offset:3072
.LBB5_14:
	s_or_b64 exec, exec, s[6:7]
	v_or_b32_e32 v2, 0x380, v0
	v_cmp_gt_u32_e64 s[8:9], s22, v2
	s_and_saveexec_b64 s[6:7], s[8:9]
	s_cbranch_execz .LBB5_16
; %bb.15:
	global_load_dword v9, v[12:13], off offset:3584
.LBB5_16:
	s_or_b64 exec, exec, s[6:7]
	v_or_b32_e32 v2, 0x400, v0
	v_cmp_gt_u32_e64 s[6:7], s22, v2
	s_and_saveexec_b64 s[14:15], s[6:7]
	s_cbranch_execz .LBB5_18
; %bb.17:
	v_add_co_u32_e32 v16, vcc, 0x1000, v12
	v_addc_co_u32_e32 v17, vcc, 0, v13, vcc
	global_load_dword v10, v[16:17], off
.LBB5_18:
	s_or_b64 exec, exec, s[14:15]
	v_or_b32_e32 v2, 0x480, v0
	v_cmp_gt_u32_e64 s[14:15], s22, v2
	s_and_saveexec_b64 s[22:23], s[14:15]
	s_cbranch_execz .LBB5_20
; %bb.19:
	v_add_co_u32_e32 v12, vcc, 0x1000, v12
	v_addc_co_u32_e32 v13, vcc, 0, v13, vcc
	global_load_dword v11, v[12:13], off offset:512
.LBB5_20:
	s_or_b64 exec, exec, s[22:23]
	s_waitcnt vmcnt(0)
	ds_write2st64_b32 v14, v1, v3 offset1:2
	ds_write2st64_b32 v14, v4, v5 offset0:4 offset1:6
	ds_write2st64_b32 v14, v6, v7 offset0:8 offset1:10
	;; [unrolled: 1-line block ×4, first 2 shown]
	v_mad_u32_u24 v1, v0, 36, v14
	s_waitcnt lgkmcnt(0)
	s_barrier
	ds_read2_b64 v[6:9], v1 offset1:1
	ds_read2_b64 v[2:5], v1 offset0:2 offset1:3
	ds_read_b64 v[10:11], v1 offset:32
	v_lshrrev_b32_e32 v12, 3, v0
	v_and_b32_e32 v12, 12, v12
	s_waitcnt lgkmcnt(2)
	v_add_u32_e32 v1, v7, v6
	v_add3_u32 v1, v1, v8, v9
	s_waitcnt lgkmcnt(1)
	v_add3_u32 v1, v1, v2, v3
	v_add3_u32 v1, v1, v4, v5
	s_waitcnt lgkmcnt(0)
	v_add3_u32 v1, v1, v10, v11
	v_add_u32_e32 v12, v14, v12
	v_cmp_gt_u32_e32 vcc, 64, v0
	s_barrier
	ds_write_b32 v12, v1
	s_waitcnt lgkmcnt(0)
	s_barrier
	s_and_saveexec_b64 s[22:23], vcc
	s_cbranch_execz .LBB5_22
; %bb.21:
	v_lshlrev_b32_e32 v12, 1, v0
	v_lshrrev_b32_e32 v13, 4, v0
	v_add_lshl_u32 v15, v13, v12, 2
	ds_read2_b32 v[12:13], v15 offset1:1
	v_mbcnt_lo_u32_b32 v16, -1, 0
	v_mbcnt_hi_u32_b32 v16, -1, v16
	v_and_b32_e32 v17, 15, v16
	v_cmp_ne_u32_e32 vcc, 0, v17
	s_waitcnt lgkmcnt(0)
	v_add_u32_e32 v18, v13, v12
	s_nop 1
	v_mov_b32_dpp v19, v18 row_shr:1 row_mask:0xf bank_mask:0xf
	v_cndmask_b32_e32 v19, 0, v19, vcc
	v_add_u32_e32 v18, v19, v18
	v_cmp_lt_u32_e32 vcc, 1, v17
	s_nop 0
	v_mov_b32_dpp v19, v18 row_shr:2 row_mask:0xf bank_mask:0xf
	v_cndmask_b32_e32 v19, 0, v19, vcc
	v_add_u32_e32 v18, v18, v19
	v_cmp_lt_u32_e32 vcc, 3, v17
	;; [unrolled: 5-line block ×3, first 2 shown]
	s_nop 0
	v_mov_b32_dpp v19, v18 row_shr:8 row_mask:0xf bank_mask:0xf
	v_cndmask_b32_e32 v17, 0, v19, vcc
	v_add_u32_e32 v17, v18, v17
	v_bfe_i32 v19, v16, 4, 1
	v_cmp_lt_u32_e32 vcc, 31, v16
	v_mov_b32_dpp v18, v17 row_bcast:15 row_mask:0xf bank_mask:0xf
	v_and_b32_e32 v18, v19, v18
	v_add_u32_e32 v17, v17, v18
	v_and_b32_e32 v19, 64, v16
	s_nop 0
	v_mov_b32_dpp v18, v17 row_bcast:31 row_mask:0xf bank_mask:0xf
	v_cndmask_b32_e32 v18, 0, v18, vcc
	v_add_u32_e32 v17, v17, v18
	v_add_u32_e32 v18, -1, v16
	v_cmp_lt_i32_e32 vcc, v18, v19
	v_cndmask_b32_e32 v16, v18, v16, vcc
	v_lshlrev_b32_e32 v16, 2, v16
	ds_bpermute_b32 v16, v16, v17
	v_cmp_eq_u32_e32 vcc, 0, v0
	s_waitcnt lgkmcnt(0)
	v_add_u32_e32 v12, v16, v12
	v_cndmask_b32_e32 v1, v12, v1, vcc
	v_add_u32_e32 v12, v1, v13
	ds_write2_b32 v15, v1, v12 offset1:1
.LBB5_22:
	s_or_b64 exec, exec, s[22:23]
	v_mul_u32_u24_e32 v1, 36, v0
	v_cmp_ne_u32_e32 vcc, 0, v0
	v_mov_b32_e32 v12, 0
	s_waitcnt lgkmcnt(0)
	s_barrier
	s_and_saveexec_b64 s[22:23], vcc
	s_cbranch_execz .LBB5_24
; %bb.23:
	v_add_u32_e32 v12, -1, v0
	v_lshrrev_b32_e32 v13, 5, v12
	v_add_lshl_u32 v12, v13, v12, 2
	ds_read_b32 v12, v12
.LBB5_24:
	s_or_b64 exec, exec, s[22:23]
	s_waitcnt lgkmcnt(0)
	v_add_u32_e32 v6, v12, v6
	v_add_u32_e32 v7, v6, v7
	;; [unrolled: 1-line block ×11, first 2 shown]
	s_barrier
	ds_write2_b64 v1, v[6:7], v[8:9] offset1:1
	ds_write2_b64 v1, v[2:3], v[4:5] offset0:2 offset1:3
	ds_write_b64 v1, v[10:11] offset:32
	s_waitcnt lgkmcnt(0)
	s_barrier
	ds_read2st64_b32 v[10:11], v14 offset0:2 offset1:4
	ds_read2st64_b32 v[8:9], v14 offset0:6 offset1:8
	;; [unrolled: 1-line block ×4, first 2 shown]
	ds_read_b32 v2, v14 offset:4608
	s_load_dwordx2 s[4:5], s[4:5], 0x20
	v_lshlrev_b32_e32 v0, 3, v0
	s_waitcnt lgkmcnt(0)
	v_mov_b32_e32 v1, s5
	v_add_co_u32_e32 v0, vcc, s4, v0
	v_addc_co_u32_e32 v1, vcc, 0, v1, vcc
	s_and_saveexec_b64 s[4:5], s[0:1]
	s_cbranch_execnz .LBB5_35
; %bb.25:
	s_or_b64 exec, exec, s[4:5]
	s_and_saveexec_b64 s[0:1], s[2:3]
	s_cbranch_execnz .LBB5_36
.LBB5_26:
	s_or_b64 exec, exec, s[0:1]
	s_and_saveexec_b64 s[0:1], s[20:21]
	s_cbranch_execnz .LBB5_37
.LBB5_27:
	s_or_b64 exec, exec, s[0:1]
	s_and_saveexec_b64 s[0:1], s[10:11]
	s_cbranch_execnz .LBB5_38
.LBB5_28:
	s_or_b64 exec, exec, s[0:1]
	s_and_saveexec_b64 s[0:1], s[18:19]
	s_cbranch_execnz .LBB5_39
.LBB5_29:
	s_or_b64 exec, exec, s[0:1]
	s_and_saveexec_b64 s[0:1], s[16:17]
	s_cbranch_execnz .LBB5_40
.LBB5_30:
	s_or_b64 exec, exec, s[0:1]
	s_and_saveexec_b64 s[0:1], s[12:13]
	s_cbranch_execnz .LBB5_41
.LBB5_31:
	s_or_b64 exec, exec, s[0:1]
	s_and_saveexec_b64 s[0:1], s[8:9]
	s_cbranch_execnz .LBB5_42
.LBB5_32:
	s_or_b64 exec, exec, s[0:1]
	s_and_saveexec_b64 s[0:1], s[6:7]
	s_cbranch_execnz .LBB5_43
.LBB5_33:
	s_or_b64 exec, exec, s[0:1]
	s_and_saveexec_b64 s[0:1], s[14:15]
	s_cbranch_execnz .LBB5_44
.LBB5_34:
	s_endpgm
.LBB5_35:
	ds_read_b32 v12, v14
	s_waitcnt lgkmcnt(0)
	v_ashrrev_i32_e32 v13, 31, v12
	global_store_dwordx2 v[0:1], v[12:13], off
	s_or_b64 exec, exec, s[4:5]
	s_and_saveexec_b64 s[0:1], s[2:3]
	s_cbranch_execz .LBB5_26
.LBB5_36:
	v_ashrrev_i32_e32 v13, 31, v10
	v_mov_b32_e32 v12, v10
	global_store_dwordx2 v[0:1], v[12:13], off offset:1024
	s_or_b64 exec, exec, s[0:1]
	s_and_saveexec_b64 s[0:1], s[20:21]
	s_cbranch_execz .LBB5_27
.LBB5_37:
	v_ashrrev_i32_e32 v13, 31, v11
	v_mov_b32_e32 v12, v11
	global_store_dwordx2 v[0:1], v[12:13], off offset:2048
	s_or_b64 exec, exec, s[0:1]
	s_and_saveexec_b64 s[0:1], s[10:11]
	s_cbranch_execz .LBB5_28
.LBB5_38:
	v_ashrrev_i32_e32 v11, 31, v8
	v_mov_b32_e32 v10, v8
	global_store_dwordx2 v[0:1], v[10:11], off offset:3072
	s_or_b64 exec, exec, s[0:1]
	s_and_saveexec_b64 s[0:1], s[18:19]
	s_cbranch_execz .LBB5_29
.LBB5_39:
	v_add_co_u32_e32 v8, vcc, 0x1000, v0
	v_ashrrev_i32_e32 v11, 31, v9
	v_mov_b32_e32 v10, v9
	v_addc_co_u32_e32 v9, vcc, 0, v1, vcc
	global_store_dwordx2 v[8:9], v[10:11], off
	s_or_b64 exec, exec, s[0:1]
	s_and_saveexec_b64 s[0:1], s[16:17]
	s_cbranch_execz .LBB5_30
.LBB5_40:
	v_add_co_u32_e32 v10, vcc, 0x1000, v0
	v_ashrrev_i32_e32 v9, 31, v6
	v_mov_b32_e32 v8, v6
	v_addc_co_u32_e32 v11, vcc, 0, v1, vcc
	global_store_dwordx2 v[10:11], v[8:9], off offset:1024
	s_or_b64 exec, exec, s[0:1]
	s_and_saveexec_b64 s[0:1], s[12:13]
	s_cbranch_execz .LBB5_31
.LBB5_41:
	v_add_co_u32_e32 v6, vcc, 0x1000, v0
	v_ashrrev_i32_e32 v9, 31, v7
	v_mov_b32_e32 v8, v7
	v_addc_co_u32_e32 v7, vcc, 0, v1, vcc
	global_store_dwordx2 v[6:7], v[8:9], off offset:2048
	s_or_b64 exec, exec, s[0:1]
	s_and_saveexec_b64 s[0:1], s[8:9]
	s_cbranch_execz .LBB5_32
.LBB5_42:
	v_add_co_u32_e32 v8, vcc, 0x1000, v0
	v_ashrrev_i32_e32 v7, 31, v4
	v_mov_b32_e32 v6, v4
	v_addc_co_u32_e32 v9, vcc, 0, v1, vcc
	global_store_dwordx2 v[8:9], v[6:7], off offset:3072
	s_or_b64 exec, exec, s[0:1]
	s_and_saveexec_b64 s[0:1], s[6:7]
	s_cbranch_execz .LBB5_33
.LBB5_43:
	v_add_co_u32_e32 v4, vcc, 0x2000, v0
	v_ashrrev_i32_e32 v7, 31, v5
	v_mov_b32_e32 v6, v5
	v_addc_co_u32_e32 v5, vcc, 0, v1, vcc
	global_store_dwordx2 v[4:5], v[6:7], off
	s_or_b64 exec, exec, s[0:1]
	s_and_saveexec_b64 s[0:1], s[14:15]
	s_cbranch_execz .LBB5_34
.LBB5_44:
	v_add_co_u32_e32 v0, vcc, 0x2000, v0
	v_ashrrev_i32_e32 v3, 31, v2
	v_addc_co_u32_e32 v1, vcc, 0, v1, vcc
	global_store_dwordx2 v[0:1], v[2:3], off offset:1024
	s_endpgm
	.section	.rodata,"a",@progbits
	.p2align	6, 0x0
	.amdhsa_kernel _ZN7rocprim6detail18single_scan_kernelILb0ENS0_19wrapped_scan_configINS_14default_configEiEEN6hipcub22TransformInputIteratorIiNS5_6CastOpIiEEPilEEPlNS5_3SumEiiEEvT1_mT4_T2_T3_
		.amdhsa_group_segment_fixed_size 5120
		.amdhsa_private_segment_fixed_size 0
		.amdhsa_kernarg_size 44
		.amdhsa_user_sgpr_count 6
		.amdhsa_user_sgpr_private_segment_buffer 1
		.amdhsa_user_sgpr_dispatch_ptr 0
		.amdhsa_user_sgpr_queue_ptr 0
		.amdhsa_user_sgpr_kernarg_segment_ptr 1
		.amdhsa_user_sgpr_dispatch_id 0
		.amdhsa_user_sgpr_flat_scratch_init 0
		.amdhsa_user_sgpr_kernarg_preload_length 0
		.amdhsa_user_sgpr_kernarg_preload_offset 0
		.amdhsa_user_sgpr_private_segment_size 0
		.amdhsa_uses_dynamic_stack 0
		.amdhsa_system_sgpr_private_segment_wavefront_offset 0
		.amdhsa_system_sgpr_workgroup_id_x 1
		.amdhsa_system_sgpr_workgroup_id_y 0
		.amdhsa_system_sgpr_workgroup_id_z 0
		.amdhsa_system_sgpr_workgroup_info 0
		.amdhsa_system_vgpr_workitem_id 0
		.amdhsa_next_free_vgpr 20
		.amdhsa_next_free_sgpr 24
		.amdhsa_accum_offset 20
		.amdhsa_reserve_vcc 1
		.amdhsa_reserve_flat_scratch 0
		.amdhsa_float_round_mode_32 0
		.amdhsa_float_round_mode_16_64 0
		.amdhsa_float_denorm_mode_32 3
		.amdhsa_float_denorm_mode_16_64 3
		.amdhsa_dx10_clamp 1
		.amdhsa_ieee_mode 1
		.amdhsa_fp16_overflow 0
		.amdhsa_tg_split 0
		.amdhsa_exception_fp_ieee_invalid_op 0
		.amdhsa_exception_fp_denorm_src 0
		.amdhsa_exception_fp_ieee_div_zero 0
		.amdhsa_exception_fp_ieee_overflow 0
		.amdhsa_exception_fp_ieee_underflow 0
		.amdhsa_exception_fp_ieee_inexact 0
		.amdhsa_exception_int_div_zero 0
	.end_amdhsa_kernel
	.section	.text._ZN7rocprim6detail18single_scan_kernelILb0ENS0_19wrapped_scan_configINS_14default_configEiEEN6hipcub22TransformInputIteratorIiNS5_6CastOpIiEEPilEEPlNS5_3SumEiiEEvT1_mT4_T2_T3_,"axG",@progbits,_ZN7rocprim6detail18single_scan_kernelILb0ENS0_19wrapped_scan_configINS_14default_configEiEEN6hipcub22TransformInputIteratorIiNS5_6CastOpIiEEPilEEPlNS5_3SumEiiEEvT1_mT4_T2_T3_,comdat
.Lfunc_end5:
	.size	_ZN7rocprim6detail18single_scan_kernelILb0ENS0_19wrapped_scan_configINS_14default_configEiEEN6hipcub22TransformInputIteratorIiNS5_6CastOpIiEEPilEEPlNS5_3SumEiiEEvT1_mT4_T2_T3_, .Lfunc_end5-_ZN7rocprim6detail18single_scan_kernelILb0ENS0_19wrapped_scan_configINS_14default_configEiEEN6hipcub22TransformInputIteratorIiNS5_6CastOpIiEEPilEEPlNS5_3SumEiiEEvT1_mT4_T2_T3_
                                        ; -- End function
	.section	.AMDGPU.csdata,"",@progbits
; Kernel info:
; codeLenInByte = 1652
; NumSgprs: 28
; NumVgprs: 20
; NumAgprs: 0
; TotalNumVgprs: 20
; ScratchSize: 0
; MemoryBound: 0
; FloatMode: 240
; IeeeMode: 1
; LDSByteSize: 5120 bytes/workgroup (compile time only)
; SGPRBlocks: 3
; VGPRBlocks: 2
; NumSGPRsForWavesPerEU: 28
; NumVGPRsForWavesPerEU: 20
; AccumOffset: 20
; Occupancy: 6
; WaveLimiterHint : 0
; COMPUTE_PGM_RSRC2:SCRATCH_EN: 0
; COMPUTE_PGM_RSRC2:USER_SGPR: 6
; COMPUTE_PGM_RSRC2:TRAP_HANDLER: 0
; COMPUTE_PGM_RSRC2:TGID_X_EN: 1
; COMPUTE_PGM_RSRC2:TGID_Y_EN: 0
; COMPUTE_PGM_RSRC2:TGID_Z_EN: 0
; COMPUTE_PGM_RSRC2:TIDIG_COMP_CNT: 0
; COMPUTE_PGM_RSRC3_GFX90A:ACCUM_OFFSET: 4
; COMPUTE_PGM_RSRC3_GFX90A:TG_SPLIT: 0
	.section	.text._ZN7rocprim6detail31init_lookback_scan_state_kernelINS0_19lookback_scan_stateI6__halfLb1ELb1EEEEEvT_jjPNS5_10value_typeE,"axG",@progbits,_ZN7rocprim6detail31init_lookback_scan_state_kernelINS0_19lookback_scan_stateI6__halfLb1ELb1EEEEEvT_jjPNS5_10value_typeE,comdat
	.protected	_ZN7rocprim6detail31init_lookback_scan_state_kernelINS0_19lookback_scan_stateI6__halfLb1ELb1EEEEEvT_jjPNS5_10value_typeE ; -- Begin function _ZN7rocprim6detail31init_lookback_scan_state_kernelINS0_19lookback_scan_stateI6__halfLb1ELb1EEEEEvT_jjPNS5_10value_typeE
	.globl	_ZN7rocprim6detail31init_lookback_scan_state_kernelINS0_19lookback_scan_stateI6__halfLb1ELb1EEEEEvT_jjPNS5_10value_typeE
	.p2align	8
	.type	_ZN7rocprim6detail31init_lookback_scan_state_kernelINS0_19lookback_scan_stateI6__halfLb1ELb1EEEEEvT_jjPNS5_10value_typeE,@function
_ZN7rocprim6detail31init_lookback_scan_state_kernelINS0_19lookback_scan_stateI6__halfLb1ELb1EEEEEvT_jjPNS5_10value_typeE: ; @_ZN7rocprim6detail31init_lookback_scan_state_kernelINS0_19lookback_scan_stateI6__halfLb1ELb1EEEEEvT_jjPNS5_10value_typeE
; %bb.0:
	s_load_dword s7, s[4:5], 0x24
	s_load_dwordx2 s[8:9], s[4:5], 0x10
	s_load_dwordx4 s[0:3], s[4:5], 0x0
	s_waitcnt lgkmcnt(0)
	s_and_b32 s4, s7, 0xffff
	s_mul_i32 s6, s6, s4
	s_cmp_eq_u64 s[8:9], 0
	v_add_u32_e32 v0, s6, v0
	s_cbranch_scc1 .LBB6_9
; %bb.1:
	s_cmp_lt_u32 s3, s2
	s_cselect_b32 s4, s3, 0
	s_mov_b32 s7, 0
	v_cmp_eq_u32_e32 vcc, s4, v0
	s_and_saveexec_b64 s[4:5], vcc
	s_cbranch_execz .LBB6_8
; %bb.2:
	s_add_i32 s6, s3, 64
	s_lshl_b64 s[6:7], s[6:7], 2
	s_add_u32 s6, s0, s6
	s_addc_u32 s7, s1, s7
	v_mov_b32_e32 v1, 0
	global_load_dword v2, v1, s[6:7] glc
	s_waitcnt vmcnt(0)
	v_and_b32_e32 v3, 0xff0000, v2
	v_cmp_ne_u32_e32 vcc, 0, v3
	s_cbranch_vccnz .LBB6_7
; %bb.3:
	s_mov_b32 s3, 1
.LBB6_4:                                ; =>This Loop Header: Depth=1
                                        ;     Child Loop BB6_5 Depth 2
	s_max_u32 s10, s3, 1
.LBB6_5:                                ;   Parent Loop BB6_4 Depth=1
                                        ; =>  This Inner Loop Header: Depth=2
	s_add_i32 s10, s10, -1
	s_cmp_eq_u32 s10, 0
	s_sleep 1
	s_cbranch_scc0 .LBB6_5
; %bb.6:                                ;   in Loop: Header=BB6_4 Depth=1
	global_load_dword v2, v1, s[6:7] glc
	s_cmp_lt_u32 s3, 32
	s_cselect_b64 s[10:11], -1, 0
	s_cmp_lg_u64 s[10:11], 0
	s_addc_u32 s3, s3, 0
	s_waitcnt vmcnt(0)
	v_and_b32_e32 v3, 0xff0000, v2
	v_cmp_ne_u32_e32 vcc, 0, v3
	s_cbranch_vccz .LBB6_4
.LBB6_7:
	v_mov_b32_e32 v1, 0
	global_store_short v1, v2, s[8:9]
.LBB6_8:
	s_or_b64 exec, exec, s[4:5]
.LBB6_9:
	v_cmp_gt_u32_e32 vcc, s2, v0
	s_and_saveexec_b64 s[2:3], vcc
	s_cbranch_execnz .LBB6_12
; %bb.10:
	s_or_b64 exec, exec, s[2:3]
	v_cmp_gt_u32_e32 vcc, 64, v0
	s_and_saveexec_b64 s[2:3], vcc
	s_cbranch_execnz .LBB6_13
.LBB6_11:
	s_endpgm
.LBB6_12:
	v_add_u32_e32 v2, 64, v0
	v_mov_b32_e32 v3, 0
	v_lshlrev_b64 v[4:5], 2, v[2:3]
	v_mov_b32_e32 v1, s1
	v_add_co_u32_e32 v4, vcc, s0, v4
	v_addc_co_u32_e32 v5, vcc, v1, v5, vcc
	global_store_dword v[4:5], v3, off
	s_or_b64 exec, exec, s[2:3]
	v_cmp_gt_u32_e32 vcc, 64, v0
	s_and_saveexec_b64 s[2:3], vcc
	s_cbranch_execz .LBB6_11
.LBB6_13:
	v_mov_b32_e32 v1, 0
	v_lshlrev_b64 v[0:1], 2, v[0:1]
	v_mov_b32_e32 v2, s1
	v_add_co_u32_e32 v0, vcc, s0, v0
	v_addc_co_u32_e32 v1, vcc, v2, v1, vcc
	v_mov_b32_e32 v2, 0xff0000
	global_store_dword v[0:1], v2, off
	s_endpgm
	.section	.rodata,"a",@progbits
	.p2align	6, 0x0
	.amdhsa_kernel _ZN7rocprim6detail31init_lookback_scan_state_kernelINS0_19lookback_scan_stateI6__halfLb1ELb1EEEEEvT_jjPNS5_10value_typeE
		.amdhsa_group_segment_fixed_size 0
		.amdhsa_private_segment_fixed_size 0
		.amdhsa_kernarg_size 280
		.amdhsa_user_sgpr_count 6
		.amdhsa_user_sgpr_private_segment_buffer 1
		.amdhsa_user_sgpr_dispatch_ptr 0
		.amdhsa_user_sgpr_queue_ptr 0
		.amdhsa_user_sgpr_kernarg_segment_ptr 1
		.amdhsa_user_sgpr_dispatch_id 0
		.amdhsa_user_sgpr_flat_scratch_init 0
		.amdhsa_user_sgpr_kernarg_preload_length 0
		.amdhsa_user_sgpr_kernarg_preload_offset 0
		.amdhsa_user_sgpr_private_segment_size 0
		.amdhsa_uses_dynamic_stack 0
		.amdhsa_system_sgpr_private_segment_wavefront_offset 0
		.amdhsa_system_sgpr_workgroup_id_x 1
		.amdhsa_system_sgpr_workgroup_id_y 0
		.amdhsa_system_sgpr_workgroup_id_z 0
		.amdhsa_system_sgpr_workgroup_info 0
		.amdhsa_system_vgpr_workitem_id 0
		.amdhsa_next_free_vgpr 6
		.amdhsa_next_free_sgpr 12
		.amdhsa_accum_offset 8
		.amdhsa_reserve_vcc 1
		.amdhsa_reserve_flat_scratch 0
		.amdhsa_float_round_mode_32 0
		.amdhsa_float_round_mode_16_64 0
		.amdhsa_float_denorm_mode_32 3
		.amdhsa_float_denorm_mode_16_64 3
		.amdhsa_dx10_clamp 1
		.amdhsa_ieee_mode 1
		.amdhsa_fp16_overflow 0
		.amdhsa_tg_split 0
		.amdhsa_exception_fp_ieee_invalid_op 0
		.amdhsa_exception_fp_denorm_src 0
		.amdhsa_exception_fp_ieee_div_zero 0
		.amdhsa_exception_fp_ieee_overflow 0
		.amdhsa_exception_fp_ieee_underflow 0
		.amdhsa_exception_fp_ieee_inexact 0
		.amdhsa_exception_int_div_zero 0
	.end_amdhsa_kernel
	.section	.text._ZN7rocprim6detail31init_lookback_scan_state_kernelINS0_19lookback_scan_stateI6__halfLb1ELb1EEEEEvT_jjPNS5_10value_typeE,"axG",@progbits,_ZN7rocprim6detail31init_lookback_scan_state_kernelINS0_19lookback_scan_stateI6__halfLb1ELb1EEEEEvT_jjPNS5_10value_typeE,comdat
.Lfunc_end6:
	.size	_ZN7rocprim6detail31init_lookback_scan_state_kernelINS0_19lookback_scan_stateI6__halfLb1ELb1EEEEEvT_jjPNS5_10value_typeE, .Lfunc_end6-_ZN7rocprim6detail31init_lookback_scan_state_kernelINS0_19lookback_scan_stateI6__halfLb1ELb1EEEEEvT_jjPNS5_10value_typeE
                                        ; -- End function
	.section	.AMDGPU.csdata,"",@progbits
; Kernel info:
; codeLenInByte = 336
; NumSgprs: 16
; NumVgprs: 6
; NumAgprs: 0
; TotalNumVgprs: 6
; ScratchSize: 0
; MemoryBound: 0
; FloatMode: 240
; IeeeMode: 1
; LDSByteSize: 0 bytes/workgroup (compile time only)
; SGPRBlocks: 1
; VGPRBlocks: 0
; NumSGPRsForWavesPerEU: 16
; NumVGPRsForWavesPerEU: 6
; AccumOffset: 8
; Occupancy: 8
; WaveLimiterHint : 0
; COMPUTE_PGM_RSRC2:SCRATCH_EN: 0
; COMPUTE_PGM_RSRC2:USER_SGPR: 6
; COMPUTE_PGM_RSRC2:TRAP_HANDLER: 0
; COMPUTE_PGM_RSRC2:TGID_X_EN: 1
; COMPUTE_PGM_RSRC2:TGID_Y_EN: 0
; COMPUTE_PGM_RSRC2:TGID_Z_EN: 0
; COMPUTE_PGM_RSRC2:TIDIG_COMP_CNT: 0
; COMPUTE_PGM_RSRC3_GFX90A:ACCUM_OFFSET: 1
; COMPUTE_PGM_RSRC3_GFX90A:TG_SPLIT: 0
	.section	.text._ZN7rocprim6detail31init_lookback_scan_state_kernelINS0_19lookback_scan_stateI6__halfLb0ELb1EEEEEvT_jjPNS5_10value_typeE,"axG",@progbits,_ZN7rocprim6detail31init_lookback_scan_state_kernelINS0_19lookback_scan_stateI6__halfLb0ELb1EEEEEvT_jjPNS5_10value_typeE,comdat
	.protected	_ZN7rocprim6detail31init_lookback_scan_state_kernelINS0_19lookback_scan_stateI6__halfLb0ELb1EEEEEvT_jjPNS5_10value_typeE ; -- Begin function _ZN7rocprim6detail31init_lookback_scan_state_kernelINS0_19lookback_scan_stateI6__halfLb0ELb1EEEEEvT_jjPNS5_10value_typeE
	.globl	_ZN7rocprim6detail31init_lookback_scan_state_kernelINS0_19lookback_scan_stateI6__halfLb0ELb1EEEEEvT_jjPNS5_10value_typeE
	.p2align	8
	.type	_ZN7rocprim6detail31init_lookback_scan_state_kernelINS0_19lookback_scan_stateI6__halfLb0ELb1EEEEEvT_jjPNS5_10value_typeE,@function
_ZN7rocprim6detail31init_lookback_scan_state_kernelINS0_19lookback_scan_stateI6__halfLb0ELb1EEEEEvT_jjPNS5_10value_typeE: ; @_ZN7rocprim6detail31init_lookback_scan_state_kernelINS0_19lookback_scan_stateI6__halfLb0ELb1EEEEEvT_jjPNS5_10value_typeE
; %bb.0:
	s_load_dword s7, s[4:5], 0x24
	s_load_dwordx2 s[8:9], s[4:5], 0x10
	s_load_dwordx4 s[0:3], s[4:5], 0x0
	s_waitcnt lgkmcnt(0)
	s_and_b32 s4, s7, 0xffff
	s_mul_i32 s6, s6, s4
	s_cmp_eq_u64 s[8:9], 0
	v_add_u32_e32 v0, s6, v0
	s_cbranch_scc1 .LBB7_6
; %bb.1:
	s_cmp_lt_u32 s3, s2
	s_cselect_b32 s4, s3, 0
	s_mov_b32 s7, 0
	v_cmp_eq_u32_e32 vcc, s4, v0
	s_and_saveexec_b64 s[4:5], vcc
	s_cbranch_execz .LBB7_5
; %bb.2:
	s_add_i32 s6, s3, 64
	s_lshl_b64 s[6:7], s[6:7], 2
	s_add_u32 s6, s0, s6
	s_addc_u32 s7, s1, s7
	v_mov_b32_e32 v2, 0
	global_load_dword v1, v2, s[6:7] glc
	s_waitcnt vmcnt(0)
	v_and_b32_e32 v3, 0xff0000, v1
	v_cmp_ne_u32_e32 vcc, 0, v3
	s_cbranch_vccnz .LBB7_4
.LBB7_3:                                ; =>This Inner Loop Header: Depth=1
	global_load_dword v1, v2, s[6:7] glc
	s_waitcnt vmcnt(0)
	v_and_b32_e32 v3, 0xff0000, v1
	v_cmp_eq_u32_e32 vcc, 0, v3
	s_cbranch_vccnz .LBB7_3
.LBB7_4:
	v_mov_b32_e32 v2, 0
	global_store_short v2, v1, s[8:9]
.LBB7_5:
	s_or_b64 exec, exec, s[4:5]
.LBB7_6:
	v_cmp_gt_u32_e32 vcc, s2, v0
	s_and_saveexec_b64 s[2:3], vcc
	s_cbranch_execnz .LBB7_9
; %bb.7:
	s_or_b64 exec, exec, s[2:3]
	v_cmp_gt_u32_e32 vcc, 64, v0
	s_and_saveexec_b64 s[2:3], vcc
	s_cbranch_execnz .LBB7_10
.LBB7_8:
	s_endpgm
.LBB7_9:
	v_add_u32_e32 v2, 64, v0
	v_mov_b32_e32 v3, 0
	v_lshlrev_b64 v[4:5], 2, v[2:3]
	v_mov_b32_e32 v1, s1
	v_add_co_u32_e32 v4, vcc, s0, v4
	v_addc_co_u32_e32 v5, vcc, v1, v5, vcc
	global_store_dword v[4:5], v3, off
	s_or_b64 exec, exec, s[2:3]
	v_cmp_gt_u32_e32 vcc, 64, v0
	s_and_saveexec_b64 s[2:3], vcc
	s_cbranch_execz .LBB7_8
.LBB7_10:
	v_mov_b32_e32 v1, 0
	v_lshlrev_b64 v[0:1], 2, v[0:1]
	v_mov_b32_e32 v2, s1
	v_add_co_u32_e32 v0, vcc, s0, v0
	v_addc_co_u32_e32 v1, vcc, v2, v1, vcc
	v_mov_b32_e32 v2, 0xff0000
	global_store_dword v[0:1], v2, off
	s_endpgm
	.section	.rodata,"a",@progbits
	.p2align	6, 0x0
	.amdhsa_kernel _ZN7rocprim6detail31init_lookback_scan_state_kernelINS0_19lookback_scan_stateI6__halfLb0ELb1EEEEEvT_jjPNS5_10value_typeE
		.amdhsa_group_segment_fixed_size 0
		.amdhsa_private_segment_fixed_size 0
		.amdhsa_kernarg_size 280
		.amdhsa_user_sgpr_count 6
		.amdhsa_user_sgpr_private_segment_buffer 1
		.amdhsa_user_sgpr_dispatch_ptr 0
		.amdhsa_user_sgpr_queue_ptr 0
		.amdhsa_user_sgpr_kernarg_segment_ptr 1
		.amdhsa_user_sgpr_dispatch_id 0
		.amdhsa_user_sgpr_flat_scratch_init 0
		.amdhsa_user_sgpr_kernarg_preload_length 0
		.amdhsa_user_sgpr_kernarg_preload_offset 0
		.amdhsa_user_sgpr_private_segment_size 0
		.amdhsa_uses_dynamic_stack 0
		.amdhsa_system_sgpr_private_segment_wavefront_offset 0
		.amdhsa_system_sgpr_workgroup_id_x 1
		.amdhsa_system_sgpr_workgroup_id_y 0
		.amdhsa_system_sgpr_workgroup_id_z 0
		.amdhsa_system_sgpr_workgroup_info 0
		.amdhsa_system_vgpr_workitem_id 0
		.amdhsa_next_free_vgpr 6
		.amdhsa_next_free_sgpr 10
		.amdhsa_accum_offset 8
		.amdhsa_reserve_vcc 1
		.amdhsa_reserve_flat_scratch 0
		.amdhsa_float_round_mode_32 0
		.amdhsa_float_round_mode_16_64 0
		.amdhsa_float_denorm_mode_32 3
		.amdhsa_float_denorm_mode_16_64 3
		.amdhsa_dx10_clamp 1
		.amdhsa_ieee_mode 1
		.amdhsa_fp16_overflow 0
		.amdhsa_tg_split 0
		.amdhsa_exception_fp_ieee_invalid_op 0
		.amdhsa_exception_fp_denorm_src 0
		.amdhsa_exception_fp_ieee_div_zero 0
		.amdhsa_exception_fp_ieee_overflow 0
		.amdhsa_exception_fp_ieee_underflow 0
		.amdhsa_exception_fp_ieee_inexact 0
		.amdhsa_exception_int_div_zero 0
	.end_amdhsa_kernel
	.section	.text._ZN7rocprim6detail31init_lookback_scan_state_kernelINS0_19lookback_scan_stateI6__halfLb0ELb1EEEEEvT_jjPNS5_10value_typeE,"axG",@progbits,_ZN7rocprim6detail31init_lookback_scan_state_kernelINS0_19lookback_scan_stateI6__halfLb0ELb1EEEEEvT_jjPNS5_10value_typeE,comdat
.Lfunc_end7:
	.size	_ZN7rocprim6detail31init_lookback_scan_state_kernelINS0_19lookback_scan_stateI6__halfLb0ELb1EEEEEvT_jjPNS5_10value_typeE, .Lfunc_end7-_ZN7rocprim6detail31init_lookback_scan_state_kernelINS0_19lookback_scan_stateI6__halfLb0ELb1EEEEEvT_jjPNS5_10value_typeE
                                        ; -- End function
	.section	.AMDGPU.csdata,"",@progbits
; Kernel info:
; codeLenInByte = 296
; NumSgprs: 14
; NumVgprs: 6
; NumAgprs: 0
; TotalNumVgprs: 6
; ScratchSize: 0
; MemoryBound: 0
; FloatMode: 240
; IeeeMode: 1
; LDSByteSize: 0 bytes/workgroup (compile time only)
; SGPRBlocks: 1
; VGPRBlocks: 0
; NumSGPRsForWavesPerEU: 14
; NumVGPRsForWavesPerEU: 6
; AccumOffset: 8
; Occupancy: 8
; WaveLimiterHint : 0
; COMPUTE_PGM_RSRC2:SCRATCH_EN: 0
; COMPUTE_PGM_RSRC2:USER_SGPR: 6
; COMPUTE_PGM_RSRC2:TRAP_HANDLER: 0
; COMPUTE_PGM_RSRC2:TGID_X_EN: 1
; COMPUTE_PGM_RSRC2:TGID_Y_EN: 0
; COMPUTE_PGM_RSRC2:TGID_Z_EN: 0
; COMPUTE_PGM_RSRC2:TIDIG_COMP_CNT: 0
; COMPUTE_PGM_RSRC3_GFX90A:ACCUM_OFFSET: 1
; COMPUTE_PGM_RSRC3_GFX90A:TG_SPLIT: 0
	.section	.text._ZN7rocprim6detail20lookback_scan_kernelILNS0_25lookback_scan_determinismE0ELb0ENS0_19wrapped_scan_configINS_14default_configE6__halfEEPS5_S7_N6hipcub3MaxES5_S5_NS0_19lookback_scan_stateIS5_Lb1ELb1EEEEEvT2_T3_mT5_T4_T7_jPT6_SI_bb,"axG",@progbits,_ZN7rocprim6detail20lookback_scan_kernelILNS0_25lookback_scan_determinismE0ELb0ENS0_19wrapped_scan_configINS_14default_configE6__halfEEPS5_S7_N6hipcub3MaxES5_S5_NS0_19lookback_scan_stateIS5_Lb1ELb1EEEEEvT2_T3_mT5_T4_T7_jPT6_SI_bb,comdat
	.protected	_ZN7rocprim6detail20lookback_scan_kernelILNS0_25lookback_scan_determinismE0ELb0ENS0_19wrapped_scan_configINS_14default_configE6__halfEEPS5_S7_N6hipcub3MaxES5_S5_NS0_19lookback_scan_stateIS5_Lb1ELb1EEEEEvT2_T3_mT5_T4_T7_jPT6_SI_bb ; -- Begin function _ZN7rocprim6detail20lookback_scan_kernelILNS0_25lookback_scan_determinismE0ELb0ENS0_19wrapped_scan_configINS_14default_configE6__halfEEPS5_S7_N6hipcub3MaxES5_S5_NS0_19lookback_scan_stateIS5_Lb1ELb1EEEEEvT2_T3_mT5_T4_T7_jPT6_SI_bb
	.globl	_ZN7rocprim6detail20lookback_scan_kernelILNS0_25lookback_scan_determinismE0ELb0ENS0_19wrapped_scan_configINS_14default_configE6__halfEEPS5_S7_N6hipcub3MaxES5_S5_NS0_19lookback_scan_stateIS5_Lb1ELb1EEEEEvT2_T3_mT5_T4_T7_jPT6_SI_bb
	.p2align	8
	.type	_ZN7rocprim6detail20lookback_scan_kernelILNS0_25lookback_scan_determinismE0ELb0ENS0_19wrapped_scan_configINS_14default_configE6__halfEEPS5_S7_N6hipcub3MaxES5_S5_NS0_19lookback_scan_stateIS5_Lb1ELb1EEEEEvT2_T3_mT5_T4_T7_jPT6_SI_bb,@function
_ZN7rocprim6detail20lookback_scan_kernelILNS0_25lookback_scan_determinismE0ELb0ENS0_19wrapped_scan_configINS_14default_configE6__halfEEPS5_S7_N6hipcub3MaxES5_S5_NS0_19lookback_scan_stateIS5_Lb1ELb1EEEEEvT2_T3_mT5_T4_T7_jPT6_SI_bb: ; @_ZN7rocprim6detail20lookback_scan_kernelILNS0_25lookback_scan_determinismE0ELb0ENS0_19wrapped_scan_configINS_14default_configE6__halfEEPS5_S7_N6hipcub3MaxES5_S5_NS0_19lookback_scan_stateIS5_Lb1ELb1EEEEEvT2_T3_mT5_T4_T7_jPT6_SI_bb
; %bb.0:
	s_endpgm
	.section	.rodata,"a",@progbits
	.p2align	6, 0x0
	.amdhsa_kernel _ZN7rocprim6detail20lookback_scan_kernelILNS0_25lookback_scan_determinismE0ELb0ENS0_19wrapped_scan_configINS_14default_configE6__halfEEPS5_S7_N6hipcub3MaxES5_S5_NS0_19lookback_scan_stateIS5_Lb1ELb1EEEEEvT2_T3_mT5_T4_T7_jPT6_SI_bb
		.amdhsa_group_segment_fixed_size 0
		.amdhsa_private_segment_fixed_size 0
		.amdhsa_kernarg_size 68
		.amdhsa_user_sgpr_count 6
		.amdhsa_user_sgpr_private_segment_buffer 1
		.amdhsa_user_sgpr_dispatch_ptr 0
		.amdhsa_user_sgpr_queue_ptr 0
		.amdhsa_user_sgpr_kernarg_segment_ptr 1
		.amdhsa_user_sgpr_dispatch_id 0
		.amdhsa_user_sgpr_flat_scratch_init 0
		.amdhsa_user_sgpr_kernarg_preload_length 0
		.amdhsa_user_sgpr_kernarg_preload_offset 0
		.amdhsa_user_sgpr_private_segment_size 0
		.amdhsa_uses_dynamic_stack 0
		.amdhsa_system_sgpr_private_segment_wavefront_offset 0
		.amdhsa_system_sgpr_workgroup_id_x 1
		.amdhsa_system_sgpr_workgroup_id_y 0
		.amdhsa_system_sgpr_workgroup_id_z 0
		.amdhsa_system_sgpr_workgroup_info 0
		.amdhsa_system_vgpr_workitem_id 0
		.amdhsa_next_free_vgpr 1
		.amdhsa_next_free_sgpr 0
		.amdhsa_accum_offset 4
		.amdhsa_reserve_vcc 0
		.amdhsa_reserve_flat_scratch 0
		.amdhsa_float_round_mode_32 0
		.amdhsa_float_round_mode_16_64 0
		.amdhsa_float_denorm_mode_32 3
		.amdhsa_float_denorm_mode_16_64 3
		.amdhsa_dx10_clamp 1
		.amdhsa_ieee_mode 1
		.amdhsa_fp16_overflow 0
		.amdhsa_tg_split 0
		.amdhsa_exception_fp_ieee_invalid_op 0
		.amdhsa_exception_fp_denorm_src 0
		.amdhsa_exception_fp_ieee_div_zero 0
		.amdhsa_exception_fp_ieee_overflow 0
		.amdhsa_exception_fp_ieee_underflow 0
		.amdhsa_exception_fp_ieee_inexact 0
		.amdhsa_exception_int_div_zero 0
	.end_amdhsa_kernel
	.section	.text._ZN7rocprim6detail20lookback_scan_kernelILNS0_25lookback_scan_determinismE0ELb0ENS0_19wrapped_scan_configINS_14default_configE6__halfEEPS5_S7_N6hipcub3MaxES5_S5_NS0_19lookback_scan_stateIS5_Lb1ELb1EEEEEvT2_T3_mT5_T4_T7_jPT6_SI_bb,"axG",@progbits,_ZN7rocprim6detail20lookback_scan_kernelILNS0_25lookback_scan_determinismE0ELb0ENS0_19wrapped_scan_configINS_14default_configE6__halfEEPS5_S7_N6hipcub3MaxES5_S5_NS0_19lookback_scan_stateIS5_Lb1ELb1EEEEEvT2_T3_mT5_T4_T7_jPT6_SI_bb,comdat
.Lfunc_end8:
	.size	_ZN7rocprim6detail20lookback_scan_kernelILNS0_25lookback_scan_determinismE0ELb0ENS0_19wrapped_scan_configINS_14default_configE6__halfEEPS5_S7_N6hipcub3MaxES5_S5_NS0_19lookback_scan_stateIS5_Lb1ELb1EEEEEvT2_T3_mT5_T4_T7_jPT6_SI_bb, .Lfunc_end8-_ZN7rocprim6detail20lookback_scan_kernelILNS0_25lookback_scan_determinismE0ELb0ENS0_19wrapped_scan_configINS_14default_configE6__halfEEPS5_S7_N6hipcub3MaxES5_S5_NS0_19lookback_scan_stateIS5_Lb1ELb1EEEEEvT2_T3_mT5_T4_T7_jPT6_SI_bb
                                        ; -- End function
	.section	.AMDGPU.csdata,"",@progbits
; Kernel info:
; codeLenInByte = 4
; NumSgprs: 4
; NumVgprs: 0
; NumAgprs: 0
; TotalNumVgprs: 0
; ScratchSize: 0
; MemoryBound: 0
; FloatMode: 240
; IeeeMode: 1
; LDSByteSize: 0 bytes/workgroup (compile time only)
; SGPRBlocks: 0
; VGPRBlocks: 0
; NumSGPRsForWavesPerEU: 4
; NumVGPRsForWavesPerEU: 1
; AccumOffset: 4
; Occupancy: 8
; WaveLimiterHint : 0
; COMPUTE_PGM_RSRC2:SCRATCH_EN: 0
; COMPUTE_PGM_RSRC2:USER_SGPR: 6
; COMPUTE_PGM_RSRC2:TRAP_HANDLER: 0
; COMPUTE_PGM_RSRC2:TGID_X_EN: 1
; COMPUTE_PGM_RSRC2:TGID_Y_EN: 0
; COMPUTE_PGM_RSRC2:TGID_Z_EN: 0
; COMPUTE_PGM_RSRC2:TIDIG_COMP_CNT: 0
; COMPUTE_PGM_RSRC3_GFX90A:ACCUM_OFFSET: 0
; COMPUTE_PGM_RSRC3_GFX90A:TG_SPLIT: 0
	.section	.text._ZN7rocprim6detail20lookback_scan_kernelILNS0_25lookback_scan_determinismE0ELb0ENS0_19wrapped_scan_configINS_14default_configE6__halfEEPS5_S7_N6hipcub3MaxES5_S5_NS0_19lookback_scan_stateIS5_Lb0ELb1EEEEEvT2_T3_mT5_T4_T7_jPT6_SI_bb,"axG",@progbits,_ZN7rocprim6detail20lookback_scan_kernelILNS0_25lookback_scan_determinismE0ELb0ENS0_19wrapped_scan_configINS_14default_configE6__halfEEPS5_S7_N6hipcub3MaxES5_S5_NS0_19lookback_scan_stateIS5_Lb0ELb1EEEEEvT2_T3_mT5_T4_T7_jPT6_SI_bb,comdat
	.protected	_ZN7rocprim6detail20lookback_scan_kernelILNS0_25lookback_scan_determinismE0ELb0ENS0_19wrapped_scan_configINS_14default_configE6__halfEEPS5_S7_N6hipcub3MaxES5_S5_NS0_19lookback_scan_stateIS5_Lb0ELb1EEEEEvT2_T3_mT5_T4_T7_jPT6_SI_bb ; -- Begin function _ZN7rocprim6detail20lookback_scan_kernelILNS0_25lookback_scan_determinismE0ELb0ENS0_19wrapped_scan_configINS_14default_configE6__halfEEPS5_S7_N6hipcub3MaxES5_S5_NS0_19lookback_scan_stateIS5_Lb0ELb1EEEEEvT2_T3_mT5_T4_T7_jPT6_SI_bb
	.globl	_ZN7rocprim6detail20lookback_scan_kernelILNS0_25lookback_scan_determinismE0ELb0ENS0_19wrapped_scan_configINS_14default_configE6__halfEEPS5_S7_N6hipcub3MaxES5_S5_NS0_19lookback_scan_stateIS5_Lb0ELb1EEEEEvT2_T3_mT5_T4_T7_jPT6_SI_bb
	.p2align	8
	.type	_ZN7rocprim6detail20lookback_scan_kernelILNS0_25lookback_scan_determinismE0ELb0ENS0_19wrapped_scan_configINS_14default_configE6__halfEEPS5_S7_N6hipcub3MaxES5_S5_NS0_19lookback_scan_stateIS5_Lb0ELb1EEEEEvT2_T3_mT5_T4_T7_jPT6_SI_bb,@function
_ZN7rocprim6detail20lookback_scan_kernelILNS0_25lookback_scan_determinismE0ELb0ENS0_19wrapped_scan_configINS_14default_configE6__halfEEPS5_S7_N6hipcub3MaxES5_S5_NS0_19lookback_scan_stateIS5_Lb0ELb1EEEEEvT2_T3_mT5_T4_T7_jPT6_SI_bb: ; @_ZN7rocprim6detail20lookback_scan_kernelILNS0_25lookback_scan_determinismE0ELb0ENS0_19wrapped_scan_configINS_14default_configE6__halfEEPS5_S7_N6hipcub3MaxES5_S5_NS0_19lookback_scan_stateIS5_Lb0ELb1EEEEEvT2_T3_mT5_T4_T7_jPT6_SI_bb
; %bb.0:
	s_load_dword s3, s[4:5], 0x28
	s_load_dwordx4 s[16:19], s[4:5], 0x0
	s_load_dwordx2 s[0:1], s[4:5], 0x10
	s_mul_i32 s2, s6, 0x600
	v_lshlrev_b32_e32 v20, 1, v0
	s_waitcnt lgkmcnt(0)
	s_add_i32 s8, s3, -1
	s_mul_i32 s7, s8, 0x600
	s_sub_u32 s7, s0, s7
	s_subb_u32 s28, s1, 0
	s_mov_b32 s3, 0
	s_cmp_lg_u32 s6, s8
	s_cselect_b64 s[20:21], -1, 0
	s_lshl_b64 s[22:23], s[2:3], 1
	s_add_u32 s2, s16, s22
	s_addc_u32 s3, s17, s23
	s_mov_b64 s[0:1], -1
	s_and_b64 vcc, exec, s[20:21]
	s_cbranch_vccz .LBB9_2
; %bb.1:
	global_load_ushort v1, v20, s[2:3]
	global_load_ushort v2, v20, s[2:3] offset:128
	global_load_ushort v3, v20, s[2:3] offset:256
	;; [unrolled: 1-line block ×23, first 2 shown]
	s_mov_b64 s[0:1], 0
	s_waitcnt vmcnt(23)
	ds_write_b16 v20, v1
	s_waitcnt vmcnt(22)
	ds_write_b16 v20, v2 offset:128
	s_waitcnt vmcnt(21)
	ds_write_b16 v20, v3 offset:256
	;; [unrolled: 2-line block ×23, first 2 shown]
	s_waitcnt lgkmcnt(0)
	; wave barrier
.LBB9_2:
	s_andn2_b64 vcc, exec, s[0:1]
	v_cmp_gt_u32_e64 s[0:1], s7, v0
	s_cbranch_vccnz .LBB9_52
; %bb.3:
	v_mov_b32_e32 v1, 0
	global_load_ushort v1, v1, s[2:3]
	v_mov_b32_e32 v3, s3
	v_add_co_u32_e32 v2, vcc, s2, v20
	v_addc_co_u32_e32 v3, vcc, 0, v3, vcc
	s_waitcnt vmcnt(0)
	v_mov_b32_e32 v4, v1
	s_and_saveexec_b64 s[2:3], s[0:1]
	s_cbranch_execz .LBB9_5
; %bb.4:
	global_load_ushort v4, v[2:3], off
.LBB9_5:
	s_or_b64 exec, exec, s[2:3]
	v_or_b32_e32 v5, 64, v0
	v_cmp_gt_u32_e32 vcc, s7, v5
	v_mov_b32_e32 v5, v1
	s_and_saveexec_b64 s[0:1], vcc
	s_cbranch_execz .LBB9_7
; %bb.6:
	global_load_ushort v5, v[2:3], off offset:128
.LBB9_7:
	s_or_b64 exec, exec, s[0:1]
	v_or_b32_e32 v6, 0x80, v0
	v_cmp_gt_u32_e32 vcc, s7, v6
	v_mov_b32_e32 v6, v1
	s_and_saveexec_b64 s[0:1], vcc
	s_cbranch_execz .LBB9_9
; %bb.8:
	global_load_ushort v6, v[2:3], off offset:256
.LBB9_9:
	;; [unrolled: 9-line block ×22, first 2 shown]
	s_or_b64 exec, exec, s[0:1]
	v_or_b32_e32 v28, 0x5c0, v0
	v_cmp_gt_u32_e32 vcc, s7, v28
	s_and_saveexec_b64 s[0:1], vcc
	s_cbranch_execz .LBB9_51
; %bb.50:
	global_load_ushort v1, v[2:3], off offset:2944
.LBB9_51:
	s_or_b64 exec, exec, s[0:1]
	s_waitcnt vmcnt(0)
	ds_write_b16 v20, v4
	ds_write_b16 v20, v5 offset:128
	ds_write_b16 v20, v6 offset:256
	;; [unrolled: 1-line block ×23, first 2 shown]
	s_waitcnt lgkmcnt(0)
	; wave barrier
.LBB9_52:
	v_mul_u32_u24_e32 v21, 24, v0
	v_lshlrev_b32_e32 v22, 1, v21
	s_waitcnt lgkmcnt(0)
	ds_read_b128 v[10:13], v22
	ds_read_b128 v[6:9], v22 offset:16
	ds_read_b128 v[2:5], v22 offset:32
	s_load_dwordx2 s[24:25], s[4:5], 0x20
	s_cmp_lg_u32 s6, 0
	v_mbcnt_lo_u32_b32 v34, -1, 0
	s_waitcnt lgkmcnt(0)
	v_lshrrev_b32_e32 v33, 16, v10
	v_lshrrev_b32_e32 v32, 16, v11
	;; [unrolled: 1-line block ×12, first 2 shown]
	v_cmp_eq_u32_e32 vcc, 63, v0
	s_waitcnt lgkmcnt(0)
	; wave barrier
	s_cbranch_scc0 .LBB9_75
; %bb.53:
	v_cmp_lt_f16_e64 s[0:1], v10, v33
	v_cndmask_b32_e64 v14, v10, v33, s[0:1]
	v_cmp_lt_f16_e64 s[0:1], v14, v11
	v_cndmask_b32_e64 v14, v14, v11, s[0:1]
	;; [unrolled: 2-line block ×23, first 2 shown]
	v_mbcnt_hi_u32_b32 v15, -1, v34
	v_and_b32_e32 v17, 0xffff, v14
	v_and_b32_e32 v16, 15, v15
	v_cmp_eq_u32_e64 s[0:1], 0, v16
	v_mov_b32_dpp v17, v17 row_shr:1 row_mask:0xf bank_mask:0xf
	v_cmp_gt_f16_e64 s[2:3], v14, v17
	s_or_b64 s[0:1], s[0:1], s[2:3]
	v_cndmask_b32_e64 v14, v17, v14, s[0:1]
	v_and_b32_e32 v17, 0xffff, v14
	s_nop 1
	v_mov_b32_dpp v17, v17 row_shr:2 row_mask:0xf bank_mask:0xf
	v_cmp_gt_f16_e64 s[0:1], v14, v17
	v_cndmask_b32_e64 v17, v17, v14, s[0:1]
	v_cmp_lt_u32_e64 s[0:1], 1, v16
	v_cndmask_b32_e64 v14, v14, v17, s[0:1]
	v_and_b32_e32 v17, 0xffff, v14
	s_nop 1
	v_mov_b32_dpp v17, v17 row_shr:4 row_mask:0xf bank_mask:0xf
	v_cmp_gt_f16_e64 s[0:1], v14, v17
	v_cndmask_b32_e64 v17, v17, v14, s[0:1]
	v_cmp_lt_u32_e64 s[0:1], 3, v16
	;; [unrolled: 7-line block ×3, first 2 shown]
	v_cndmask_b32_e64 v14, v14, v17, s[0:1]
	v_and_b32_e32 v16, 0xffff, v14
	v_and_b32_e32 v17, 16, v15
	v_cmp_eq_u32_e64 s[0:1], 0, v17
	v_mov_b32_dpp v16, v16 row_bcast:15 row_mask:0xf bank_mask:0xf
	v_cmp_gt_f16_e64 s[2:3], v14, v16
	s_or_b64 s[0:1], s[0:1], s[2:3]
	v_cndmask_b32_e64 v14, v16, v14, s[0:1]
	v_and_b32_e32 v16, 0xffff, v14
	s_nop 1
	v_mov_b32_dpp v16, v16 row_bcast:31 row_mask:0xf bank_mask:0xf
	v_cmp_gt_f16_e64 s[0:1], v14, v16
	v_cndmask_b32_e64 v16, v16, v14, s[0:1]
	v_cmp_lt_u32_e64 s[0:1], 31, v15
	v_cndmask_b32_e64 v14, v14, v16, s[0:1]
	s_and_saveexec_b64 s[0:1], vcc
	s_cbranch_execz .LBB9_55
; %bb.54:
	v_mov_b32_e32 v16, 0
	ds_write_b16 v16, v14
.LBB9_55:
	s_or_b64 exec, exec, s[0:1]
	v_add_u32_e32 v16, -1, v15
	v_and_b32_e32 v17, 64, v15
	v_cmp_lt_i32_e32 vcc, v16, v17
	v_cndmask_b32_e32 v16, v16, v15, vcc
	v_and_b32_e32 v14, 0xffff, v14
	v_lshlrev_b32_e32 v16, 2, v16
	ds_bpermute_b32 v35, v16, v14
	v_cmp_gt_u32_e32 vcc, 64, v0
	s_waitcnt lgkmcnt(0)
	; wave barrier
	s_waitcnt lgkmcnt(0)
	s_and_saveexec_b64 s[26:27], vcc
	s_cbranch_execz .LBB9_74
; %bb.56:
	v_mov_b32_e32 v17, 0
	ds_read_u16 v36, v17
	s_mov_b32 s9, 0
	v_cmp_eq_u32_e64 s[0:1], 0, v15
	s_and_saveexec_b64 s[2:3], s[0:1]
	s_cbranch_execz .LBB9_58
; %bb.57:
	s_add_i32 s8, s6, 64
	s_lshl_b64 s[8:9], s[8:9], 2
	s_add_u32 s8, s24, s8
	s_mov_b32 s10, 0x10000
	s_addc_u32 s9, s25, s9
	s_waitcnt lgkmcnt(0)
	v_or_b32_sdwa v14, v36, s10 dst_sel:DWORD dst_unused:UNUSED_PAD src0_sel:WORD_0 src1_sel:DWORD
	global_store_dword v17, v14, s[8:9]
.LBB9_58:
	s_or_b64 exec, exec, s[2:3]
	v_xad_u32 v14, v15, -1, s6
	v_add_u32_e32 v16, 64, v14
	v_lshlrev_b64 v[18:19], 2, v[16:17]
	v_mov_b32_e32 v16, s25
	v_add_co_u32_e32 v18, vcc, s24, v18
	v_addc_co_u32_e32 v19, vcc, v16, v19, vcc
	global_load_dword v49, v[18:19], off glc
	s_waitcnt vmcnt(0)
	v_lshrrev_b32_e32 v38, 16, v49
	v_cmp_eq_u16_sdwa s[8:9], v38, v17 src0_sel:BYTE_0 src1_sel:DWORD
	s_and_saveexec_b64 s[2:3], s[8:9]
	s_cbranch_execz .LBB9_62
; %bb.59:
	s_mov_b64 s[8:9], 0
	v_mov_b32_e32 v16, 0
.LBB9_60:                               ; =>This Inner Loop Header: Depth=1
	global_load_dword v49, v[18:19], off glc
	s_waitcnt vmcnt(0)
	v_lshrrev_b32_e32 v38, 16, v49
	v_cmp_ne_u16_sdwa s[10:11], v38, v16 src0_sel:BYTE_0 src1_sel:DWORD
	s_or_b64 s[8:9], s[10:11], s[8:9]
	s_andn2_b64 exec, exec, s[8:9]
	s_cbranch_execnz .LBB9_60
; %bb.61:
	s_or_b64 exec, exec, s[8:9]
.LBB9_62:
	s_or_b64 exec, exec, s[2:3]
	v_and_b32_e32 v50, 63, v15
	v_cmp_ne_u32_e32 vcc, 63, v50
	v_addc_co_u32_e32 v39, vcc, 0, v15, vcc
	v_and_b32_e32 v41, 0xffff, v49
	v_lshlrev_b32_e32 v39, 2, v39
	v_mov_b32_e32 v37, 2
	ds_bpermute_b32 v42, v39, v41
	v_cmp_eq_u16_sdwa s[2:3], v38, v37 src0_sel:BYTE_0 src1_sel:DWORD
	v_lshlrev_b64 v[16:17], v15, -1
	v_and_b32_e32 v18, s3, v17
	v_or_b32_e32 v18, 0x80000000, v18
	v_and_b32_e32 v19, s2, v16
	v_ffbl_b32_e32 v18, v18
	v_add_u32_e32 v18, 32, v18
	v_ffbl_b32_e32 v19, v19
	s_waitcnt lgkmcnt(0)
	v_cmp_gt_f16_e32 vcc, v49, v42
	v_min_u32_e32 v18, v19, v18
	v_add_u32_e32 v40, 1, v15
	v_cndmask_b32_e32 v19, v42, v49, vcc
	v_and_b32_e32 v42, 0xffff, v19
	v_cmp_le_u32_e32 vcc, v40, v18
	v_cmp_gt_u32_e64 s[2:3], 62, v50
	v_cndmask_b32_e32 v43, v41, v42, vcc
	v_cndmask_b32_e64 v41, 0, 1, s[2:3]
	v_lshlrev_b32_e32 v41, 1, v41
	v_add_lshl_u32 v41, v41, v15, 2
	ds_bpermute_b32 v44, v41, v43
	v_cndmask_b32_e32 v19, v49, v19, vcc
	v_add_u32_e32 v42, 2, v15
	v_cmp_gt_u32_e64 s[8:9], 60, v50
	v_cmp_gt_u32_e64 s[10:11], 56, v50
	s_waitcnt lgkmcnt(0)
	v_cmp_gt_f16_e64 s[2:3], v19, v44
	v_cndmask_b32_e64 v44, v44, v19, s[2:3]
	v_and_b32_e32 v45, 0xffff, v44
	v_cmp_le_u32_e64 s[2:3], v42, v18
	v_cndmask_b32_e64 v45, v43, v45, s[2:3]
	v_cndmask_b32_e64 v43, 0, 1, s[8:9]
	v_lshlrev_b32_e32 v43, 2, v43
	v_add_lshl_u32 v43, v43, v15, 2
	ds_bpermute_b32 v46, v43, v45
	v_cndmask_b32_e64 v19, v19, v44, s[2:3]
	v_add_u32_e32 v44, 4, v15
	v_cmp_gt_u32_e64 s[12:13], 48, v50
	v_cmp_gt_u32_e64 s[14:15], 32, v50
	s_waitcnt lgkmcnt(0)
	v_cmp_gt_f16_e64 s[8:9], v19, v46
	v_cndmask_b32_e64 v46, v46, v19, s[8:9]
	v_and_b32_e32 v47, 0xffff, v46
	v_cmp_le_u32_e64 s[8:9], v44, v18
	v_cndmask_b32_e64 v47, v45, v47, s[8:9]
	v_cndmask_b32_e64 v45, 0, 1, s[10:11]
	v_lshlrev_b32_e32 v45, 3, v45
	v_add_lshl_u32 v45, v45, v15, 2
	ds_bpermute_b32 v48, v45, v47
	v_cndmask_b32_e64 v19, v19, v46, s[8:9]
	v_add_u32_e32 v46, 8, v15
	v_cndmask_b32_e64 v50, 0, 1, s[14:15]
	v_lshlrev_b32_e32 v50, 5, v50
	s_waitcnt lgkmcnt(0)
	v_cmp_gt_f16_e64 s[10:11], v19, v48
	v_cndmask_b32_e64 v48, v48, v19, s[10:11]
	v_and_b32_e32 v51, 0xffff, v48
	v_cmp_le_u32_e64 s[10:11], v46, v18
	v_cndmask_b32_e64 v51, v47, v51, s[10:11]
	v_cndmask_b32_e64 v47, 0, 1, s[12:13]
	v_lshlrev_b32_e32 v47, 4, v47
	v_add_lshl_u32 v47, v47, v15, 2
	ds_bpermute_b32 v52, v47, v51
	v_cndmask_b32_e64 v19, v19, v48, s[10:11]
	v_add_u32_e32 v48, 16, v15
	v_add_lshl_u32 v50, v50, v15, 2
	s_waitcnt lgkmcnt(0)
	v_cmp_gt_f16_e64 s[12:13], v19, v52
	v_cndmask_b32_e64 v52, v52, v19, s[12:13]
	v_and_b32_e32 v53, 0xffff, v52
	v_cmp_le_u32_e64 s[12:13], v48, v18
	v_cndmask_b32_e64 v51, v51, v53, s[12:13]
	ds_bpermute_b32 v53, v50, v51
	v_add_u32_e32 v51, 32, v15
	v_cmp_le_u32_e64 s[16:17], v51, v18
	s_or_b64 s[2:3], s[2:3], s[16:17]
	s_or_b64 s[2:3], vcc, s[2:3]
	v_cndmask_b32_e64 v15, v19, v52, s[12:13]
	v_cmp_gt_u32_e64 s[14:15], v51, v18
	s_or_b64 s[2:3], s[8:9], s[2:3]
	s_waitcnt lgkmcnt(0)
	v_cmp_gt_f16_e32 vcc, v15, v53
	s_or_b64 s[2:3], s[10:11], s[2:3]
	s_or_b64 vcc, s[14:15], vcc
	v_cndmask_b32_e32 v15, v53, v15, vcc
	s_or_b64 vcc, s[12:13], s[2:3]
	v_cndmask_b32_e32 v18, v49, v15, vcc
	v_mov_b32_e32 v15, 0
	s_branch .LBB9_64
.LBB9_63:                               ;   in Loop: Header=BB9_64 Depth=1
	s_or_b64 exec, exec, s[2:3]
	v_and_b32_e32 v53, 0xffff, v52
	ds_bpermute_b32 v54, v39, v53
	v_cmp_eq_u16_sdwa s[2:3], v38, v37 src0_sel:BYTE_0 src1_sel:DWORD
	v_and_b32_e32 v18, s3, v17
	v_or_b32_e32 v18, 0x80000000, v18
	v_and_b32_e32 v19, s2, v16
	v_ffbl_b32_e32 v18, v18
	v_add_u32_e32 v18, 32, v18
	v_ffbl_b32_e32 v19, v19
	s_waitcnt lgkmcnt(0)
	v_cmp_gt_f16_e32 vcc, v52, v54
	v_min_u32_e32 v18, v19, v18
	v_cndmask_b32_e32 v19, v54, v52, vcc
	v_and_b32_e32 v54, 0xffff, v19
	v_cmp_le_u32_e32 vcc, v40, v18
	v_cndmask_b32_e32 v53, v53, v54, vcc
	ds_bpermute_b32 v54, v41, v53
	v_cndmask_b32_e32 v19, v52, v19, vcc
	v_cmp_le_u32_e64 s[16:17], v51, v18
	v_cmp_gt_u32_e64 s[14:15], v51, v18
	v_subrev_u32_e32 v14, 64, v14
	s_waitcnt lgkmcnt(0)
	v_cmp_gt_f16_e64 s[2:3], v19, v54
	v_cndmask_b32_e64 v54, v54, v19, s[2:3]
	v_and_b32_e32 v55, 0xffff, v54
	v_cmp_le_u32_e64 s[2:3], v42, v18
	v_cndmask_b32_e64 v53, v53, v55, s[2:3]
	ds_bpermute_b32 v55, v43, v53
	v_cndmask_b32_e64 v19, v19, v54, s[2:3]
	s_or_b64 s[2:3], s[2:3], s[16:17]
	s_or_b64 s[2:3], vcc, s[2:3]
	s_waitcnt lgkmcnt(0)
	v_cmp_gt_f16_e64 s[8:9], v19, v55
	v_cndmask_b32_e64 v54, v55, v19, s[8:9]
	v_and_b32_e32 v55, 0xffff, v54
	v_cmp_le_u32_e64 s[8:9], v44, v18
	v_cndmask_b32_e64 v53, v53, v55, s[8:9]
	ds_bpermute_b32 v55, v45, v53
	v_cndmask_b32_e64 v19, v19, v54, s[8:9]
	s_or_b64 s[2:3], s[8:9], s[2:3]
	s_waitcnt lgkmcnt(0)
	v_cmp_gt_f16_e64 s[10:11], v19, v55
	v_cndmask_b32_e64 v54, v55, v19, s[10:11]
	v_and_b32_e32 v55, 0xffff, v54
	v_cmp_le_u32_e64 s[10:11], v46, v18
	v_cndmask_b32_e64 v53, v53, v55, s[10:11]
	ds_bpermute_b32 v55, v47, v53
	v_cndmask_b32_e64 v19, v19, v54, s[10:11]
	s_or_b64 s[2:3], s[10:11], s[2:3]
	s_waitcnt lgkmcnt(0)
	v_cmp_gt_f16_e64 s[12:13], v19, v55
	v_cndmask_b32_e64 v54, v55, v19, s[12:13]
	v_and_b32_e32 v55, 0xffff, v54
	v_cmp_le_u32_e64 s[12:13], v48, v18
	v_cndmask_b32_e64 v53, v53, v55, s[12:13]
	ds_bpermute_b32 v53, v50, v53
	v_cndmask_b32_e64 v18, v19, v54, s[12:13]
	s_waitcnt lgkmcnt(0)
	v_cmp_gt_f16_e32 vcc, v18, v53
	s_or_b64 vcc, s[14:15], vcc
	v_cndmask_b32_e32 v18, v53, v18, vcc
	s_or_b64 vcc, s[12:13], s[2:3]
	v_cndmask_b32_e32 v18, v52, v18, vcc
	v_cmp_lt_f16_e32 vcc, v18, v49
	v_cndmask_b32_e32 v18, v18, v49, vcc
.LBB9_64:                               ; =>This Loop Header: Depth=1
                                        ;     Child Loop BB9_67 Depth 2
	v_cmp_ne_u16_sdwa s[2:3], v38, v37 src0_sel:BYTE_0 src1_sel:DWORD
	v_cndmask_b32_e64 v19, 0, 1, s[2:3]
	;;#ASMSTART
	;;#ASMEND
	v_cmp_ne_u32_e32 vcc, 0, v19
	s_cmp_lg_u64 vcc, exec
	v_mov_b32_e32 v49, v18
	s_cbranch_scc1 .LBB9_69
; %bb.65:                               ;   in Loop: Header=BB9_64 Depth=1
	v_lshlrev_b64 v[18:19], 2, v[14:15]
	v_mov_b32_e32 v38, s25
	v_add_co_u32_e32 v18, vcc, s24, v18
	v_addc_co_u32_e32 v19, vcc, v38, v19, vcc
	global_load_dword v52, v[18:19], off glc
	s_waitcnt vmcnt(0)
	v_lshrrev_b32_e32 v38, 16, v52
	v_cmp_eq_u16_sdwa s[8:9], v38, v15 src0_sel:BYTE_0 src1_sel:DWORD
	s_and_saveexec_b64 s[2:3], s[8:9]
	s_cbranch_execz .LBB9_63
; %bb.66:                               ;   in Loop: Header=BB9_64 Depth=1
	s_mov_b64 s[8:9], 0
.LBB9_67:                               ;   Parent Loop BB9_64 Depth=1
                                        ; =>  This Inner Loop Header: Depth=2
	global_load_dword v52, v[18:19], off glc
	s_waitcnt vmcnt(0)
	v_lshrrev_b32_e32 v38, 16, v52
	v_cmp_ne_u16_sdwa s[10:11], v38, v15 src0_sel:BYTE_0 src1_sel:DWORD
	s_or_b64 s[8:9], s[10:11], s[8:9]
	s_andn2_b64 exec, exec, s[8:9]
	s_cbranch_execnz .LBB9_67
; %bb.68:                               ;   in Loop: Header=BB9_64 Depth=1
	s_or_b64 exec, exec, s[8:9]
	s_branch .LBB9_63
.LBB9_69:                               ;   in Loop: Header=BB9_64 Depth=1
                                        ; implicit-def: $vgpr18
                                        ; implicit-def: $vgpr38
	s_cbranch_execz .LBB9_64
; %bb.70:
	s_and_saveexec_b64 s[2:3], s[0:1]
	s_cbranch_execz .LBB9_72
; %bb.71:
	s_add_i32 s0, s6, 64
	s_mov_b32 s1, 0
	s_lshl_b64 s[0:1], s[0:1], 2
	v_cmp_lt_f16_e32 vcc, v49, v36
	s_add_u32 s0, s24, s0
	v_cndmask_b32_e32 v15, v49, v36, vcc
	s_mov_b32 s6, 0x20000
	s_addc_u32 s1, s25, s1
	v_mov_b32_e32 v14, 0
	v_or_b32_sdwa v15, v15, s6 dst_sel:DWORD dst_unused:UNUSED_PAD src0_sel:WORD_0 src1_sel:DWORD
	global_store_dword v14, v15, s[0:1]
.LBB9_72:
	s_or_b64 exec, exec, s[2:3]
	v_cmp_eq_u32_e32 vcc, 0, v0
	s_and_b64 exec, exec, vcc
	s_cbranch_execz .LBB9_74
; %bb.73:
	v_mov_b32_e32 v14, 0
	ds_write_b16 v14, v49
.LBB9_74:
	s_or_b64 exec, exec, s[26:27]
	v_mov_b32_e32 v14, 0
	s_waitcnt lgkmcnt(0)
	; wave barrier
	s_waitcnt lgkmcnt(0)
	ds_read_u16 v14, v14
	v_cmp_eq_u32_e32 vcc, 0, v0
	v_cmp_gt_f16_e64 s[0:1], v10, v35
	s_or_b64 vcc, vcc, s[0:1]
	v_cndmask_b32_e32 v15, v35, v10, vcc
	s_waitcnt lgkmcnt(0)
	v_cmp_lt_f16_e32 vcc, v14, v15
	v_cndmask_b32_e32 v14, v14, v15, vcc
	v_cmp_lt_f16_e32 vcc, v14, v33
	v_cndmask_b32_e32 v15, v14, v33, vcc
	;; [unrolled: 2-line block ×24, first 2 shown]
	s_load_dwordx4 s[8:11], s[4:5], 0x30
	s_branch .LBB9_83
.LBB9_75:
                                        ; implicit-def: $vgpr14
                                        ; implicit-def: $vgpr15
                                        ; implicit-def: $vgpr16
                                        ; implicit-def: $vgpr17
                                        ; implicit-def: $vgpr18
                                        ; implicit-def: $vgpr19
                                        ; implicit-def: $vgpr36
                                        ; implicit-def: $vgpr38
                                        ; implicit-def: $vgpr35
                                        ; implicit-def: $vgpr37
                                        ; implicit-def: $vgpr39
                                        ; implicit-def: $vgpr40
                                        ; implicit-def: $vgpr41
                                        ; implicit-def: $vgpr42
                                        ; implicit-def: $vgpr44
                                        ; implicit-def: $vgpr46
                                        ; implicit-def: $vgpr43
                                        ; implicit-def: $vgpr45
                                        ; implicit-def: $vgpr47
                                        ; implicit-def: $vgpr48
                                        ; implicit-def: $vgpr49
                                        ; implicit-def: $vgpr50
                                        ; implicit-def: $vgpr51
                                        ; implicit-def: $vgpr52
	s_load_dwordx4 s[8:11], s[4:5], 0x30
	s_cbranch_execz .LBB9_83
; %bb.76:
	s_load_dword s0, s[4:5], 0x40
	v_cmp_eq_u32_e32 vcc, 0, v0
	s_waitcnt lgkmcnt(0)
	s_bitcmp1_b32 s0, 0
	s_cselect_b64 s[0:1], -1, 0
	s_and_b64 s[0:1], vcc, s[0:1]
	s_and_saveexec_b64 s[2:3], s[0:1]
	s_cbranch_execz .LBB9_78
; %bb.77:
	v_mov_b32_e32 v14, 0
	global_load_ushort v14, v14, s[8:9]
	s_waitcnt vmcnt(0)
	v_cmp_lt_f16_e64 s[0:1], v14, v10
	v_cndmask_b32_e64 v10, v14, v10, s[0:1]
.LBB9_78:
	s_or_b64 exec, exec, s[2:3]
	v_cmp_lt_f16_e64 s[0:1], v10, v33
	v_cndmask_b32_e64 v14, v10, v33, s[0:1]
	v_cmp_lt_f16_e64 s[0:1], v14, v11
	v_cndmask_b32_e64 v14, v14, v11, s[0:1]
	;; [unrolled: 2-line block ×23, first 2 shown]
	v_mbcnt_hi_u32_b32 v14, -1, v34
	v_and_b32_e32 v17, 0xffff, v15
	v_and_b32_e32 v16, 15, v14
	v_cmp_eq_u32_e64 s[0:1], 0, v16
	v_mov_b32_dpp v17, v17 row_shr:1 row_mask:0xf bank_mask:0xf
	v_cmp_gt_f16_e64 s[2:3], v15, v17
	s_or_b64 s[0:1], s[0:1], s[2:3]
	v_cndmask_b32_e64 v15, v17, v15, s[0:1]
	v_and_b32_e32 v17, 0xffff, v15
	s_nop 1
	v_mov_b32_dpp v17, v17 row_shr:2 row_mask:0xf bank_mask:0xf
	v_cmp_gt_f16_e64 s[0:1], v15, v17
	v_cndmask_b32_e64 v17, v17, v15, s[0:1]
	v_cmp_lt_u32_e64 s[0:1], 1, v16
	v_cndmask_b32_e64 v15, v15, v17, s[0:1]
	v_and_b32_e32 v17, 0xffff, v15
	s_nop 1
	v_mov_b32_dpp v17, v17 row_shr:4 row_mask:0xf bank_mask:0xf
	v_cmp_gt_f16_e64 s[0:1], v15, v17
	v_cndmask_b32_e64 v17, v17, v15, s[0:1]
	v_cmp_lt_u32_e64 s[0:1], 3, v16
	v_cndmask_b32_e64 v15, v15, v17, s[0:1]
	v_and_b32_e32 v17, 0xffff, v15
	s_nop 1
	v_mov_b32_dpp v17, v17 row_shr:8 row_mask:0xf bank_mask:0xf
	v_cmp_gt_f16_e64 s[0:1], v15, v17
	v_cndmask_b32_e64 v17, v17, v15, s[0:1]
	v_cmp_lt_u32_e64 s[0:1], 7, v16
	v_cndmask_b32_e64 v15, v15, v17, s[0:1]
	v_and_b32_e32 v16, 0xffff, v15
	v_and_b32_e32 v17, 16, v14
	v_cmp_eq_u32_e64 s[0:1], 0, v17
	v_mov_b32_dpp v16, v16 row_bcast:15 row_mask:0xf bank_mask:0xf
	v_cmp_gt_f16_e64 s[2:3], v15, v16
	s_or_b64 s[0:1], s[0:1], s[2:3]
	v_cndmask_b32_e64 v15, v16, v15, s[0:1]
	v_and_b32_e32 v16, 0xffff, v15
	s_nop 1
	v_mov_b32_dpp v16, v16 row_bcast:31 row_mask:0xf bank_mask:0xf
	v_cmp_gt_f16_e64 s[0:1], v15, v16
	v_cndmask_b32_e64 v16, v16, v15, s[0:1]
	v_cmp_lt_u32_e64 s[0:1], 31, v14
	v_cndmask_b32_e64 v15, v15, v16, s[0:1]
	v_cmp_eq_u32_e64 s[0:1], 63, v0
	s_and_saveexec_b64 s[2:3], s[0:1]
	s_cbranch_execz .LBB9_80
; %bb.79:
	v_mov_b32_e32 v16, 0
	ds_write_b16 v16, v15
.LBB9_80:
	s_or_b64 exec, exec, s[2:3]
	v_add_u32_e32 v16, -1, v14
	v_and_b32_e32 v17, 64, v14
	v_cmp_lt_i32_e64 s[0:1], v16, v17
	v_cndmask_b32_e64 v14, v16, v14, s[0:1]
	v_and_b32_e32 v15, 0xffff, v15
	v_lshlrev_b32_e32 v14, 2, v14
	ds_bpermute_b32 v14, v14, v15
	s_waitcnt lgkmcnt(0)
	; wave barrier
	s_waitcnt lgkmcnt(0)
	v_cmp_gt_f16_e64 s[0:1], v10, v14
	s_or_b64 s[0:1], vcc, s[0:1]
	v_cndmask_b32_e64 v14, v14, v10, s[0:1]
	v_cmp_lt_f16_e64 s[0:1], v14, v33
	v_cndmask_b32_e64 v15, v14, v33, s[0:1]
	v_cmp_lt_f16_e64 s[0:1], v15, v11
	;; [unrolled: 2-line block ×23, first 2 shown]
	s_and_saveexec_b64 s[2:3], vcc
	s_cbranch_execz .LBB9_82
; %bb.81:
	v_mov_b32_e32 v2, 0
	ds_read_u16 v3, v2
	s_waitcnt lgkmcnt(0)
	v_or_b32_e32 v3, 0x20000, v3
	global_store_dword v2, v3, s[24:25] offset:256
.LBB9_82:
	s_or_b64 exec, exec, s[2:3]
	v_cndmask_b32_e64 v52, v51, v1, s[0:1]
.LBB9_83:
	s_add_u32 s0, s18, s22
	s_addc_u32 s1, s19, s23
	s_mov_b64 s[2:3], -1
	s_and_b64 vcc, exec, s[20:21]
	s_waitcnt lgkmcnt(0)
	; wave barrier
	s_waitcnt lgkmcnt(0)
	s_cbranch_vccz .LBB9_85
; %bb.84:
	s_mov_b32 s2, 0x5040100
	v_perm_b32 v5, v38, v36, s2
	v_perm_b32 v4, v19, v18, s2
	;; [unrolled: 1-line block ×4, first 2 shown]
	ds_write_b128 v22, v[2:5]
	v_perm_b32 v5, v46, v44, s2
	v_perm_b32 v4, v42, v41, s2
	;; [unrolled: 1-line block ×4, first 2 shown]
	ds_write_b128 v22, v[2:5] offset:16
	v_perm_b32 v5, v52, v51, s2
	v_perm_b32 v4, v50, v49, s2
	;; [unrolled: 1-line block ×4, first 2 shown]
	ds_write_b128 v22, v[2:5] offset:32
	s_waitcnt lgkmcnt(0)
	; wave barrier
	s_waitcnt lgkmcnt(0)
	ds_read_u16 v1, v20
	ds_read_u16 v2, v20 offset:128
	ds_read_u16 v3, v20 offset:256
	ds_read_u16 v4, v20 offset:384
	ds_read_u16 v5, v20 offset:512
	ds_read_u16 v6, v20 offset:640
	ds_read_u16 v7, v20 offset:768
	ds_read_u16 v8, v20 offset:896
	ds_read_u16 v9, v20 offset:1024
	ds_read_u16 v10, v20 offset:1152
	ds_read_u16 v11, v20 offset:1280
	ds_read_u16 v12, v20 offset:1408
	ds_read_u16 v13, v20 offset:1536
	ds_read_u16 v23, v20 offset:1664
	ds_read_u16 v24, v20 offset:1792
	ds_read_u16 v25, v20 offset:1920
	ds_read_u16 v26, v20 offset:2048
	ds_read_u16 v27, v20 offset:2176
	ds_read_u16 v28, v20 offset:2304
	ds_read_u16 v29, v20 offset:2432
	ds_read_u16 v30, v20 offset:2560
	ds_read_u16 v31, v20 offset:2688
	ds_read_u16 v32, v20 offset:2816
	ds_read_u16 v33, v20 offset:2944
	s_waitcnt lgkmcnt(14)
	global_store_short v20, v1, s[0:1]
	global_store_short v20, v2, s[0:1] offset:128
	global_store_short v20, v3, s[0:1] offset:256
	;; [unrolled: 1-line block ×9, first 2 shown]
	s_waitcnt lgkmcnt(13)
	global_store_short v20, v11, s[0:1] offset:1280
	s_waitcnt lgkmcnt(12)
	global_store_short v20, v12, s[0:1] offset:1408
	;; [unrolled: 2-line block ×14, first 2 shown]
	s_mov_b64 s[2:3], 0
.LBB9_85:
	s_andn2_b64 vcc, exec, s[2:3]
	s_cbranch_vccnz .LBB9_142
; %bb.86:
	s_mov_b32 s2, 0x5040100
	v_perm_b32 v5, v38, v36, s2
	v_perm_b32 v4, v19, v18, s2
	;; [unrolled: 1-line block ×4, first 2 shown]
	ds_write_b128 v22, v[2:5]
	v_perm_b32 v5, v46, v44, s2
	v_perm_b32 v4, v42, v41, s2
	;; [unrolled: 1-line block ×4, first 2 shown]
	ds_write_b128 v22, v[2:5] offset:16
	v_perm_b32 v5, v52, v51, s2
	v_perm_b32 v4, v50, v49, s2
	;; [unrolled: 1-line block ×4, first 2 shown]
	s_movk_i32 s2, 0xffd2
	ds_write_b128 v22, v[2:5] offset:32
	v_mad_i32_i24 v2, v0, s2, v22
	s_waitcnt lgkmcnt(0)
	; wave barrier
	s_waitcnt lgkmcnt(0)
	ds_read_u16 v5, v2
	ds_read_u16 v4, v2 offset:128
	ds_read_u16 v7, v2 offset:256
	;; [unrolled: 1-line block ×23, first 2 shown]
	v_mov_b32_e32 v3, s1
	v_add_co_u32_e32 v2, vcc, s0, v20
	v_addc_co_u32_e32 v3, vcc, 0, v3, vcc
	v_mov_b32_e32 v1, 0
	v_cmp_gt_u32_e32 vcc, s7, v0
	s_and_saveexec_b64 s[0:1], vcc
	s_cbranch_execz .LBB9_88
; %bb.87:
	s_waitcnt lgkmcnt(14)
	global_store_short v[2:3], v5, off
.LBB9_88:
	s_or_b64 exec, exec, s[0:1]
	v_or_b32_e32 v20, 64, v0
	v_cmp_gt_u32_e32 vcc, s7, v20
	s_and_saveexec_b64 s[0:1], vcc
	s_cbranch_execz .LBB9_90
; %bb.89:
	s_waitcnt lgkmcnt(14)
	global_store_short v[2:3], v4, off offset:128
.LBB9_90:
	s_or_b64 exec, exec, s[0:1]
	v_or_b32_e32 v20, 0x80, v0
	v_cmp_gt_u32_e32 vcc, s7, v20
	s_and_saveexec_b64 s[0:1], vcc
	s_cbranch_execz .LBB9_92
; %bb.91:
	s_waitcnt lgkmcnt(14)
	global_store_short v[2:3], v7, off offset:256
.LBB9_92:
	s_or_b64 exec, exec, s[0:1]
	v_or_b32_e32 v20, 0xc0, v0
	v_cmp_gt_u32_e32 vcc, s7, v20
	s_and_saveexec_b64 s[0:1], vcc
	s_cbranch_execz .LBB9_94
; %bb.93:
	s_waitcnt lgkmcnt(14)
	global_store_short v[2:3], v8, off offset:384
.LBB9_94:
	s_or_b64 exec, exec, s[0:1]
	v_or_b32_e32 v20, 0x100, v0
	v_cmp_gt_u32_e32 vcc, s7, v20
	s_and_saveexec_b64 s[0:1], vcc
	s_cbranch_execz .LBB9_96
; %bb.95:
	s_waitcnt lgkmcnt(14)
	global_store_short v[2:3], v6, off offset:512
.LBB9_96:
	s_or_b64 exec, exec, s[0:1]
	v_or_b32_e32 v20, 0x140, v0
	v_cmp_gt_u32_e32 vcc, s7, v20
	s_and_saveexec_b64 s[0:1], vcc
	s_cbranch_execz .LBB9_98
; %bb.97:
	s_waitcnt lgkmcnt(14)
	global_store_short v[2:3], v9, off offset:640
.LBB9_98:
	s_or_b64 exec, exec, s[0:1]
	v_or_b32_e32 v20, 0x180, v0
	v_cmp_gt_u32_e32 vcc, s7, v20
	s_and_saveexec_b64 s[0:1], vcc
	s_cbranch_execz .LBB9_100
; %bb.99:
	s_waitcnt lgkmcnt(14)
	global_store_short v[2:3], v17, off offset:768
.LBB9_100:
	s_or_b64 exec, exec, s[0:1]
	v_or_b32_e32 v20, 0x1c0, v0
	v_cmp_gt_u32_e32 vcc, s7, v20
	s_and_saveexec_b64 s[0:1], vcc
	s_cbranch_execz .LBB9_102
; %bb.101:
	s_waitcnt lgkmcnt(14)
	global_store_short v[2:3], v15, off offset:896
.LBB9_102:
	s_or_b64 exec, exec, s[0:1]
	v_or_b32_e32 v20, 0x200, v0
	v_cmp_gt_u32_e32 vcc, s7, v20
	s_and_saveexec_b64 s[0:1], vcc
	s_cbranch_execz .LBB9_104
; %bb.103:
	s_waitcnt lgkmcnt(14)
	global_store_short v[2:3], v16, off offset:1024
.LBB9_104:
	s_or_b64 exec, exec, s[0:1]
	v_or_b32_e32 v20, 0x240, v0
	v_cmp_gt_u32_e32 vcc, s7, v20
	s_and_saveexec_b64 s[0:1], vcc
	s_cbranch_execz .LBB9_106
; %bb.105:
	s_waitcnt lgkmcnt(14)
	global_store_short v[2:3], v25, off offset:1152
.LBB9_106:
	s_or_b64 exec, exec, s[0:1]
	v_or_b32_e32 v20, 0x280, v0
	v_cmp_gt_u32_e32 vcc, s7, v20
	s_and_saveexec_b64 s[0:1], vcc
	s_cbranch_execz .LBB9_108
; %bb.107:
	s_waitcnt lgkmcnt(13)
	global_store_short v[2:3], v22, off offset:1280
.LBB9_108:
	s_or_b64 exec, exec, s[0:1]
	v_or_b32_e32 v20, 0x2c0, v0
	v_cmp_gt_u32_e32 vcc, s7, v20
	s_and_saveexec_b64 s[0:1], vcc
	s_cbranch_execz .LBB9_110
; %bb.109:
	s_waitcnt lgkmcnt(12)
	global_store_short v[2:3], v19, off offset:1408
.LBB9_110:
	s_or_b64 exec, exec, s[0:1]
	v_or_b32_e32 v20, 0x300, v0
	v_cmp_gt_u32_e32 vcc, s7, v20
	s_and_saveexec_b64 s[0:1], vcc
	s_cbranch_execz .LBB9_112
; %bb.111:
	s_waitcnt lgkmcnt(11)
	global_store_short v[2:3], v18, off offset:1536
.LBB9_112:
	s_or_b64 exec, exec, s[0:1]
	v_or_b32_e32 v20, 0x340, v0
	v_cmp_gt_u32_e32 vcc, s7, v20
	s_and_saveexec_b64 s[0:1], vcc
	s_cbranch_execz .LBB9_114
; %bb.113:
	s_waitcnt lgkmcnt(10)
	global_store_short v[2:3], v13, off offset:1664
.LBB9_114:
	s_or_b64 exec, exec, s[0:1]
	v_or_b32_e32 v20, 0x380, v0
	v_cmp_gt_u32_e32 vcc, s7, v20
	s_and_saveexec_b64 s[0:1], vcc
	s_cbranch_execz .LBB9_116
; %bb.115:
	s_waitcnt lgkmcnt(9)
	global_store_short v[2:3], v14, off offset:1792
.LBB9_116:
	s_or_b64 exec, exec, s[0:1]
	v_or_b32_e32 v20, 0x3c0, v0
	v_cmp_gt_u32_e32 vcc, s7, v20
	s_and_saveexec_b64 s[0:1], vcc
	s_cbranch_execz .LBB9_118
; %bb.117:
	s_waitcnt lgkmcnt(8)
	global_store_short v[2:3], v10, off offset:1920
.LBB9_118:
	s_or_b64 exec, exec, s[0:1]
	v_or_b32_e32 v20, 0x400, v0
	v_cmp_gt_u32_e32 vcc, s7, v20
	s_and_saveexec_b64 s[0:1], vcc
	s_cbranch_execz .LBB9_120
; %bb.119:
	s_waitcnt lgkmcnt(7)
	global_store_short v[2:3], v24, off offset:2048
.LBB9_120:
	s_or_b64 exec, exec, s[0:1]
	v_or_b32_e32 v20, 0x440, v0
	v_cmp_gt_u32_e32 vcc, s7, v20
	s_and_saveexec_b64 s[0:1], vcc
	s_cbranch_execz .LBB9_122
; %bb.121:
	s_waitcnt lgkmcnt(6)
	global_store_short v[2:3], v27, off offset:2176
.LBB9_122:
	s_or_b64 exec, exec, s[0:1]
	v_or_b32_e32 v20, 0x480, v0
	v_cmp_gt_u32_e32 vcc, s7, v20
	s_and_saveexec_b64 s[0:1], vcc
	s_cbranch_execz .LBB9_124
; %bb.123:
	s_waitcnt lgkmcnt(5)
	global_store_short v[2:3], v26, off offset:2304
.LBB9_124:
	s_or_b64 exec, exec, s[0:1]
	v_or_b32_e32 v20, 0x4c0, v0
	v_cmp_gt_u32_e32 vcc, s7, v20
	s_and_saveexec_b64 s[0:1], vcc
	s_cbranch_execz .LBB9_126
; %bb.125:
	s_waitcnt lgkmcnt(4)
	global_store_short v[2:3], v23, off offset:2432
.LBB9_126:
	s_or_b64 exec, exec, s[0:1]
	v_or_b32_e32 v20, 0x500, v0
	v_cmp_gt_u32_e32 vcc, s7, v20
	s_and_saveexec_b64 s[0:1], vcc
	s_cbranch_execz .LBB9_128
; %bb.127:
	s_waitcnt lgkmcnt(3)
	global_store_short v[2:3], v12, off offset:2560
.LBB9_128:
	s_or_b64 exec, exec, s[0:1]
	v_or_b32_e32 v20, 0x540, v0
	v_cmp_gt_u32_e32 vcc, s7, v20
	s_and_saveexec_b64 s[0:1], vcc
	s_cbranch_execz .LBB9_130
; %bb.129:
	s_waitcnt lgkmcnt(2)
	global_store_short v[2:3], v11, off offset:2688
.LBB9_130:
	s_or_b64 exec, exec, s[0:1]
	v_or_b32_e32 v20, 0x580, v0
	v_cmp_gt_u32_e32 vcc, s7, v20
	s_and_saveexec_b64 s[0:1], vcc
	s_cbranch_execz .LBB9_132
; %bb.131:
	s_waitcnt lgkmcnt(1)
	global_store_short v[2:3], v28, off offset:2816
.LBB9_132:
	s_or_b64 exec, exec, s[0:1]
	v_or_b32_e32 v20, 0x5c0, v0
	v_cmp_gt_u32_e32 vcc, s7, v20
	s_and_saveexec_b64 s[0:1], vcc
	s_cbranch_execz .LBB9_134
; %bb.133:
	s_waitcnt lgkmcnt(0)
	global_store_short v[2:3], v29, off offset:2944
.LBB9_134:
	s_or_b64 exec, exec, s[0:1]
	s_load_dword s0, s[4:5], 0x40
	s_waitcnt lgkmcnt(0)
	s_bfe_u32 s0, s0, 0x10008
	s_cmp_eq_u32 s0, 0
	s_cbranch_scc1 .LBB9_142
; %bb.135:
	s_add_u32 s0, s7, -1
	s_addc_u32 s1, s28, -1
	s_add_u32 s2, 0, 0xaaaa0000
	s_addc_u32 s3, 0, 42
	s_add_i32 s3, s3, 0xaaaaa80
	s_mul_hi_u32 s7, s2, 0xffffffe8
	s_sub_i32 s7, s7, s2
	s_mul_i32 s8, s3, 0xffffffe8
	s_mul_i32 s4, s2, 0xffffffe8
	s_add_i32 s7, s7, s8
	s_mul_hi_u32 s5, s3, s4
	s_mul_i32 s6, s3, s4
	s_mul_i32 s9, s2, s7
	s_mul_hi_u32 s4, s2, s4
	s_mul_hi_u32 s8, s2, s7
	s_add_u32 s4, s4, s9
	s_addc_u32 s8, 0, s8
	s_add_u32 s4, s4, s6
	s_mul_hi_u32 s9, s3, s7
	s_addc_u32 s4, s8, s5
	s_addc_u32 s5, s9, 0
	s_mul_i32 s6, s3, s7
	s_add_u32 s4, s4, s6
	v_mov_b32_e32 v2, s4
	s_addc_u32 s5, 0, s5
	v_add_co_u32_e32 v2, vcc, s2, v2
	s_cmp_lg_u64 vcc, 0
	s_addc_u32 s2, s3, s5
	v_readfirstlane_b32 s5, v2
	s_mul_i32 s4, s0, s2
	s_mul_hi_u32 s6, s0, s5
	s_mul_hi_u32 s3, s0, s2
	s_add_u32 s4, s6, s4
	s_addc_u32 s3, 0, s3
	s_mul_hi_u32 s7, s1, s5
	s_mul_i32 s5, s1, s5
	s_add_u32 s4, s4, s5
	s_mul_hi_u32 s6, s1, s2
	s_addc_u32 s3, s3, s7
	s_addc_u32 s4, s6, 0
	s_mul_i32 s2, s1, s2
	s_add_u32 s2, s3, s2
	s_addc_u32 s3, 0, s4
	s_add_u32 s4, s2, 1
	s_addc_u32 s5, s3, 0
	s_add_u32 s6, s2, 2
	s_mul_i32 s8, s3, 24
	s_mul_hi_u32 s9, s2, 24
	s_addc_u32 s7, s3, 0
	s_add_i32 s9, s9, s8
	s_mul_i32 s8, s2, 24
	v_mov_b32_e32 v2, s8
	v_sub_co_u32_e32 v2, vcc, s0, v2
	s_cmp_lg_u64 vcc, 0
	s_subb_u32 s8, s1, s9
	v_subrev_co_u32_e32 v3, vcc, 24, v2
	s_cmp_lg_u64 vcc, 0
	s_subb_u32 s9, s8, 0
	v_readfirstlane_b32 s12, v3
	s_cmp_gt_u32 s12, 23
	s_cselect_b32 s12, -1, 0
	s_cmp_eq_u32 s9, 0
	s_cselect_b32 s9, s12, -1
	s_cmp_lg_u32 s9, 0
	s_cselect_b32 s4, s6, s4
	v_readfirstlane_b32 s6, v2
	s_cselect_b32 s5, s7, s5
	s_cmp_gt_u32 s6, 23
	s_cselect_b32 s6, -1, 0
	s_cmp_eq_u32 s8, 0
	s_cselect_b32 s6, s6, -1
	s_cmp_lg_u32 s6, 0
	s_cselect_b32 s3, s5, s3
	s_cselect_b32 s2, s4, s2
	v_cmp_eq_u64_e32 vcc, s[2:3], v[0:1]
	s_and_saveexec_b64 s[2:3], vcc
	s_cbranch_execz .LBB9_142
; %bb.136:
	v_mul_hi_u32_u24_e32 v1, 24, v0
	v_mov_b32_e32 v2, s1
	v_sub_co_u32_e32 v0, vcc, s0, v21
	v_subb_co_u32_e32 v1, vcc, v2, v1, vcc
	v_cmp_lt_i64_e32 vcc, 11, v[0:1]
	s_mov_b64 s[0:1], 0
	s_mov_b64 s[8:9], 0
	;; [unrolled: 1-line block ×4, first 2 shown]
	s_and_saveexec_b64 s[2:3], vcc
	s_xor_b64 s[2:3], exec, s[2:3]
	s_cbranch_execnz .LBB9_143
; %bb.137:
	s_andn2_saveexec_b64 s[2:3], s[2:3]
	s_cbranch_execnz .LBB9_188
.LBB9_138:
	s_or_b64 exec, exec, s[2:3]
	s_and_saveexec_b64 s[2:3], s[8:9]
	s_cbranch_execnz .LBB9_205
.LBB9_139:
	s_or_b64 exec, exec, s[2:3]
	s_and_saveexec_b64 s[2:3], s[6:7]
	s_cbranch_execnz .LBB9_206
.LBB9_140:
	s_or_b64 exec, exec, s[2:3]
	s_and_saveexec_b64 s[2:3], s[4:5]
	s_xor_b64 s[2:3], exec, s[2:3]
	s_cbranch_execnz .LBB9_207
.LBB9_141:
	s_or_b64 exec, exec, s[2:3]
	s_and_b64 exec, exec, s[0:1]
	s_cbranch_execnz .LBB9_208
.LBB9_142:
	s_endpgm
.LBB9_143:
	v_cmp_lt_i64_e32 vcc, 17, v[0:1]
	s_and_saveexec_b64 s[12:13], vcc
	s_xor_b64 s[12:13], exec, s[12:13]
	s_cbranch_execz .LBB9_165
; %bb.144:
	v_cmp_lt_i64_e32 vcc, 20, v[0:1]
                                        ; implicit-def: $vgpr10
	s_and_saveexec_b64 s[14:15], vcc
	s_xor_b64 s[14:15], exec, s[14:15]
	s_cbranch_execz .LBB9_154
; %bb.145:
	v_cmp_lt_i64_e32 vcc, 21, v[0:1]
	s_mov_b64 s[16:17], 0
                                        ; implicit-def: $vgpr10
	s_and_saveexec_b64 s[4:5], vcc
	s_xor_b64 s[4:5], exec, s[4:5]
	s_cbranch_execz .LBB9_151
; %bb.146:
	v_cmp_lt_i64_e32 vcc, 22, v[0:1]
	s_and_saveexec_b64 s[16:17], vcc
	s_xor_b64 s[16:17], exec, s[16:17]
	s_cbranch_execz .LBB9_148
; %bb.147:
	v_mov_b32_e32 v2, 0
	global_store_short v2, v29, s[10:11]
                                        ; implicit-def: $vgpr28
.LBB9_148:
	s_or_saveexec_b64 s[16:17], s[16:17]
	s_mov_b64 s[18:19], 0
	s_xor_b64 exec, exec, s[16:17]
; %bb.149:
	s_mov_b64 s[18:19], exec
; %bb.150:
	s_or_b64 exec, exec, s[16:17]
	s_and_b64 s[16:17], s[18:19], exec
	v_mov_b32_e32 v10, v28
                                        ; implicit-def: $vgpr11
.LBB9_151:
	s_andn2_saveexec_b64 s[4:5], s[4:5]
; %bb.152:
	s_mov_b64 s[6:7], exec
                                        ; implicit-def: $vgpr10
; %bb.153:
	s_or_b64 exec, exec, s[4:5]
	s_and_b64 s[4:5], s[16:17], exec
	s_and_b64 s[6:7], s[6:7], exec
                                        ; implicit-def: $vgpr26
                                        ; implicit-def: $vgpr12
                                        ; implicit-def: $vgpr23
.LBB9_154:
	s_andn2_saveexec_b64 s[14:15], s[14:15]
	s_cbranch_execz .LBB9_164
; %bb.155:
	v_cmp_lt_i64_e32 vcc, 18, v[0:1]
	s_mov_b64 s[16:17], 0
	s_and_saveexec_b64 s[8:9], vcc
	s_xor_b64 s[8:9], exec, s[8:9]
	s_cbranch_execz .LBB9_161
; %bb.156:
	v_cmp_lt_i64_e32 vcc, 19, v[0:1]
	s_and_saveexec_b64 s[18:19], vcc
	s_xor_b64 s[18:19], exec, s[18:19]
; %bb.157:
	s_mov_b64 s[16:17], exec
                                        ; implicit-def: $vgpr23
; %bb.158:
	s_andn2_saveexec_b64 s[18:19], s[18:19]
	s_cbranch_execz .LBB9_160
; %bb.159:
	v_mov_b32_e32 v2, 0
	global_store_short v2, v23, s[10:11]
                                        ; implicit-def: $vgpr12
.LBB9_160:
	s_or_b64 exec, exec, s[18:19]
	s_and_b64 s[16:17], s[16:17], exec
                                        ; implicit-def: $vgpr26
.LBB9_161:
	s_andn2_saveexec_b64 s[8:9], s[8:9]
	s_cbranch_execz .LBB9_163
; %bb.162:
	v_mov_b32_e32 v2, 0
	global_store_short v2, v26, s[10:11]
                                        ; implicit-def: $vgpr12
.LBB9_163:
	s_or_b64 exec, exec, s[8:9]
	s_and_b64 s[8:9], s[16:17], exec
                                        ; implicit-def: $vgpr10
                                        ; implicit-def: $vgpr11
.LBB9_164:
	s_or_b64 exec, exec, s[14:15]
	s_and_b64 s[4:5], s[4:5], exec
	s_and_b64 s[6:7], s[6:7], exec
	;; [unrolled: 1-line block ×3, first 2 shown]
                                        ; implicit-def: $vgpr18
                                        ; implicit-def: $vgpr13
                                        ; implicit-def: $vgpr14
                                        ; implicit-def: $vgpr24
                                        ; implicit-def: $vgpr27
.LBB9_165:
	s_andn2_saveexec_b64 s[12:13], s[12:13]
	s_cbranch_execz .LBB9_187
; %bb.166:
	v_cmp_lt_i64_e32 vcc, 14, v[0:1]
	s_mov_b64 s[14:15], s[4:5]
	s_and_saveexec_b64 s[16:17], vcc
	s_xor_b64 s[16:17], exec, s[16:17]
	s_cbranch_execz .LBB9_176
; %bb.167:
	v_cmp_lt_i64_e32 vcc, 15, v[0:1]
	s_and_saveexec_b64 s[14:15], vcc
	s_xor_b64 s[14:15], exec, s[14:15]
	s_cbranch_execz .LBB9_173
; %bb.168:
	v_cmp_lt_i64_e32 vcc, 16, v[0:1]
	s_and_saveexec_b64 s[18:19], vcc
	s_xor_b64 s[18:19], exec, s[18:19]
	s_cbranch_execz .LBB9_170
; %bb.169:
	v_mov_b32_e32 v2, 0
	global_store_short v2, v27, s[10:11]
                                        ; implicit-def: $vgpr24
.LBB9_170:
	s_andn2_saveexec_b64 s[18:19], s[18:19]
	s_cbranch_execz .LBB9_172
; %bb.171:
	v_mov_b32_e32 v2, 0
	global_store_short v2, v24, s[10:11]
.LBB9_172:
	s_or_b64 exec, exec, s[18:19]
                                        ; implicit-def: $vgpr10
.LBB9_173:
	s_or_saveexec_b64 s[14:15], s[14:15]
	s_mov_b64 s[18:19], s[4:5]
	s_xor_b64 exec, exec, s[14:15]
; %bb.174:
	s_or_b64 s[18:19], s[4:5], exec
; %bb.175:
	s_or_b64 exec, exec, s[14:15]
	s_andn2_b64 s[14:15], s[4:5], exec
	s_and_b64 s[18:19], s[18:19], exec
	s_or_b64 s[14:15], s[14:15], s[18:19]
                                        ; implicit-def: $vgpr18
                                        ; implicit-def: $vgpr13
                                        ; implicit-def: $vgpr14
.LBB9_176:
	s_or_saveexec_b64 s[16:17], s[16:17]
	s_mov_b64 s[18:19], s[6:7]
                                        ; implicit-def: $vgpr11
	s_xor_b64 exec, exec, s[16:17]
	s_cbranch_execz .LBB9_186
; %bb.177:
	v_cmp_lt_i64_e32 vcc, 12, v[0:1]
	s_mov_b64 s[20:21], s[6:7]
	s_mov_b64 s[22:23], s[14:15]
                                        ; implicit-def: $vgpr10
                                        ; implicit-def: $vgpr11
	s_and_saveexec_b64 s[18:19], vcc
	s_xor_b64 s[18:19], exec, s[18:19]
	s_cbranch_execz .LBB9_183
; %bb.178:
	v_cmp_lt_i64_e32 vcc, 13, v[0:1]
	s_mov_b64 s[20:21], s[14:15]
	s_and_saveexec_b64 s[22:23], vcc
	s_xor_b64 s[22:23], exec, s[22:23]
; %bb.179:
	s_or_b64 s[20:21], s[14:15], exec
                                        ; implicit-def: $vgpr13
; %bb.180:
	s_or_saveexec_b64 s[22:23], s[22:23]
	s_mov_b64 s[24:25], s[6:7]
	s_xor_b64 exec, exec, s[22:23]
; %bb.181:
	s_or_b64 s[24:25], s[6:7], exec
                                        ; implicit-def: $vgpr14
; %bb.182:
	s_or_b64 exec, exec, s[22:23]
	s_andn2_b64 s[22:23], s[14:15], exec
	s_and_b64 s[20:21], s[20:21], exec
	s_or_b64 s[22:23], s[22:23], s[20:21]
	s_andn2_b64 s[20:21], s[6:7], exec
	s_and_b64 s[24:25], s[24:25], exec
	s_or_b64 s[20:21], s[20:21], s[24:25]
	v_mov_b32_e32 v10, v14
	v_mov_b32_e32 v11, v13
                                        ; implicit-def: $vgpr18
.LBB9_183:
	s_andn2_saveexec_b64 s[18:19], s[18:19]
; %bb.184:
	s_or_b64 s[20:21], s[20:21], exec
                                        ; implicit-def: $vgpr10
	v_mov_b32_e32 v11, v18
; %bb.185:
	s_or_b64 exec, exec, s[18:19]
	s_andn2_b64 s[14:15], s[14:15], exec
	s_and_b64 s[18:19], s[22:23], exec
	s_or_b64 s[14:15], s[14:15], s[18:19]
	s_andn2_b64 s[18:19], s[6:7], exec
	s_and_b64 s[20:21], s[20:21], exec
	s_or_b64 s[18:19], s[18:19], s[20:21]
.LBB9_186:
	s_or_b64 exec, exec, s[16:17]
	s_andn2_b64 s[4:5], s[4:5], exec
	s_and_b64 s[14:15], s[14:15], exec
	s_or_b64 s[4:5], s[4:5], s[14:15]
	s_andn2_b64 s[6:7], s[6:7], exec
	s_and_b64 s[14:15], s[18:19], exec
	s_or_b64 s[6:7], s[6:7], s[14:15]
                                        ; implicit-def: $vgpr12
.LBB9_187:
	s_or_b64 exec, exec, s[12:13]
	s_and_b64 s[4:5], s[4:5], exec
	s_and_b64 s[6:7], s[6:7], exec
	;; [unrolled: 1-line block ×3, first 2 shown]
                                        ; implicit-def: $vgpr17
                                        ; implicit-def: $vgpr15
                                        ; implicit-def: $vgpr16
                                        ; implicit-def: $vgpr25
                                        ; implicit-def: $vgpr22
                                        ; implicit-def: $vgpr19
	s_andn2_saveexec_b64 s[2:3], s[2:3]
	s_cbranch_execz .LBB9_138
.LBB9_188:
	v_cmp_lt_i64_e32 vcc, 5, v[0:1]
	s_mov_b64 s[14:15], -1
	s_mov_b64 s[12:13], s[8:9]
	s_mov_b64 s[16:17], s[6:7]
	;; [unrolled: 1-line block ×3, first 2 shown]
                                        ; implicit-def: $vgpr10
                                        ; implicit-def: $vgpr11
                                        ; implicit-def: $vgpr12
	s_and_saveexec_b64 s[0:1], vcc
	s_cbranch_execz .LBB9_204
; %bb.189:
	v_cmp_lt_i64_e32 vcc, 8, v[0:1]
	s_mov_b64 s[12:13], s[8:9]
                                        ; implicit-def: $vgpr12
	s_and_saveexec_b64 s[14:15], vcc
	s_xor_b64 s[14:15], exec, s[14:15]
	s_cbranch_execz .LBB9_199
; %bb.190:
	v_cmp_lt_i64_e32 vcc, 9, v[0:1]
	s_and_saveexec_b64 s[12:13], vcc
	s_xor_b64 s[12:13], exec, s[12:13]
	s_cbranch_execz .LBB9_196
; %bb.191:
	v_cmp_lt_i64_e32 vcc, 10, v[0:1]
	s_and_saveexec_b64 s[16:17], vcc
	s_xor_b64 s[16:17], exec, s[16:17]
; %bb.192:
                                        ; implicit-def: $vgpr22
; %bb.193:
	s_andn2_saveexec_b64 s[16:17], s[16:17]
; %bb.194:
	v_mov_b32_e32 v19, v22
; %bb.195:
	s_or_b64 exec, exec, s[16:17]
                                        ; implicit-def: $vgpr25
.LBB9_196:
	s_andn2_saveexec_b64 s[12:13], s[12:13]
; %bb.197:
	v_mov_b32_e32 v19, v25
; %bb.198:
	s_or_b64 exec, exec, s[12:13]
	s_or_b64 s[12:13], s[8:9], exec
	v_mov_b32_e32 v12, v19
                                        ; implicit-def: $vgpr17
                                        ; implicit-def: $vgpr15
                                        ; implicit-def: $vgpr16
.LBB9_199:
	s_or_saveexec_b64 s[14:15], s[14:15]
	s_mov_b64 s[16:17], s[6:7]
	s_mov_b64 s[20:21], s[4:5]
                                        ; implicit-def: $vgpr10
                                        ; implicit-def: $vgpr11
	s_xor_b64 exec, exec, s[14:15]
	s_cbranch_execz .LBB9_203
; %bb.200:
	v_cmp_lt_i64_e32 vcc, 6, v[0:1]
	s_mov_b64 s[20:21], -1
	s_mov_b64 s[18:19], s[12:13]
	s_mov_b64 s[16:17], s[6:7]
	s_and_saveexec_b64 s[22:23], vcc
; %bb.201:
	v_cmp_lt_i64_e32 vcc, 7, v[0:1]
	s_andn2_b64 s[18:19], s[12:13], exec
	s_and_b64 s[24:25], vcc, exec
	s_xor_b64 s[20:21], exec, -1
	s_or_b64 s[16:17], s[6:7], exec
	s_or_b64 s[18:19], s[18:19], s[24:25]
                                        ; implicit-def: $vgpr17
; %bb.202:
	s_or_b64 exec, exec, s[22:23]
	s_andn2_b64 s[22:23], s[4:5], exec
	s_and_b64 s[20:21], s[20:21], exec
	s_or_b64 s[20:21], s[22:23], s[20:21]
	s_andn2_b64 s[22:23], s[6:7], exec
	s_and_b64 s[16:17], s[16:17], exec
	s_andn2_b64 s[12:13], s[12:13], exec
	s_and_b64 s[18:19], s[18:19], exec
	s_or_b64 s[16:17], s[22:23], s[16:17]
	s_or_b64 s[12:13], s[12:13], s[18:19]
	v_mov_b32_e32 v10, v17
	v_mov_b32_e32 v11, v15
	;; [unrolled: 1-line block ×3, first 2 shown]
.LBB9_203:
	s_or_b64 exec, exec, s[14:15]
	s_andn2_b64 s[18:19], s[4:5], exec
	s_and_b64 s[20:21], s[20:21], exec
	s_or_b64 s[18:19], s[18:19], s[20:21]
	s_andn2_b64 s[20:21], s[6:7], exec
	s_and_b64 s[16:17], s[16:17], exec
	s_or_b64 s[16:17], s[20:21], s[16:17]
	s_andn2_b64 s[20:21], s[8:9], exec
	s_and_b64 s[12:13], s[12:13], exec
	s_xor_b64 s[14:15], exec, -1
	s_or_b64 s[12:13], s[20:21], s[12:13]
.LBB9_204:
	s_or_b64 exec, exec, s[0:1]
	s_and_b64 s[0:1], s[14:15], exec
	s_andn2_b64 s[4:5], s[4:5], exec
	s_and_b64 s[14:15], s[18:19], exec
	s_or_b64 s[4:5], s[4:5], s[14:15]
	s_andn2_b64 s[6:7], s[6:7], exec
	s_and_b64 s[14:15], s[16:17], exec
	s_andn2_b64 s[8:9], s[8:9], exec
	s_and_b64 s[12:13], s[12:13], exec
	s_or_b64 s[6:7], s[6:7], s[14:15]
	s_or_b64 s[8:9], s[8:9], s[12:13]
	s_or_b64 exec, exec, s[2:3]
	s_and_saveexec_b64 s[2:3], s[8:9]
	s_cbranch_execz .LBB9_139
.LBB9_205:
	v_mov_b32_e32 v2, 0
	s_andn2_b64 s[6:7], s[6:7], exec
	global_store_short v2, v12, s[10:11]
                                        ; implicit-def: $vgpr10
                                        ; implicit-def: $vgpr11
	s_or_b64 exec, exec, s[2:3]
	s_and_saveexec_b64 s[2:3], s[6:7]
	s_cbranch_execz .LBB9_140
.LBB9_206:
	v_mov_b32_e32 v2, 0
	global_store_short v2, v11, s[10:11]
                                        ; implicit-def: $vgpr10
	s_or_b64 exec, exec, s[2:3]
	s_and_saveexec_b64 s[2:3], s[4:5]
	s_xor_b64 s[2:3], exec, s[2:3]
	s_cbranch_execz .LBB9_141
.LBB9_207:
	v_mov_b32_e32 v2, 0
	global_store_short v2, v10, s[10:11]
	s_or_b64 exec, exec, s[2:3]
	s_and_b64 exec, exec, s[0:1]
	s_cbranch_execz .LBB9_142
.LBB9_208:
	v_cmp_lt_i64_e32 vcc, 2, v[0:1]
	s_and_saveexec_b64 s[0:1], vcc
	s_xor_b64 s[0:1], exec, s[0:1]
	s_cbranch_execz .LBB9_218
; %bb.209:
	v_cmp_lt_i64_e32 vcc, 3, v[0:1]
	s_and_saveexec_b64 s[2:3], vcc
	s_xor_b64 s[2:3], exec, s[2:3]
	s_cbranch_execz .LBB9_215
; %bb.210:
	;; [unrolled: 5-line block ×3, first 2 shown]
	v_mov_b32_e32 v0, 0
	global_store_short v0, v9, s[10:11]
                                        ; implicit-def: $vgpr6
.LBB9_212:
	s_andn2_saveexec_b64 s[4:5], s[4:5]
	s_cbranch_execz .LBB9_214
; %bb.213:
	v_mov_b32_e32 v0, 0
	global_store_short v0, v6, s[10:11]
.LBB9_214:
	s_or_b64 exec, exec, s[4:5]
                                        ; implicit-def: $vgpr8
.LBB9_215:
	s_andn2_saveexec_b64 s[2:3], s[2:3]
	s_cbranch_execz .LBB9_217
; %bb.216:
	v_mov_b32_e32 v0, 0
	global_store_short v0, v8, s[10:11]
.LBB9_217:
	s_or_b64 exec, exec, s[2:3]
                                        ; implicit-def: $vgpr0_vgpr1
                                        ; implicit-def: $vgpr7
                                        ; implicit-def: $vgpr4
                                        ; implicit-def: $vgpr5
.LBB9_218:
	s_andn2_saveexec_b64 s[0:1], s[0:1]
	s_cbranch_execz .LBB9_142
; %bb.219:
	v_cmp_lt_i64_e32 vcc, 1, v[0:1]
	s_and_saveexec_b64 s[0:1], vcc
	s_xor_b64 s[0:1], exec, s[0:1]
	s_cbranch_execz .LBB9_221
; %bb.220:
	v_mov_b32_e32 v0, 0
	global_store_short v0, v7, s[10:11]
                                        ; implicit-def: $vgpr4
                                        ; implicit-def: $vgpr0_vgpr1
                                        ; implicit-def: $vgpr5
.LBB9_221:
	s_andn2_saveexec_b64 s[0:1], s[0:1]
	s_cbranch_execz .LBB9_142
; %bb.222:
	v_cmp_ne_u64_e32 vcc, 1, v[0:1]
	s_and_saveexec_b64 s[0:1], vcc
	s_xor_b64 s[0:1], exec, s[0:1]
	s_cbranch_execz .LBB9_224
; %bb.223:
	v_mov_b32_e32 v0, 0
	global_store_short v0, v5, s[10:11]
                                        ; implicit-def: $vgpr4
.LBB9_224:
	s_andn2_saveexec_b64 s[0:1], s[0:1]
	s_cbranch_execz .LBB9_142
; %bb.225:
	v_mov_b32_e32 v0, 0
	global_store_short v0, v4, s[10:11]
	s_endpgm
	.section	.rodata,"a",@progbits
	.p2align	6, 0x0
	.amdhsa_kernel _ZN7rocprim6detail20lookback_scan_kernelILNS0_25lookback_scan_determinismE0ELb0ENS0_19wrapped_scan_configINS_14default_configE6__halfEEPS5_S7_N6hipcub3MaxES5_S5_NS0_19lookback_scan_stateIS5_Lb0ELb1EEEEEvT2_T3_mT5_T4_T7_jPT6_SI_bb
		.amdhsa_group_segment_fixed_size 3072
		.amdhsa_private_segment_fixed_size 0
		.amdhsa_kernarg_size 68
		.amdhsa_user_sgpr_count 6
		.amdhsa_user_sgpr_private_segment_buffer 1
		.amdhsa_user_sgpr_dispatch_ptr 0
		.amdhsa_user_sgpr_queue_ptr 0
		.amdhsa_user_sgpr_kernarg_segment_ptr 1
		.amdhsa_user_sgpr_dispatch_id 0
		.amdhsa_user_sgpr_flat_scratch_init 0
		.amdhsa_user_sgpr_kernarg_preload_length 0
		.amdhsa_user_sgpr_kernarg_preload_offset 0
		.amdhsa_user_sgpr_private_segment_size 0
		.amdhsa_uses_dynamic_stack 0
		.amdhsa_system_sgpr_private_segment_wavefront_offset 0
		.amdhsa_system_sgpr_workgroup_id_x 1
		.amdhsa_system_sgpr_workgroup_id_y 0
		.amdhsa_system_sgpr_workgroup_id_z 0
		.amdhsa_system_sgpr_workgroup_info 0
		.amdhsa_system_vgpr_workitem_id 0
		.amdhsa_next_free_vgpr 56
		.amdhsa_next_free_sgpr 29
		.amdhsa_accum_offset 56
		.amdhsa_reserve_vcc 1
		.amdhsa_reserve_flat_scratch 0
		.amdhsa_float_round_mode_32 0
		.amdhsa_float_round_mode_16_64 0
		.amdhsa_float_denorm_mode_32 3
		.amdhsa_float_denorm_mode_16_64 3
		.amdhsa_dx10_clamp 1
		.amdhsa_ieee_mode 1
		.amdhsa_fp16_overflow 0
		.amdhsa_tg_split 0
		.amdhsa_exception_fp_ieee_invalid_op 0
		.amdhsa_exception_fp_denorm_src 0
		.amdhsa_exception_fp_ieee_div_zero 0
		.amdhsa_exception_fp_ieee_overflow 0
		.amdhsa_exception_fp_ieee_underflow 0
		.amdhsa_exception_fp_ieee_inexact 0
		.amdhsa_exception_int_div_zero 0
	.end_amdhsa_kernel
	.section	.text._ZN7rocprim6detail20lookback_scan_kernelILNS0_25lookback_scan_determinismE0ELb0ENS0_19wrapped_scan_configINS_14default_configE6__halfEEPS5_S7_N6hipcub3MaxES5_S5_NS0_19lookback_scan_stateIS5_Lb0ELb1EEEEEvT2_T3_mT5_T4_T7_jPT6_SI_bb,"axG",@progbits,_ZN7rocprim6detail20lookback_scan_kernelILNS0_25lookback_scan_determinismE0ELb0ENS0_19wrapped_scan_configINS_14default_configE6__halfEEPS5_S7_N6hipcub3MaxES5_S5_NS0_19lookback_scan_stateIS5_Lb0ELb1EEEEEvT2_T3_mT5_T4_T7_jPT6_SI_bb,comdat
.Lfunc_end9:
	.size	_ZN7rocprim6detail20lookback_scan_kernelILNS0_25lookback_scan_determinismE0ELb0ENS0_19wrapped_scan_configINS_14default_configE6__halfEEPS5_S7_N6hipcub3MaxES5_S5_NS0_19lookback_scan_stateIS5_Lb0ELb1EEEEEvT2_T3_mT5_T4_T7_jPT6_SI_bb, .Lfunc_end9-_ZN7rocprim6detail20lookback_scan_kernelILNS0_25lookback_scan_determinismE0ELb0ENS0_19wrapped_scan_configINS_14default_configE6__halfEEPS5_S7_N6hipcub3MaxES5_S5_NS0_19lookback_scan_stateIS5_Lb0ELb1EEEEEvT2_T3_mT5_T4_T7_jPT6_SI_bb
                                        ; -- End function
	.section	.AMDGPU.csdata,"",@progbits
; Kernel info:
; codeLenInByte = 8988
; NumSgprs: 33
; NumVgprs: 56
; NumAgprs: 0
; TotalNumVgprs: 56
; ScratchSize: 0
; MemoryBound: 0
; FloatMode: 240
; IeeeMode: 1
; LDSByteSize: 3072 bytes/workgroup (compile time only)
; SGPRBlocks: 4
; VGPRBlocks: 6
; NumSGPRsForWavesPerEU: 33
; NumVGPRsForWavesPerEU: 56
; AccumOffset: 56
; Occupancy: 6
; WaveLimiterHint : 1
; COMPUTE_PGM_RSRC2:SCRATCH_EN: 0
; COMPUTE_PGM_RSRC2:USER_SGPR: 6
; COMPUTE_PGM_RSRC2:TRAP_HANDLER: 0
; COMPUTE_PGM_RSRC2:TGID_X_EN: 1
; COMPUTE_PGM_RSRC2:TGID_Y_EN: 0
; COMPUTE_PGM_RSRC2:TGID_Z_EN: 0
; COMPUTE_PGM_RSRC2:TIDIG_COMP_CNT: 0
; COMPUTE_PGM_RSRC3_GFX90A:ACCUM_OFFSET: 13
; COMPUTE_PGM_RSRC3_GFX90A:TG_SPLIT: 0
	.section	.text._ZN7rocprim6detail16transform_kernelINS0_24wrapped_transform_configINS_14default_configE6__halfEES4_PS4_S6_NS_8identityIS4_EEEEvT1_mT2_T3_,"axG",@progbits,_ZN7rocprim6detail16transform_kernelINS0_24wrapped_transform_configINS_14default_configE6__halfEES4_PS4_S6_NS_8identityIS4_EEEEvT1_mT2_T3_,comdat
	.protected	_ZN7rocprim6detail16transform_kernelINS0_24wrapped_transform_configINS_14default_configE6__halfEES4_PS4_S6_NS_8identityIS4_EEEEvT1_mT2_T3_ ; -- Begin function _ZN7rocprim6detail16transform_kernelINS0_24wrapped_transform_configINS_14default_configE6__halfEES4_PS4_S6_NS_8identityIS4_EEEEvT1_mT2_T3_
	.globl	_ZN7rocprim6detail16transform_kernelINS0_24wrapped_transform_configINS_14default_configE6__halfEES4_PS4_S6_NS_8identityIS4_EEEEvT1_mT2_T3_
	.p2align	8
	.type	_ZN7rocprim6detail16transform_kernelINS0_24wrapped_transform_configINS_14default_configE6__halfEES4_PS4_S6_NS_8identityIS4_EEEEvT1_mT2_T3_,@function
_ZN7rocprim6detail16transform_kernelINS0_24wrapped_transform_configINS_14default_configE6__halfEES4_PS4_S6_NS_8identityIS4_EEEEvT1_mT2_T3_: ; @_ZN7rocprim6detail16transform_kernelINS0_24wrapped_transform_configINS_14default_configE6__halfEES4_PS4_S6_NS_8identityIS4_EEEEvT1_mT2_T3_
; %bb.0:
	s_load_dword s7, s[4:5], 0x20
	s_load_dwordx4 s[0:3], s[4:5], 0x0
	s_load_dwordx2 s[14:15], s[4:5], 0x10
	s_lshl_b32 s4, s6, 9
	s_mov_b32 s5, 0
	s_waitcnt lgkmcnt(0)
	s_add_i32 s7, s7, -1
	s_lshl_b64 s[16:17], s[4:5], 1
	s_add_u32 s0, s0, s16
	s_addc_u32 s1, s1, s17
	v_lshlrev_b32_e32 v4, 1, v0
	v_mov_b32_e32 v1, s1
	v_add_co_u32_e32 v2, vcc, s0, v4
	s_cmp_lg_u32 s6, s7
	v_addc_co_u32_e32 v3, vcc, 0, v1, vcc
	s_cbranch_scc0 .LBB10_2
; %bb.1:
	global_load_ushort v1, v[2:3], off
	global_load_ushort v6, v[2:3], off offset:128
	global_load_ushort v7, v[2:3], off offset:256
	;; [unrolled: 1-line block ×7, first 2 shown]
	s_add_u32 s6, s14, s16
	s_addc_u32 s7, s15, s17
	s_mov_b64 s[18:19], -1
	s_waitcnt vmcnt(7)
	global_store_short v4, v1, s[6:7]
	s_waitcnt vmcnt(7)
	global_store_short v4, v6, s[6:7] offset:128
	s_waitcnt vmcnt(7)
	global_store_short v4, v7, s[6:7] offset:256
	;; [unrolled: 2-line block ×6, first 2 shown]
	s_cbranch_execz .LBB10_3
	s_branch .LBB10_28
.LBB10_2:
	s_mov_b64 s[18:19], 0
                                        ; implicit-def: $vgpr5
.LBB10_3:
	s_sub_i32 s18, s2, s4
	v_cmp_gt_u32_e32 vcc, s18, v0
                                        ; implicit-def: $vgpr6
	s_and_saveexec_b64 s[0:1], vcc
	s_cbranch_execz .LBB10_5
; %bb.4:
	global_load_ushort v6, v[2:3], off
.LBB10_5:
	s_or_b64 exec, exec, s[0:1]
	v_or_b32_e32 v1, 64, v0
	v_cmp_gt_u32_e64 s[0:1], s18, v1
                                        ; implicit-def: $vgpr7
	s_and_saveexec_b64 s[2:3], s[0:1]
	s_cbranch_execz .LBB10_7
; %bb.6:
	global_load_ushort v7, v[2:3], off offset:128
.LBB10_7:
	s_or_b64 exec, exec, s[2:3]
	v_or_b32_e32 v1, 0x80, v0
	v_cmp_gt_u32_e64 s[2:3], s18, v1
                                        ; implicit-def: $vgpr8
	s_and_saveexec_b64 s[4:5], s[2:3]
	s_cbranch_execz .LBB10_9
; %bb.8:
	global_load_ushort v8, v[2:3], off offset:256
.LBB10_9:
	s_or_b64 exec, exec, s[4:5]
	v_or_b32_e32 v1, 0xc0, v0
	v_cmp_gt_u32_e64 s[4:5], s18, v1
                                        ; implicit-def: $vgpr9
	s_and_saveexec_b64 s[6:7], s[4:5]
	s_cbranch_execz .LBB10_11
; %bb.10:
	global_load_ushort v9, v[2:3], off offset:384
.LBB10_11:
	s_or_b64 exec, exec, s[6:7]
	v_or_b32_e32 v1, 0x100, v0
	v_cmp_gt_u32_e64 s[6:7], s18, v1
                                        ; implicit-def: $vgpr10
	s_and_saveexec_b64 s[8:9], s[6:7]
	s_cbranch_execz .LBB10_13
; %bb.12:
	global_load_ushort v10, v[2:3], off offset:512
.LBB10_13:
	s_or_b64 exec, exec, s[8:9]
	v_or_b32_e32 v1, 0x140, v0
	v_cmp_gt_u32_e64 s[8:9], s18, v1
                                        ; implicit-def: $vgpr11
	s_and_saveexec_b64 s[10:11], s[8:9]
	s_cbranch_execz .LBB10_15
; %bb.14:
	global_load_ushort v11, v[2:3], off offset:640
.LBB10_15:
	s_or_b64 exec, exec, s[10:11]
	v_or_b32_e32 v1, 0x180, v0
	v_cmp_gt_u32_e64 s[10:11], s18, v1
                                        ; implicit-def: $vgpr12
	s_and_saveexec_b64 s[12:13], s[10:11]
	s_cbranch_execz .LBB10_17
; %bb.16:
	global_load_ushort v12, v[2:3], off offset:768
.LBB10_17:
	s_or_b64 exec, exec, s[12:13]
	v_or_b32_e32 v0, 0x1c0, v0
	v_cmp_gt_u32_e64 s[18:19], s18, v0
                                        ; implicit-def: $vgpr5
	s_and_saveexec_b64 s[12:13], s[18:19]
	s_cbranch_execz .LBB10_19
; %bb.18:
	global_load_ushort v5, v[2:3], off offset:896
.LBB10_19:
	s_or_b64 exec, exec, s[12:13]
	s_add_u32 s12, s14, s16
	s_addc_u32 s13, s15, s17
	v_mov_b32_e32 v1, s13
	v_add_co_u32_e64 v0, s[12:13], s12, v4
	v_addc_co_u32_e64 v1, s[12:13], 0, v1, s[12:13]
	s_and_saveexec_b64 s[12:13], vcc
	s_xor_b64 s[12:13], exec, s[12:13]
	s_cbranch_execnz .LBB10_31
; %bb.20:
	s_or_b64 exec, exec, s[12:13]
	s_and_saveexec_b64 s[12:13], s[0:1]
	s_cbranch_execnz .LBB10_32
.LBB10_21:
	s_or_b64 exec, exec, s[12:13]
	s_and_saveexec_b64 s[0:1], s[2:3]
	s_cbranch_execnz .LBB10_33
.LBB10_22:
	s_or_b64 exec, exec, s[0:1]
	s_and_saveexec_b64 s[0:1], s[4:5]
	s_cbranch_execnz .LBB10_34
.LBB10_23:
	s_or_b64 exec, exec, s[0:1]
	s_and_saveexec_b64 s[0:1], s[6:7]
	s_cbranch_execnz .LBB10_35
.LBB10_24:
	s_or_b64 exec, exec, s[0:1]
	s_and_saveexec_b64 s[0:1], s[8:9]
	s_cbranch_execnz .LBB10_36
.LBB10_25:
	s_or_b64 exec, exec, s[0:1]
	s_and_saveexec_b64 s[0:1], s[10:11]
	s_cbranch_execz .LBB10_27
.LBB10_26:
	s_waitcnt vmcnt(0)
	global_store_short v[0:1], v12, off offset:768
.LBB10_27:
	s_or_b64 exec, exec, s[0:1]
.LBB10_28:
	s_and_saveexec_b64 s[0:1], s[18:19]
	s_cbranch_execnz .LBB10_30
; %bb.29:
	s_endpgm
.LBB10_30:
	s_add_u32 s0, s14, s16
	s_addc_u32 s1, s15, s17
	s_waitcnt vmcnt(0)
	global_store_short v4, v5, s[0:1] offset:896
	s_endpgm
.LBB10_31:
	s_waitcnt vmcnt(0)
	global_store_short v[0:1], v6, off
	s_or_b64 exec, exec, s[12:13]
	s_and_saveexec_b64 s[12:13], s[0:1]
	s_cbranch_execz .LBB10_21
.LBB10_32:
	s_waitcnt vmcnt(0)
	global_store_short v[0:1], v7, off offset:128
	s_or_b64 exec, exec, s[12:13]
	s_and_saveexec_b64 s[0:1], s[2:3]
	s_cbranch_execz .LBB10_22
.LBB10_33:
	s_waitcnt vmcnt(0)
	global_store_short v[0:1], v8, off offset:256
	s_or_b64 exec, exec, s[0:1]
	s_and_saveexec_b64 s[0:1], s[4:5]
	s_cbranch_execz .LBB10_23
.LBB10_34:
	s_waitcnt vmcnt(0)
	global_store_short v[0:1], v9, off offset:384
	s_or_b64 exec, exec, s[0:1]
	s_and_saveexec_b64 s[0:1], s[6:7]
	s_cbranch_execz .LBB10_24
.LBB10_35:
	s_waitcnt vmcnt(0)
	global_store_short v[0:1], v10, off offset:512
	s_or_b64 exec, exec, s[0:1]
	s_and_saveexec_b64 s[0:1], s[8:9]
	s_cbranch_execz .LBB10_25
.LBB10_36:
	s_waitcnt vmcnt(0)
	global_store_short v[0:1], v11, off offset:640
	s_or_b64 exec, exec, s[0:1]
	s_and_saveexec_b64 s[0:1], s[10:11]
	s_cbranch_execnz .LBB10_26
	s_branch .LBB10_27
	.section	.rodata,"a",@progbits
	.p2align	6, 0x0
	.amdhsa_kernel _ZN7rocprim6detail16transform_kernelINS0_24wrapped_transform_configINS_14default_configE6__halfEES4_PS4_S6_NS_8identityIS4_EEEEvT1_mT2_T3_
		.amdhsa_group_segment_fixed_size 0
		.amdhsa_private_segment_fixed_size 0
		.amdhsa_kernarg_size 288
		.amdhsa_user_sgpr_count 6
		.amdhsa_user_sgpr_private_segment_buffer 1
		.amdhsa_user_sgpr_dispatch_ptr 0
		.amdhsa_user_sgpr_queue_ptr 0
		.amdhsa_user_sgpr_kernarg_segment_ptr 1
		.amdhsa_user_sgpr_dispatch_id 0
		.amdhsa_user_sgpr_flat_scratch_init 0
		.amdhsa_user_sgpr_kernarg_preload_length 0
		.amdhsa_user_sgpr_kernarg_preload_offset 0
		.amdhsa_user_sgpr_private_segment_size 0
		.amdhsa_uses_dynamic_stack 0
		.amdhsa_system_sgpr_private_segment_wavefront_offset 0
		.amdhsa_system_sgpr_workgroup_id_x 1
		.amdhsa_system_sgpr_workgroup_id_y 0
		.amdhsa_system_sgpr_workgroup_id_z 0
		.amdhsa_system_sgpr_workgroup_info 0
		.amdhsa_system_vgpr_workitem_id 0
		.amdhsa_next_free_vgpr 13
		.amdhsa_next_free_sgpr 20
		.amdhsa_accum_offset 16
		.amdhsa_reserve_vcc 1
		.amdhsa_reserve_flat_scratch 0
		.amdhsa_float_round_mode_32 0
		.amdhsa_float_round_mode_16_64 0
		.amdhsa_float_denorm_mode_32 3
		.amdhsa_float_denorm_mode_16_64 3
		.amdhsa_dx10_clamp 1
		.amdhsa_ieee_mode 1
		.amdhsa_fp16_overflow 0
		.amdhsa_tg_split 0
		.amdhsa_exception_fp_ieee_invalid_op 0
		.amdhsa_exception_fp_denorm_src 0
		.amdhsa_exception_fp_ieee_div_zero 0
		.amdhsa_exception_fp_ieee_overflow 0
		.amdhsa_exception_fp_ieee_underflow 0
		.amdhsa_exception_fp_ieee_inexact 0
		.amdhsa_exception_int_div_zero 0
	.end_amdhsa_kernel
	.section	.text._ZN7rocprim6detail16transform_kernelINS0_24wrapped_transform_configINS_14default_configE6__halfEES4_PS4_S6_NS_8identityIS4_EEEEvT1_mT2_T3_,"axG",@progbits,_ZN7rocprim6detail16transform_kernelINS0_24wrapped_transform_configINS_14default_configE6__halfEES4_PS4_S6_NS_8identityIS4_EEEEvT1_mT2_T3_,comdat
.Lfunc_end10:
	.size	_ZN7rocprim6detail16transform_kernelINS0_24wrapped_transform_configINS_14default_configE6__halfEES4_PS4_S6_NS_8identityIS4_EEEEvT1_mT2_T3_, .Lfunc_end10-_ZN7rocprim6detail16transform_kernelINS0_24wrapped_transform_configINS_14default_configE6__halfEES4_PS4_S6_NS_8identityIS4_EEEEvT1_mT2_T3_
                                        ; -- End function
	.section	.AMDGPU.csdata,"",@progbits
; Kernel info:
; codeLenInByte = 836
; NumSgprs: 24
; NumVgprs: 13
; NumAgprs: 0
; TotalNumVgprs: 13
; ScratchSize: 0
; MemoryBound: 0
; FloatMode: 240
; IeeeMode: 1
; LDSByteSize: 0 bytes/workgroup (compile time only)
; SGPRBlocks: 2
; VGPRBlocks: 1
; NumSGPRsForWavesPerEU: 24
; NumVGPRsForWavesPerEU: 13
; AccumOffset: 16
; Occupancy: 8
; WaveLimiterHint : 1
; COMPUTE_PGM_RSRC2:SCRATCH_EN: 0
; COMPUTE_PGM_RSRC2:USER_SGPR: 6
; COMPUTE_PGM_RSRC2:TRAP_HANDLER: 0
; COMPUTE_PGM_RSRC2:TGID_X_EN: 1
; COMPUTE_PGM_RSRC2:TGID_Y_EN: 0
; COMPUTE_PGM_RSRC2:TGID_Z_EN: 0
; COMPUTE_PGM_RSRC2:TIDIG_COMP_CNT: 0
; COMPUTE_PGM_RSRC3_GFX90A:ACCUM_OFFSET: 3
; COMPUTE_PGM_RSRC3_GFX90A:TG_SPLIT: 0
	.section	.text._ZN7rocprim6detail18single_scan_kernelILb0ENS0_19wrapped_scan_configINS_14default_configE6__halfEEPS4_S6_N6hipcub3MaxES4_S4_EEvT1_mT4_T2_T3_,"axG",@progbits,_ZN7rocprim6detail18single_scan_kernelILb0ENS0_19wrapped_scan_configINS_14default_configE6__halfEEPS4_S6_N6hipcub3MaxES4_S4_EEvT1_mT4_T2_T3_,comdat
	.protected	_ZN7rocprim6detail18single_scan_kernelILb0ENS0_19wrapped_scan_configINS_14default_configE6__halfEEPS4_S6_N6hipcub3MaxES4_S4_EEvT1_mT4_T2_T3_ ; -- Begin function _ZN7rocprim6detail18single_scan_kernelILb0ENS0_19wrapped_scan_configINS_14default_configE6__halfEEPS4_S6_N6hipcub3MaxES4_S4_EEvT1_mT4_T2_T3_
	.globl	_ZN7rocprim6detail18single_scan_kernelILb0ENS0_19wrapped_scan_configINS_14default_configE6__halfEEPS4_S6_N6hipcub3MaxES4_S4_EEvT1_mT4_T2_T3_
	.p2align	8
	.type	_ZN7rocprim6detail18single_scan_kernelILb0ENS0_19wrapped_scan_configINS_14default_configE6__halfEEPS4_S6_N6hipcub3MaxES4_S4_EEvT1_mT4_T2_T3_,@function
_ZN7rocprim6detail18single_scan_kernelILb0ENS0_19wrapped_scan_configINS_14default_configE6__halfEEPS4_S6_N6hipcub3MaxES4_S4_EEvT1_mT4_T2_T3_: ; @_ZN7rocprim6detail18single_scan_kernelILb0ENS0_19wrapped_scan_configINS_14default_configE6__halfEEPS4_S6_N6hipcub3MaxES4_S4_EEvT1_mT4_T2_T3_
; %bb.0:
	s_load_dwordx4 s[48:51], s[4:5], 0x0
	v_mov_b32_e32 v1, 0
	v_lshlrev_b32_e32 v14, 1, v0
	s_waitcnt lgkmcnt(0)
	global_load_ushort v1, v1, s[48:49]
	v_mov_b32_e32 v3, s49
	v_add_co_u32_e32 v2, vcc, s48, v14
	v_addc_co_u32_e32 v3, vcc, 0, v3, vcc
	v_cmp_gt_u32_e32 vcc, s50, v0
	s_waitcnt vmcnt(0)
	v_mov_b32_e32 v4, v1
	s_and_saveexec_b64 s[0:1], vcc
	s_cbranch_execz .LBB11_2
; %bb.1:
	global_load_ushort v4, v[2:3], off
.LBB11_2:
	s_or_b64 exec, exec, s[0:1]
	v_or_b32_e32 v5, 64, v0
	v_cmp_gt_u32_e64 s[0:1], s50, v5
	v_mov_b32_e32 v5, v1
	s_and_saveexec_b64 s[2:3], s[0:1]
	s_cbranch_execz .LBB11_4
; %bb.3:
	global_load_ushort v5, v[2:3], off offset:128
.LBB11_4:
	s_or_b64 exec, exec, s[2:3]
	v_or_b32_e32 v6, 0x80, v0
	v_cmp_gt_u32_e64 s[2:3], s50, v6
	v_mov_b32_e32 v6, v1
	s_and_saveexec_b64 s[6:7], s[2:3]
	s_cbranch_execz .LBB11_6
; %bb.5:
	global_load_ushort v6, v[2:3], off offset:256
.LBB11_6:
	s_or_b64 exec, exec, s[6:7]
	v_or_b32_e32 v7, 0xc0, v0
	v_cmp_gt_u32_e64 s[44:45], s50, v7
	v_mov_b32_e32 v7, v1
	s_and_saveexec_b64 s[6:7], s[44:45]
	s_cbranch_execz .LBB11_8
; %bb.7:
	global_load_ushort v7, v[2:3], off offset:384
.LBB11_8:
	s_or_b64 exec, exec, s[6:7]
	v_or_b32_e32 v8, 0x100, v0
	v_cmp_gt_u32_e64 s[6:7], s50, v8
	v_mov_b32_e32 v8, v1
	s_and_saveexec_b64 s[8:9], s[6:7]
	s_cbranch_execz .LBB11_10
; %bb.9:
	global_load_ushort v8, v[2:3], off offset:512
.LBB11_10:
	s_or_b64 exec, exec, s[8:9]
	v_or_b32_e32 v9, 0x140, v0
	v_cmp_gt_u32_e64 s[8:9], s50, v9
	v_mov_b32_e32 v9, v1
	s_and_saveexec_b64 s[10:11], s[8:9]
	s_cbranch_execz .LBB11_12
; %bb.11:
	global_load_ushort v9, v[2:3], off offset:640
.LBB11_12:
	s_or_b64 exec, exec, s[10:11]
	v_or_b32_e32 v10, 0x180, v0
	v_cmp_gt_u32_e64 s[10:11], s50, v10
	v_mov_b32_e32 v10, v1
	s_and_saveexec_b64 s[12:13], s[10:11]
	s_cbranch_execz .LBB11_14
; %bb.13:
	global_load_ushort v10, v[2:3], off offset:768
.LBB11_14:
	s_or_b64 exec, exec, s[12:13]
	v_or_b32_e32 v11, 0x1c0, v0
	v_cmp_gt_u32_e64 s[12:13], s50, v11
	v_mov_b32_e32 v11, v1
	s_and_saveexec_b64 s[14:15], s[12:13]
	s_cbranch_execz .LBB11_16
; %bb.15:
	global_load_ushort v11, v[2:3], off offset:896
.LBB11_16:
	s_or_b64 exec, exec, s[14:15]
	v_or_b32_e32 v12, 0x200, v0
	v_cmp_gt_u32_e64 s[14:15], s50, v12
	v_mov_b32_e32 v12, v1
	s_and_saveexec_b64 s[16:17], s[14:15]
	s_cbranch_execz .LBB11_18
; %bb.17:
	global_load_ushort v12, v[2:3], off offset:1024
.LBB11_18:
	s_or_b64 exec, exec, s[16:17]
	v_or_b32_e32 v13, 0x240, v0
	v_cmp_gt_u32_e64 s[16:17], s50, v13
	v_mov_b32_e32 v13, v1
	s_and_saveexec_b64 s[18:19], s[16:17]
	s_cbranch_execz .LBB11_20
; %bb.19:
	global_load_ushort v13, v[2:3], off offset:1152
.LBB11_20:
	s_or_b64 exec, exec, s[18:19]
	v_or_b32_e32 v15, 0x280, v0
	v_cmp_gt_u32_e64 s[18:19], s50, v15
	v_mov_b32_e32 v15, v1
	s_and_saveexec_b64 s[20:21], s[18:19]
	s_cbranch_execz .LBB11_22
; %bb.21:
	global_load_ushort v15, v[2:3], off offset:1280
.LBB11_22:
	s_or_b64 exec, exec, s[20:21]
	v_or_b32_e32 v16, 0x2c0, v0
	v_cmp_gt_u32_e64 s[20:21], s50, v16
	v_mov_b32_e32 v16, v1
	s_and_saveexec_b64 s[22:23], s[20:21]
	s_cbranch_execz .LBB11_24
; %bb.23:
	global_load_ushort v16, v[2:3], off offset:1408
.LBB11_24:
	s_or_b64 exec, exec, s[22:23]
	v_or_b32_e32 v17, 0x300, v0
	v_cmp_gt_u32_e64 s[22:23], s50, v17
	v_mov_b32_e32 v17, v1
	s_and_saveexec_b64 s[24:25], s[22:23]
	s_cbranch_execz .LBB11_26
; %bb.25:
	global_load_ushort v17, v[2:3], off offset:1536
.LBB11_26:
	s_or_b64 exec, exec, s[24:25]
	v_or_b32_e32 v18, 0x340, v0
	v_cmp_gt_u32_e64 s[24:25], s50, v18
	v_mov_b32_e32 v18, v1
	s_and_saveexec_b64 s[26:27], s[24:25]
	s_cbranch_execz .LBB11_28
; %bb.27:
	global_load_ushort v18, v[2:3], off offset:1664
.LBB11_28:
	s_or_b64 exec, exec, s[26:27]
	v_or_b32_e32 v19, 0x380, v0
	v_cmp_gt_u32_e64 s[26:27], s50, v19
	v_mov_b32_e32 v19, v1
	s_and_saveexec_b64 s[28:29], s[26:27]
	s_cbranch_execz .LBB11_30
; %bb.29:
	global_load_ushort v19, v[2:3], off offset:1792
.LBB11_30:
	s_or_b64 exec, exec, s[28:29]
	v_or_b32_e32 v20, 0x3c0, v0
	v_cmp_gt_u32_e64 s[28:29], s50, v20
	v_mov_b32_e32 v20, v1
	s_and_saveexec_b64 s[30:31], s[28:29]
	s_cbranch_execz .LBB11_32
; %bb.31:
	global_load_ushort v20, v[2:3], off offset:1920
.LBB11_32:
	s_or_b64 exec, exec, s[30:31]
	v_or_b32_e32 v21, 0x400, v0
	v_cmp_gt_u32_e64 s[30:31], s50, v21
	v_mov_b32_e32 v21, v1
	s_and_saveexec_b64 s[34:35], s[30:31]
	s_cbranch_execz .LBB11_34
; %bb.33:
	global_load_ushort v21, v[2:3], off offset:2048
.LBB11_34:
	s_or_b64 exec, exec, s[34:35]
	v_or_b32_e32 v22, 0x440, v0
	v_cmp_gt_u32_e64 s[34:35], s50, v22
	v_mov_b32_e32 v22, v1
	s_and_saveexec_b64 s[36:37], s[34:35]
	s_cbranch_execz .LBB11_36
; %bb.35:
	global_load_ushort v22, v[2:3], off offset:2176
.LBB11_36:
	s_or_b64 exec, exec, s[36:37]
	v_or_b32_e32 v23, 0x480, v0
	v_cmp_gt_u32_e64 s[36:37], s50, v23
	v_mov_b32_e32 v23, v1
	s_and_saveexec_b64 s[38:39], s[36:37]
	s_cbranch_execz .LBB11_38
; %bb.37:
	global_load_ushort v23, v[2:3], off offset:2304
.LBB11_38:
	s_or_b64 exec, exec, s[38:39]
	v_or_b32_e32 v24, 0x4c0, v0
	v_cmp_gt_u32_e64 s[38:39], s50, v24
	v_mov_b32_e32 v24, v1
	s_and_saveexec_b64 s[40:41], s[38:39]
	s_cbranch_execz .LBB11_40
; %bb.39:
	global_load_ushort v24, v[2:3], off offset:2432
.LBB11_40:
	s_or_b64 exec, exec, s[40:41]
	v_or_b32_e32 v25, 0x500, v0
	v_cmp_gt_u32_e64 s[40:41], s50, v25
	v_mov_b32_e32 v25, v1
	s_and_saveexec_b64 s[42:43], s[40:41]
	s_cbranch_execz .LBB11_42
; %bb.41:
	global_load_ushort v25, v[2:3], off offset:2560
.LBB11_42:
	s_or_b64 exec, exec, s[42:43]
	v_or_b32_e32 v26, 0x540, v0
	v_cmp_gt_u32_e64 s[42:43], s50, v26
	v_mov_b32_e32 v26, v1
	s_and_saveexec_b64 s[46:47], s[42:43]
	s_cbranch_execz .LBB11_44
; %bb.43:
	global_load_ushort v26, v[2:3], off offset:2688
.LBB11_44:
	s_or_b64 exec, exec, s[46:47]
	v_or_b32_e32 v27, 0x580, v0
	v_cmp_gt_u32_e64 s[46:47], s50, v27
	v_mov_b32_e32 v27, v1
	s_and_saveexec_b64 s[48:49], s[46:47]
	s_cbranch_execz .LBB11_46
; %bb.45:
	global_load_ushort v27, v[2:3], off offset:2816
.LBB11_46:
	s_or_b64 exec, exec, s[48:49]
	v_or_b32_e32 v28, 0x5c0, v0
	v_cmp_gt_u32_e64 s[48:49], s50, v28
	s_and_saveexec_b64 s[50:51], s[48:49]
	s_cbranch_execz .LBB11_48
; %bb.47:
	global_load_ushort v1, v[2:3], off offset:2944
.LBB11_48:
	s_or_b64 exec, exec, s[50:51]
	s_waitcnt vmcnt(0)
	ds_write_b16 v14, v4
	ds_write_b16 v14, v5 offset:128
	ds_write_b16 v14, v6 offset:256
	;; [unrolled: 1-line block ×23, first 2 shown]
	v_mad_u32_u24 v1, v0, 46, v14
	s_waitcnt lgkmcnt(0)
	; wave barrier
	s_waitcnt lgkmcnt(0)
	ds_read_b128 v[10:13], v1
	ds_read_b128 v[6:9], v1 offset:16
	ds_read_b128 v[2:5], v1 offset:32
	s_waitcnt lgkmcnt(0)
	; wave barrier
	s_waitcnt lgkmcnt(0)
	v_lshrrev_b32_e32 v26, 16, v10
	v_cmp_lt_f16_e64 s[50:51], v10, v26
	v_cndmask_b32_e64 v27, v10, v26, s[50:51]
	v_cmp_lt_f16_e64 s[50:51], v27, v11
	v_lshrrev_b32_e32 v25, 16, v11
	v_cndmask_b32_e64 v27, v27, v11, s[50:51]
	v_cmp_lt_f16_e64 s[50:51], v27, v25
	v_cndmask_b32_e64 v27, v27, v25, s[50:51]
	v_cmp_lt_f16_e64 s[50:51], v27, v12
	v_lshrrev_b32_e32 v24, 16, v12
	v_cndmask_b32_e64 v27, v27, v12, s[50:51]
	;; [unrolled: 5-line block ×11, first 2 shown]
	v_cmp_lt_f16_e64 s[50:51], v27, v15
	v_cndmask_b32_e64 v28, v27, v15, s[50:51]
	v_mbcnt_lo_u32_b32 v27, -1, 0
	v_mbcnt_hi_u32_b32 v27, -1, v27
	v_and_b32_e32 v30, 0xffff, v28
	v_and_b32_e32 v29, 15, v27
	v_cmp_eq_u32_e64 s[50:51], 0, v29
	v_mov_b32_dpp v30, v30 row_shr:1 row_mask:0xf bank_mask:0xf
	v_cmp_gt_f16_e64 s[52:53], v28, v30
	s_or_b64 s[50:51], s[50:51], s[52:53]
	v_cndmask_b32_e64 v28, v30, v28, s[50:51]
	v_and_b32_e32 v30, 0xffff, v28
	s_nop 1
	v_mov_b32_dpp v30, v30 row_shr:2 row_mask:0xf bank_mask:0xf
	v_cmp_gt_f16_e64 s[50:51], v28, v30
	v_cndmask_b32_e64 v30, v30, v28, s[50:51]
	v_cmp_lt_u32_e64 s[50:51], 1, v29
	v_cndmask_b32_e64 v28, v28, v30, s[50:51]
	v_and_b32_e32 v30, 0xffff, v28
	s_nop 1
	v_mov_b32_dpp v30, v30 row_shr:4 row_mask:0xf bank_mask:0xf
	v_cmp_gt_f16_e64 s[50:51], v28, v30
	v_cndmask_b32_e64 v30, v30, v28, s[50:51]
	v_cmp_lt_u32_e64 s[50:51], 3, v29
	;; [unrolled: 7-line block ×3, first 2 shown]
	v_cndmask_b32_e64 v28, v28, v30, s[50:51]
	v_and_b32_e32 v29, 0xffff, v28
	v_and_b32_e32 v30, 16, v27
	v_cmp_eq_u32_e64 s[50:51], 0, v30
	v_mov_b32_dpp v29, v29 row_bcast:15 row_mask:0xf bank_mask:0xf
	v_cmp_gt_f16_e64 s[52:53], v28, v29
	s_or_b64 s[50:51], s[50:51], s[52:53]
	v_cndmask_b32_e64 v28, v29, v28, s[50:51]
	v_and_b32_e32 v29, 0xffff, v28
	s_nop 1
	v_mov_b32_dpp v29, v29 row_bcast:31 row_mask:0xf bank_mask:0xf
	v_cmp_gt_f16_e64 s[50:51], v28, v29
	v_cndmask_b32_e64 v29, v29, v28, s[50:51]
	v_cmp_lt_u32_e64 s[50:51], 31, v27
	v_cndmask_b32_e64 v28, v28, v29, s[50:51]
	v_cmp_eq_u32_e64 s[50:51], 63, v0
	s_and_saveexec_b64 s[52:53], s[50:51]
	s_cbranch_execz .LBB11_50
; %bb.49:
	v_mov_b32_e32 v29, 0
	ds_write_b16 v29, v28
.LBB11_50:
	s_or_b64 exec, exec, s[52:53]
	v_add_u32_e32 v29, -1, v27
	v_and_b32_e32 v30, 64, v27
	v_cmp_lt_i32_e64 s[50:51], v29, v30
	v_cndmask_b32_e64 v27, v29, v27, s[50:51]
	v_and_b32_e32 v28, 0xffff, v28
	v_lshlrev_b32_e32 v27, 2, v27
	ds_bpermute_b32 v27, v27, v28
	s_load_dwordx2 s[52:53], s[4:5], 0x18
	v_cmp_eq_u32_e64 s[4:5], 0, v0
	s_waitcnt lgkmcnt(0)
	; wave barrier
	s_waitcnt lgkmcnt(0)
	v_cmp_gt_f16_e64 s[50:51], v10, v27
	s_or_b64 s[4:5], s[4:5], s[50:51]
	v_cndmask_b32_e64 v10, v27, v10, s[4:5]
	v_cmp_lt_f16_e64 s[4:5], v10, v26
	v_cndmask_b32_e64 v26, v10, v26, s[4:5]
	v_cmp_lt_f16_e64 s[4:5], v26, v11
	;; [unrolled: 2-line block ×23, first 2 shown]
	v_cndmask_b32_e64 v15, v30, v15, s[4:5]
	s_mov_b32 s4, 0x5040100
	v_perm_b32 v5, v23, v13, s4
	v_perm_b32 v4, v24, v12, s4
	;; [unrolled: 1-line block ×4, first 2 shown]
	s_waitcnt lgkmcnt(0)
	; wave barrier
	ds_write_b128 v1, v[2:5]
	v_perm_b32 v5, v19, v9, s4
	v_perm_b32 v4, v20, v8, s4
	;; [unrolled: 1-line block ×4, first 2 shown]
	ds_write_b128 v1, v[2:5] offset:16
	v_perm_b32 v5, v15, v30, s4
	v_perm_b32 v4, v16, v29, s4
	;; [unrolled: 1-line block ×4, first 2 shown]
	s_movk_i32 s4, 0xffd2
	v_mad_i32_i24 v0, v0, s4, v1
	ds_write_b128 v1, v[2:5] offset:32
	s_waitcnt lgkmcnt(0)
	; wave barrier
	s_waitcnt lgkmcnt(0)
	ds_read_u16 v24, v0 offset:256
	ds_read_u16 v23, v0 offset:384
	;; [unrolled: 1-line block ×23, first 2 shown]
	v_mov_b32_e32 v1, s53
	v_add_co_u32_e64 v0, s[4:5], s52, v14
	v_addc_co_u32_e64 v1, s[4:5], 0, v1, s[4:5]
	s_and_saveexec_b64 s[4:5], vcc
	s_cbranch_execnz .LBB11_75
; %bb.51:
	s_or_b64 exec, exec, s[4:5]
	s_and_saveexec_b64 s[4:5], s[0:1]
	s_cbranch_execnz .LBB11_76
.LBB11_52:
	s_or_b64 exec, exec, s[4:5]
	s_and_saveexec_b64 s[0:1], s[2:3]
	s_cbranch_execnz .LBB11_77
.LBB11_53:
	s_or_b64 exec, exec, s[0:1]
	s_and_saveexec_b64 s[0:1], s[44:45]
	s_cbranch_execnz .LBB11_78
.LBB11_54:
	s_or_b64 exec, exec, s[0:1]
	s_and_saveexec_b64 s[0:1], s[6:7]
	s_cbranch_execnz .LBB11_79
.LBB11_55:
	s_or_b64 exec, exec, s[0:1]
	s_and_saveexec_b64 s[0:1], s[8:9]
	s_cbranch_execnz .LBB11_80
.LBB11_56:
	s_or_b64 exec, exec, s[0:1]
	s_and_saveexec_b64 s[0:1], s[10:11]
	s_cbranch_execnz .LBB11_81
.LBB11_57:
	s_or_b64 exec, exec, s[0:1]
	s_and_saveexec_b64 s[0:1], s[12:13]
	s_cbranch_execnz .LBB11_82
.LBB11_58:
	s_or_b64 exec, exec, s[0:1]
	s_and_saveexec_b64 s[0:1], s[14:15]
	s_cbranch_execnz .LBB11_83
.LBB11_59:
	s_or_b64 exec, exec, s[0:1]
	s_and_saveexec_b64 s[0:1], s[16:17]
	s_cbranch_execnz .LBB11_84
.LBB11_60:
	s_or_b64 exec, exec, s[0:1]
	s_and_saveexec_b64 s[0:1], s[18:19]
	s_cbranch_execnz .LBB11_85
.LBB11_61:
	s_or_b64 exec, exec, s[0:1]
	s_and_saveexec_b64 s[0:1], s[20:21]
	s_cbranch_execnz .LBB11_86
.LBB11_62:
	s_or_b64 exec, exec, s[0:1]
	s_and_saveexec_b64 s[0:1], s[22:23]
	s_cbranch_execnz .LBB11_87
.LBB11_63:
	s_or_b64 exec, exec, s[0:1]
	s_and_saveexec_b64 s[0:1], s[24:25]
	s_cbranch_execnz .LBB11_88
.LBB11_64:
	s_or_b64 exec, exec, s[0:1]
	s_and_saveexec_b64 s[0:1], s[26:27]
	s_cbranch_execnz .LBB11_89
.LBB11_65:
	s_or_b64 exec, exec, s[0:1]
	s_and_saveexec_b64 s[0:1], s[28:29]
	s_cbranch_execnz .LBB11_90
.LBB11_66:
	s_or_b64 exec, exec, s[0:1]
	s_and_saveexec_b64 s[0:1], s[30:31]
	s_cbranch_execnz .LBB11_91
.LBB11_67:
	s_or_b64 exec, exec, s[0:1]
	s_and_saveexec_b64 s[0:1], s[34:35]
	s_cbranch_execnz .LBB11_92
.LBB11_68:
	s_or_b64 exec, exec, s[0:1]
	s_and_saveexec_b64 s[0:1], s[36:37]
	s_cbranch_execnz .LBB11_93
.LBB11_69:
	s_or_b64 exec, exec, s[0:1]
	s_and_saveexec_b64 s[0:1], s[38:39]
	s_cbranch_execnz .LBB11_94
.LBB11_70:
	s_or_b64 exec, exec, s[0:1]
	s_and_saveexec_b64 s[0:1], s[40:41]
	s_cbranch_execnz .LBB11_95
.LBB11_71:
	s_or_b64 exec, exec, s[0:1]
	s_and_saveexec_b64 s[0:1], s[42:43]
	s_cbranch_execnz .LBB11_96
.LBB11_72:
	s_or_b64 exec, exec, s[0:1]
	s_and_saveexec_b64 s[0:1], s[46:47]
	s_cbranch_execnz .LBB11_97
.LBB11_73:
	s_or_b64 exec, exec, s[0:1]
	s_and_saveexec_b64 s[0:1], s[48:49]
	s_cbranch_execnz .LBB11_98
.LBB11_74:
	s_endpgm
.LBB11_75:
	ds_read_u16 v14, v14
	s_waitcnt lgkmcnt(0)
	global_store_short v[0:1], v14, off
	s_or_b64 exec, exec, s[4:5]
	s_and_saveexec_b64 s[4:5], s[0:1]
	s_cbranch_execz .LBB11_52
.LBB11_76:
	s_waitcnt lgkmcnt(8)
	global_store_short v[0:1], v25, off offset:128
	s_or_b64 exec, exec, s[4:5]
	s_and_saveexec_b64 s[0:1], s[2:3]
	s_cbranch_execz .LBB11_53
.LBB11_77:
	s_waitcnt lgkmcnt(14)
	global_store_short v[0:1], v24, off offset:256
	s_or_b64 exec, exec, s[0:1]
	s_and_saveexec_b64 s[0:1], s[44:45]
	s_cbranch_execz .LBB11_54
.LBB11_78:
	s_waitcnt lgkmcnt(14)
	global_store_short v[0:1], v23, off offset:384
	s_or_b64 exec, exec, s[0:1]
	s_and_saveexec_b64 s[0:1], s[6:7]
	s_cbranch_execz .LBB11_55
.LBB11_79:
	s_waitcnt lgkmcnt(14)
	global_store_short v[0:1], v22, off offset:512
	s_or_b64 exec, exec, s[0:1]
	s_and_saveexec_b64 s[0:1], s[8:9]
	s_cbranch_execz .LBB11_56
.LBB11_80:
	s_waitcnt lgkmcnt(14)
	global_store_short v[0:1], v21, off offset:640
	s_or_b64 exec, exec, s[0:1]
	s_and_saveexec_b64 s[0:1], s[10:11]
	s_cbranch_execz .LBB11_57
.LBB11_81:
	s_waitcnt lgkmcnt(14)
	global_store_short v[0:1], v20, off offset:768
	s_or_b64 exec, exec, s[0:1]
	s_and_saveexec_b64 s[0:1], s[12:13]
	s_cbranch_execz .LBB11_58
.LBB11_82:
	s_waitcnt lgkmcnt(14)
	global_store_short v[0:1], v19, off offset:896
	s_or_b64 exec, exec, s[0:1]
	s_and_saveexec_b64 s[0:1], s[14:15]
	s_cbranch_execz .LBB11_59
.LBB11_83:
	s_waitcnt lgkmcnt(14)
	global_store_short v[0:1], v18, off offset:1024
	s_or_b64 exec, exec, s[0:1]
	s_and_saveexec_b64 s[0:1], s[16:17]
	s_cbranch_execz .LBB11_60
.LBB11_84:
	s_waitcnt lgkmcnt(14)
	global_store_short v[0:1], v17, off offset:1152
	s_or_b64 exec, exec, s[0:1]
	s_and_saveexec_b64 s[0:1], s[18:19]
	s_cbranch_execz .LBB11_61
.LBB11_85:
	s_waitcnt lgkmcnt(14)
	global_store_short v[0:1], v16, off offset:1280
	s_or_b64 exec, exec, s[0:1]
	s_and_saveexec_b64 s[0:1], s[20:21]
	s_cbranch_execz .LBB11_62
.LBB11_86:
	s_waitcnt lgkmcnt(13)
	global_store_short v[0:1], v15, off offset:1408
	s_or_b64 exec, exec, s[0:1]
	s_and_saveexec_b64 s[0:1], s[22:23]
	s_cbranch_execz .LBB11_63
.LBB11_87:
	s_waitcnt lgkmcnt(12)
	global_store_short v[0:1], v13, off offset:1536
	s_or_b64 exec, exec, s[0:1]
	s_and_saveexec_b64 s[0:1], s[24:25]
	s_cbranch_execz .LBB11_64
.LBB11_88:
	s_waitcnt lgkmcnt(11)
	global_store_short v[0:1], v12, off offset:1664
	s_or_b64 exec, exec, s[0:1]
	s_and_saveexec_b64 s[0:1], s[26:27]
	s_cbranch_execz .LBB11_65
.LBB11_89:
	s_waitcnt lgkmcnt(10)
	global_store_short v[0:1], v11, off offset:1792
	s_or_b64 exec, exec, s[0:1]
	s_and_saveexec_b64 s[0:1], s[28:29]
	s_cbranch_execz .LBB11_66
.LBB11_90:
	s_waitcnt lgkmcnt(9)
	global_store_short v[0:1], v10, off offset:1920
	s_or_b64 exec, exec, s[0:1]
	s_and_saveexec_b64 s[0:1], s[30:31]
	s_cbranch_execz .LBB11_67
.LBB11_91:
	s_waitcnt lgkmcnt(7)
	global_store_short v[0:1], v9, off offset:2048
	s_or_b64 exec, exec, s[0:1]
	s_and_saveexec_b64 s[0:1], s[34:35]
	s_cbranch_execz .LBB11_68
.LBB11_92:
	s_waitcnt lgkmcnt(6)
	global_store_short v[0:1], v8, off offset:2176
	s_or_b64 exec, exec, s[0:1]
	s_and_saveexec_b64 s[0:1], s[36:37]
	s_cbranch_execz .LBB11_69
.LBB11_93:
	s_waitcnt lgkmcnt(5)
	global_store_short v[0:1], v7, off offset:2304
	s_or_b64 exec, exec, s[0:1]
	s_and_saveexec_b64 s[0:1], s[38:39]
	s_cbranch_execz .LBB11_70
.LBB11_94:
	s_waitcnt lgkmcnt(4)
	global_store_short v[0:1], v6, off offset:2432
	s_or_b64 exec, exec, s[0:1]
	s_and_saveexec_b64 s[0:1], s[40:41]
	s_cbranch_execz .LBB11_71
.LBB11_95:
	s_waitcnt lgkmcnt(3)
	global_store_short v[0:1], v5, off offset:2560
	s_or_b64 exec, exec, s[0:1]
	s_and_saveexec_b64 s[0:1], s[42:43]
	s_cbranch_execz .LBB11_72
.LBB11_96:
	s_waitcnt lgkmcnt(2)
	global_store_short v[0:1], v4, off offset:2688
	s_or_b64 exec, exec, s[0:1]
	s_and_saveexec_b64 s[0:1], s[46:47]
	s_cbranch_execz .LBB11_73
.LBB11_97:
	s_waitcnt lgkmcnt(1)
	global_store_short v[0:1], v3, off offset:2816
	s_or_b64 exec, exec, s[0:1]
	s_and_saveexec_b64 s[0:1], s[48:49]
	s_cbranch_execz .LBB11_74
.LBB11_98:
	s_waitcnt lgkmcnt(0)
	global_store_short v[0:1], v2, off offset:2944
	s_endpgm
	.section	.rodata,"a",@progbits
	.p2align	6, 0x0
	.amdhsa_kernel _ZN7rocprim6detail18single_scan_kernelILb0ENS0_19wrapped_scan_configINS_14default_configE6__halfEEPS4_S6_N6hipcub3MaxES4_S4_EEvT1_mT4_T2_T3_
		.amdhsa_group_segment_fixed_size 3072
		.amdhsa_private_segment_fixed_size 0
		.amdhsa_kernarg_size 36
		.amdhsa_user_sgpr_count 6
		.amdhsa_user_sgpr_private_segment_buffer 1
		.amdhsa_user_sgpr_dispatch_ptr 0
		.amdhsa_user_sgpr_queue_ptr 0
		.amdhsa_user_sgpr_kernarg_segment_ptr 1
		.amdhsa_user_sgpr_dispatch_id 0
		.amdhsa_user_sgpr_flat_scratch_init 0
		.amdhsa_user_sgpr_kernarg_preload_length 0
		.amdhsa_user_sgpr_kernarg_preload_offset 0
		.amdhsa_user_sgpr_private_segment_size 0
		.amdhsa_uses_dynamic_stack 0
		.amdhsa_system_sgpr_private_segment_wavefront_offset 0
		.amdhsa_system_sgpr_workgroup_id_x 1
		.amdhsa_system_sgpr_workgroup_id_y 0
		.amdhsa_system_sgpr_workgroup_id_z 0
		.amdhsa_system_sgpr_workgroup_info 0
		.amdhsa_system_vgpr_workitem_id 0
		.amdhsa_next_free_vgpr 31
		.amdhsa_next_free_sgpr 54
		.amdhsa_accum_offset 32
		.amdhsa_reserve_vcc 1
		.amdhsa_reserve_flat_scratch 0
		.amdhsa_float_round_mode_32 0
		.amdhsa_float_round_mode_16_64 0
		.amdhsa_float_denorm_mode_32 3
		.amdhsa_float_denorm_mode_16_64 3
		.amdhsa_dx10_clamp 1
		.amdhsa_ieee_mode 1
		.amdhsa_fp16_overflow 0
		.amdhsa_tg_split 0
		.amdhsa_exception_fp_ieee_invalid_op 0
		.amdhsa_exception_fp_denorm_src 0
		.amdhsa_exception_fp_ieee_div_zero 0
		.amdhsa_exception_fp_ieee_overflow 0
		.amdhsa_exception_fp_ieee_underflow 0
		.amdhsa_exception_fp_ieee_inexact 0
		.amdhsa_exception_int_div_zero 0
	.end_amdhsa_kernel
	.section	.text._ZN7rocprim6detail18single_scan_kernelILb0ENS0_19wrapped_scan_configINS_14default_configE6__halfEEPS4_S6_N6hipcub3MaxES4_S4_EEvT1_mT4_T2_T3_,"axG",@progbits,_ZN7rocprim6detail18single_scan_kernelILb0ENS0_19wrapped_scan_configINS_14default_configE6__halfEEPS4_S6_N6hipcub3MaxES4_S4_EEvT1_mT4_T2_T3_,comdat
.Lfunc_end11:
	.size	_ZN7rocprim6detail18single_scan_kernelILb0ENS0_19wrapped_scan_configINS_14default_configE6__halfEEPS4_S6_N6hipcub3MaxES4_S4_EEvT1_mT4_T2_T3_, .Lfunc_end11-_ZN7rocprim6detail18single_scan_kernelILb0ENS0_19wrapped_scan_configINS_14default_configE6__halfEEPS4_S6_N6hipcub3MaxES4_S4_EEvT1_mT4_T2_T3_
                                        ; -- End function
	.section	.AMDGPU.csdata,"",@progbits
; Kernel info:
; codeLenInByte = 3672
; NumSgprs: 58
; NumVgprs: 31
; NumAgprs: 0
; TotalNumVgprs: 31
; ScratchSize: 0
; MemoryBound: 0
; FloatMode: 240
; IeeeMode: 1
; LDSByteSize: 3072 bytes/workgroup (compile time only)
; SGPRBlocks: 7
; VGPRBlocks: 3
; NumSGPRsForWavesPerEU: 58
; NumVGPRsForWavesPerEU: 31
; AccumOffset: 32
; Occupancy: 6
; WaveLimiterHint : 0
; COMPUTE_PGM_RSRC2:SCRATCH_EN: 0
; COMPUTE_PGM_RSRC2:USER_SGPR: 6
; COMPUTE_PGM_RSRC2:TRAP_HANDLER: 0
; COMPUTE_PGM_RSRC2:TGID_X_EN: 1
; COMPUTE_PGM_RSRC2:TGID_Y_EN: 0
; COMPUTE_PGM_RSRC2:TGID_Z_EN: 0
; COMPUTE_PGM_RSRC2:TIDIG_COMP_CNT: 0
; COMPUTE_PGM_RSRC3_GFX90A:ACCUM_OFFSET: 7
; COMPUTE_PGM_RSRC3_GFX90A:TG_SPLIT: 0
	.section	.text._ZN7rocprim6detail31init_lookback_scan_state_kernelINS0_19lookback_scan_stateI12hip_bfloat16Lb1ELb1EEEEEvT_jjPNS5_10value_typeE,"axG",@progbits,_ZN7rocprim6detail31init_lookback_scan_state_kernelINS0_19lookback_scan_stateI12hip_bfloat16Lb1ELb1EEEEEvT_jjPNS5_10value_typeE,comdat
	.protected	_ZN7rocprim6detail31init_lookback_scan_state_kernelINS0_19lookback_scan_stateI12hip_bfloat16Lb1ELb1EEEEEvT_jjPNS5_10value_typeE ; -- Begin function _ZN7rocprim6detail31init_lookback_scan_state_kernelINS0_19lookback_scan_stateI12hip_bfloat16Lb1ELb1EEEEEvT_jjPNS5_10value_typeE
	.globl	_ZN7rocprim6detail31init_lookback_scan_state_kernelINS0_19lookback_scan_stateI12hip_bfloat16Lb1ELb1EEEEEvT_jjPNS5_10value_typeE
	.p2align	8
	.type	_ZN7rocprim6detail31init_lookback_scan_state_kernelINS0_19lookback_scan_stateI12hip_bfloat16Lb1ELb1EEEEEvT_jjPNS5_10value_typeE,@function
_ZN7rocprim6detail31init_lookback_scan_state_kernelINS0_19lookback_scan_stateI12hip_bfloat16Lb1ELb1EEEEEvT_jjPNS5_10value_typeE: ; @_ZN7rocprim6detail31init_lookback_scan_state_kernelINS0_19lookback_scan_stateI12hip_bfloat16Lb1ELb1EEEEEvT_jjPNS5_10value_typeE
; %bb.0:
	s_load_dword s7, s[4:5], 0x24
	s_load_dwordx2 s[8:9], s[4:5], 0x10
	s_load_dwordx4 s[0:3], s[4:5], 0x0
	s_waitcnt lgkmcnt(0)
	s_and_b32 s4, s7, 0xffff
	s_mul_i32 s6, s6, s4
	s_cmp_eq_u64 s[8:9], 0
	v_add_u32_e32 v0, s6, v0
	s_cbranch_scc1 .LBB12_9
; %bb.1:
	s_cmp_lt_u32 s3, s2
	s_cselect_b32 s4, s3, 0
	s_mov_b32 s7, 0
	v_cmp_eq_u32_e32 vcc, s4, v0
	s_and_saveexec_b64 s[4:5], vcc
	s_cbranch_execz .LBB12_8
; %bb.2:
	s_add_i32 s6, s3, 64
	s_lshl_b64 s[6:7], s[6:7], 2
	s_add_u32 s6, s0, s6
	s_addc_u32 s7, s1, s7
	v_mov_b32_e32 v1, 0
	global_load_dword v2, v1, s[6:7] glc
	s_waitcnt vmcnt(0)
	v_and_b32_e32 v3, 0xff0000, v2
	v_cmp_ne_u32_e32 vcc, 0, v3
	s_cbranch_vccnz .LBB12_7
; %bb.3:
	s_mov_b32 s3, 1
.LBB12_4:                               ; =>This Loop Header: Depth=1
                                        ;     Child Loop BB12_5 Depth 2
	s_max_u32 s10, s3, 1
.LBB12_5:                               ;   Parent Loop BB12_4 Depth=1
                                        ; =>  This Inner Loop Header: Depth=2
	s_add_i32 s10, s10, -1
	s_cmp_eq_u32 s10, 0
	s_sleep 1
	s_cbranch_scc0 .LBB12_5
; %bb.6:                                ;   in Loop: Header=BB12_4 Depth=1
	global_load_dword v2, v1, s[6:7] glc
	s_cmp_lt_u32 s3, 32
	s_cselect_b64 s[10:11], -1, 0
	s_cmp_lg_u64 s[10:11], 0
	s_addc_u32 s3, s3, 0
	s_waitcnt vmcnt(0)
	v_and_b32_e32 v3, 0xff0000, v2
	v_cmp_ne_u32_e32 vcc, 0, v3
	s_cbranch_vccz .LBB12_4
.LBB12_7:
	v_mov_b32_e32 v1, 0
	global_store_short v1, v2, s[8:9]
.LBB12_8:
	s_or_b64 exec, exec, s[4:5]
.LBB12_9:
	v_cmp_gt_u32_e32 vcc, s2, v0
	s_and_saveexec_b64 s[2:3], vcc
	s_cbranch_execnz .LBB12_12
; %bb.10:
	s_or_b64 exec, exec, s[2:3]
	v_cmp_gt_u32_e32 vcc, 64, v0
	s_and_saveexec_b64 s[2:3], vcc
	s_cbranch_execnz .LBB12_13
.LBB12_11:
	s_endpgm
.LBB12_12:
	v_add_u32_e32 v2, 64, v0
	v_mov_b32_e32 v3, 0
	v_lshlrev_b64 v[4:5], 2, v[2:3]
	v_mov_b32_e32 v1, s1
	v_add_co_u32_e32 v4, vcc, s0, v4
	v_addc_co_u32_e32 v5, vcc, v1, v5, vcc
	global_store_dword v[4:5], v3, off
	s_or_b64 exec, exec, s[2:3]
	v_cmp_gt_u32_e32 vcc, 64, v0
	s_and_saveexec_b64 s[2:3], vcc
	s_cbranch_execz .LBB12_11
.LBB12_13:
	v_mov_b32_e32 v1, 0
	v_lshlrev_b64 v[0:1], 2, v[0:1]
	v_mov_b32_e32 v2, s1
	v_add_co_u32_e32 v0, vcc, s0, v0
	v_addc_co_u32_e32 v1, vcc, v2, v1, vcc
	v_mov_b32_e32 v2, 0xff0000
	global_store_dword v[0:1], v2, off
	s_endpgm
	.section	.rodata,"a",@progbits
	.p2align	6, 0x0
	.amdhsa_kernel _ZN7rocprim6detail31init_lookback_scan_state_kernelINS0_19lookback_scan_stateI12hip_bfloat16Lb1ELb1EEEEEvT_jjPNS5_10value_typeE
		.amdhsa_group_segment_fixed_size 0
		.amdhsa_private_segment_fixed_size 0
		.amdhsa_kernarg_size 280
		.amdhsa_user_sgpr_count 6
		.amdhsa_user_sgpr_private_segment_buffer 1
		.amdhsa_user_sgpr_dispatch_ptr 0
		.amdhsa_user_sgpr_queue_ptr 0
		.amdhsa_user_sgpr_kernarg_segment_ptr 1
		.amdhsa_user_sgpr_dispatch_id 0
		.amdhsa_user_sgpr_flat_scratch_init 0
		.amdhsa_user_sgpr_kernarg_preload_length 0
		.amdhsa_user_sgpr_kernarg_preload_offset 0
		.amdhsa_user_sgpr_private_segment_size 0
		.amdhsa_uses_dynamic_stack 0
		.amdhsa_system_sgpr_private_segment_wavefront_offset 0
		.amdhsa_system_sgpr_workgroup_id_x 1
		.amdhsa_system_sgpr_workgroup_id_y 0
		.amdhsa_system_sgpr_workgroup_id_z 0
		.amdhsa_system_sgpr_workgroup_info 0
		.amdhsa_system_vgpr_workitem_id 0
		.amdhsa_next_free_vgpr 6
		.amdhsa_next_free_sgpr 12
		.amdhsa_accum_offset 8
		.amdhsa_reserve_vcc 1
		.amdhsa_reserve_flat_scratch 0
		.amdhsa_float_round_mode_32 0
		.amdhsa_float_round_mode_16_64 0
		.amdhsa_float_denorm_mode_32 3
		.amdhsa_float_denorm_mode_16_64 3
		.amdhsa_dx10_clamp 1
		.amdhsa_ieee_mode 1
		.amdhsa_fp16_overflow 0
		.amdhsa_tg_split 0
		.amdhsa_exception_fp_ieee_invalid_op 0
		.amdhsa_exception_fp_denorm_src 0
		.amdhsa_exception_fp_ieee_div_zero 0
		.amdhsa_exception_fp_ieee_overflow 0
		.amdhsa_exception_fp_ieee_underflow 0
		.amdhsa_exception_fp_ieee_inexact 0
		.amdhsa_exception_int_div_zero 0
	.end_amdhsa_kernel
	.section	.text._ZN7rocprim6detail31init_lookback_scan_state_kernelINS0_19lookback_scan_stateI12hip_bfloat16Lb1ELb1EEEEEvT_jjPNS5_10value_typeE,"axG",@progbits,_ZN7rocprim6detail31init_lookback_scan_state_kernelINS0_19lookback_scan_stateI12hip_bfloat16Lb1ELb1EEEEEvT_jjPNS5_10value_typeE,comdat
.Lfunc_end12:
	.size	_ZN7rocprim6detail31init_lookback_scan_state_kernelINS0_19lookback_scan_stateI12hip_bfloat16Lb1ELb1EEEEEvT_jjPNS5_10value_typeE, .Lfunc_end12-_ZN7rocprim6detail31init_lookback_scan_state_kernelINS0_19lookback_scan_stateI12hip_bfloat16Lb1ELb1EEEEEvT_jjPNS5_10value_typeE
                                        ; -- End function
	.section	.AMDGPU.csdata,"",@progbits
; Kernel info:
; codeLenInByte = 336
; NumSgprs: 16
; NumVgprs: 6
; NumAgprs: 0
; TotalNumVgprs: 6
; ScratchSize: 0
; MemoryBound: 0
; FloatMode: 240
; IeeeMode: 1
; LDSByteSize: 0 bytes/workgroup (compile time only)
; SGPRBlocks: 1
; VGPRBlocks: 0
; NumSGPRsForWavesPerEU: 16
; NumVGPRsForWavesPerEU: 6
; AccumOffset: 8
; Occupancy: 8
; WaveLimiterHint : 0
; COMPUTE_PGM_RSRC2:SCRATCH_EN: 0
; COMPUTE_PGM_RSRC2:USER_SGPR: 6
; COMPUTE_PGM_RSRC2:TRAP_HANDLER: 0
; COMPUTE_PGM_RSRC2:TGID_X_EN: 1
; COMPUTE_PGM_RSRC2:TGID_Y_EN: 0
; COMPUTE_PGM_RSRC2:TGID_Z_EN: 0
; COMPUTE_PGM_RSRC2:TIDIG_COMP_CNT: 0
; COMPUTE_PGM_RSRC3_GFX90A:ACCUM_OFFSET: 1
; COMPUTE_PGM_RSRC3_GFX90A:TG_SPLIT: 0
	.section	.text._ZN7rocprim6detail31init_lookback_scan_state_kernelINS0_19lookback_scan_stateI12hip_bfloat16Lb0ELb1EEEEEvT_jjPNS5_10value_typeE,"axG",@progbits,_ZN7rocprim6detail31init_lookback_scan_state_kernelINS0_19lookback_scan_stateI12hip_bfloat16Lb0ELb1EEEEEvT_jjPNS5_10value_typeE,comdat
	.protected	_ZN7rocprim6detail31init_lookback_scan_state_kernelINS0_19lookback_scan_stateI12hip_bfloat16Lb0ELb1EEEEEvT_jjPNS5_10value_typeE ; -- Begin function _ZN7rocprim6detail31init_lookback_scan_state_kernelINS0_19lookback_scan_stateI12hip_bfloat16Lb0ELb1EEEEEvT_jjPNS5_10value_typeE
	.globl	_ZN7rocprim6detail31init_lookback_scan_state_kernelINS0_19lookback_scan_stateI12hip_bfloat16Lb0ELb1EEEEEvT_jjPNS5_10value_typeE
	.p2align	8
	.type	_ZN7rocprim6detail31init_lookback_scan_state_kernelINS0_19lookback_scan_stateI12hip_bfloat16Lb0ELb1EEEEEvT_jjPNS5_10value_typeE,@function
_ZN7rocprim6detail31init_lookback_scan_state_kernelINS0_19lookback_scan_stateI12hip_bfloat16Lb0ELb1EEEEEvT_jjPNS5_10value_typeE: ; @_ZN7rocprim6detail31init_lookback_scan_state_kernelINS0_19lookback_scan_stateI12hip_bfloat16Lb0ELb1EEEEEvT_jjPNS5_10value_typeE
; %bb.0:
	s_load_dword s7, s[4:5], 0x24
	s_load_dwordx2 s[8:9], s[4:5], 0x10
	s_load_dwordx4 s[0:3], s[4:5], 0x0
	s_waitcnt lgkmcnt(0)
	s_and_b32 s4, s7, 0xffff
	s_mul_i32 s6, s6, s4
	s_cmp_eq_u64 s[8:9], 0
	v_add_u32_e32 v0, s6, v0
	s_cbranch_scc1 .LBB13_6
; %bb.1:
	s_cmp_lt_u32 s3, s2
	s_cselect_b32 s4, s3, 0
	s_mov_b32 s7, 0
	v_cmp_eq_u32_e32 vcc, s4, v0
	s_and_saveexec_b64 s[4:5], vcc
	s_cbranch_execz .LBB13_5
; %bb.2:
	s_add_i32 s6, s3, 64
	s_lshl_b64 s[6:7], s[6:7], 2
	s_add_u32 s6, s0, s6
	s_addc_u32 s7, s1, s7
	v_mov_b32_e32 v2, 0
	global_load_dword v1, v2, s[6:7] glc
	s_waitcnt vmcnt(0)
	v_and_b32_e32 v3, 0xff0000, v1
	v_cmp_ne_u32_e32 vcc, 0, v3
	s_cbranch_vccnz .LBB13_4
.LBB13_3:                               ; =>This Inner Loop Header: Depth=1
	global_load_dword v1, v2, s[6:7] glc
	s_waitcnt vmcnt(0)
	v_and_b32_e32 v3, 0xff0000, v1
	v_cmp_eq_u32_e32 vcc, 0, v3
	s_cbranch_vccnz .LBB13_3
.LBB13_4:
	v_mov_b32_e32 v2, 0
	global_store_short v2, v1, s[8:9]
.LBB13_5:
	s_or_b64 exec, exec, s[4:5]
.LBB13_6:
	v_cmp_gt_u32_e32 vcc, s2, v0
	s_and_saveexec_b64 s[2:3], vcc
	s_cbranch_execnz .LBB13_9
; %bb.7:
	s_or_b64 exec, exec, s[2:3]
	v_cmp_gt_u32_e32 vcc, 64, v0
	s_and_saveexec_b64 s[2:3], vcc
	s_cbranch_execnz .LBB13_10
.LBB13_8:
	s_endpgm
.LBB13_9:
	v_add_u32_e32 v2, 64, v0
	v_mov_b32_e32 v3, 0
	v_lshlrev_b64 v[4:5], 2, v[2:3]
	v_mov_b32_e32 v1, s1
	v_add_co_u32_e32 v4, vcc, s0, v4
	v_addc_co_u32_e32 v5, vcc, v1, v5, vcc
	global_store_dword v[4:5], v3, off
	s_or_b64 exec, exec, s[2:3]
	v_cmp_gt_u32_e32 vcc, 64, v0
	s_and_saveexec_b64 s[2:3], vcc
	s_cbranch_execz .LBB13_8
.LBB13_10:
	v_mov_b32_e32 v1, 0
	v_lshlrev_b64 v[0:1], 2, v[0:1]
	v_mov_b32_e32 v2, s1
	v_add_co_u32_e32 v0, vcc, s0, v0
	v_addc_co_u32_e32 v1, vcc, v2, v1, vcc
	v_mov_b32_e32 v2, 0xff0000
	global_store_dword v[0:1], v2, off
	s_endpgm
	.section	.rodata,"a",@progbits
	.p2align	6, 0x0
	.amdhsa_kernel _ZN7rocprim6detail31init_lookback_scan_state_kernelINS0_19lookback_scan_stateI12hip_bfloat16Lb0ELb1EEEEEvT_jjPNS5_10value_typeE
		.amdhsa_group_segment_fixed_size 0
		.amdhsa_private_segment_fixed_size 0
		.amdhsa_kernarg_size 280
		.amdhsa_user_sgpr_count 6
		.amdhsa_user_sgpr_private_segment_buffer 1
		.amdhsa_user_sgpr_dispatch_ptr 0
		.amdhsa_user_sgpr_queue_ptr 0
		.amdhsa_user_sgpr_kernarg_segment_ptr 1
		.amdhsa_user_sgpr_dispatch_id 0
		.amdhsa_user_sgpr_flat_scratch_init 0
		.amdhsa_user_sgpr_kernarg_preload_length 0
		.amdhsa_user_sgpr_kernarg_preload_offset 0
		.amdhsa_user_sgpr_private_segment_size 0
		.amdhsa_uses_dynamic_stack 0
		.amdhsa_system_sgpr_private_segment_wavefront_offset 0
		.amdhsa_system_sgpr_workgroup_id_x 1
		.amdhsa_system_sgpr_workgroup_id_y 0
		.amdhsa_system_sgpr_workgroup_id_z 0
		.amdhsa_system_sgpr_workgroup_info 0
		.amdhsa_system_vgpr_workitem_id 0
		.amdhsa_next_free_vgpr 6
		.amdhsa_next_free_sgpr 10
		.amdhsa_accum_offset 8
		.amdhsa_reserve_vcc 1
		.amdhsa_reserve_flat_scratch 0
		.amdhsa_float_round_mode_32 0
		.amdhsa_float_round_mode_16_64 0
		.amdhsa_float_denorm_mode_32 3
		.amdhsa_float_denorm_mode_16_64 3
		.amdhsa_dx10_clamp 1
		.amdhsa_ieee_mode 1
		.amdhsa_fp16_overflow 0
		.amdhsa_tg_split 0
		.amdhsa_exception_fp_ieee_invalid_op 0
		.amdhsa_exception_fp_denorm_src 0
		.amdhsa_exception_fp_ieee_div_zero 0
		.amdhsa_exception_fp_ieee_overflow 0
		.amdhsa_exception_fp_ieee_underflow 0
		.amdhsa_exception_fp_ieee_inexact 0
		.amdhsa_exception_int_div_zero 0
	.end_amdhsa_kernel
	.section	.text._ZN7rocprim6detail31init_lookback_scan_state_kernelINS0_19lookback_scan_stateI12hip_bfloat16Lb0ELb1EEEEEvT_jjPNS5_10value_typeE,"axG",@progbits,_ZN7rocprim6detail31init_lookback_scan_state_kernelINS0_19lookback_scan_stateI12hip_bfloat16Lb0ELb1EEEEEvT_jjPNS5_10value_typeE,comdat
.Lfunc_end13:
	.size	_ZN7rocprim6detail31init_lookback_scan_state_kernelINS0_19lookback_scan_stateI12hip_bfloat16Lb0ELb1EEEEEvT_jjPNS5_10value_typeE, .Lfunc_end13-_ZN7rocprim6detail31init_lookback_scan_state_kernelINS0_19lookback_scan_stateI12hip_bfloat16Lb0ELb1EEEEEvT_jjPNS5_10value_typeE
                                        ; -- End function
	.section	.AMDGPU.csdata,"",@progbits
; Kernel info:
; codeLenInByte = 296
; NumSgprs: 14
; NumVgprs: 6
; NumAgprs: 0
; TotalNumVgprs: 6
; ScratchSize: 0
; MemoryBound: 0
; FloatMode: 240
; IeeeMode: 1
; LDSByteSize: 0 bytes/workgroup (compile time only)
; SGPRBlocks: 1
; VGPRBlocks: 0
; NumSGPRsForWavesPerEU: 14
; NumVGPRsForWavesPerEU: 6
; AccumOffset: 8
; Occupancy: 8
; WaveLimiterHint : 0
; COMPUTE_PGM_RSRC2:SCRATCH_EN: 0
; COMPUTE_PGM_RSRC2:USER_SGPR: 6
; COMPUTE_PGM_RSRC2:TRAP_HANDLER: 0
; COMPUTE_PGM_RSRC2:TGID_X_EN: 1
; COMPUTE_PGM_RSRC2:TGID_Y_EN: 0
; COMPUTE_PGM_RSRC2:TGID_Z_EN: 0
; COMPUTE_PGM_RSRC2:TIDIG_COMP_CNT: 0
; COMPUTE_PGM_RSRC3_GFX90A:ACCUM_OFFSET: 1
; COMPUTE_PGM_RSRC3_GFX90A:TG_SPLIT: 0
	.section	.text._ZN7rocprim6detail20lookback_scan_kernelILNS0_25lookback_scan_determinismE0ELb0ENS0_19wrapped_scan_configINS_14default_configE12hip_bfloat16EEPS5_S7_N6hipcub3MaxES5_S5_NS0_19lookback_scan_stateIS5_Lb1ELb1EEEEEvT2_T3_mT5_T4_T7_jPT6_SI_bb,"axG",@progbits,_ZN7rocprim6detail20lookback_scan_kernelILNS0_25lookback_scan_determinismE0ELb0ENS0_19wrapped_scan_configINS_14default_configE12hip_bfloat16EEPS5_S7_N6hipcub3MaxES5_S5_NS0_19lookback_scan_stateIS5_Lb1ELb1EEEEEvT2_T3_mT5_T4_T7_jPT6_SI_bb,comdat
	.protected	_ZN7rocprim6detail20lookback_scan_kernelILNS0_25lookback_scan_determinismE0ELb0ENS0_19wrapped_scan_configINS_14default_configE12hip_bfloat16EEPS5_S7_N6hipcub3MaxES5_S5_NS0_19lookback_scan_stateIS5_Lb1ELb1EEEEEvT2_T3_mT5_T4_T7_jPT6_SI_bb ; -- Begin function _ZN7rocprim6detail20lookback_scan_kernelILNS0_25lookback_scan_determinismE0ELb0ENS0_19wrapped_scan_configINS_14default_configE12hip_bfloat16EEPS5_S7_N6hipcub3MaxES5_S5_NS0_19lookback_scan_stateIS5_Lb1ELb1EEEEEvT2_T3_mT5_T4_T7_jPT6_SI_bb
	.globl	_ZN7rocprim6detail20lookback_scan_kernelILNS0_25lookback_scan_determinismE0ELb0ENS0_19wrapped_scan_configINS_14default_configE12hip_bfloat16EEPS5_S7_N6hipcub3MaxES5_S5_NS0_19lookback_scan_stateIS5_Lb1ELb1EEEEEvT2_T3_mT5_T4_T7_jPT6_SI_bb
	.p2align	8
	.type	_ZN7rocprim6detail20lookback_scan_kernelILNS0_25lookback_scan_determinismE0ELb0ENS0_19wrapped_scan_configINS_14default_configE12hip_bfloat16EEPS5_S7_N6hipcub3MaxES5_S5_NS0_19lookback_scan_stateIS5_Lb1ELb1EEEEEvT2_T3_mT5_T4_T7_jPT6_SI_bb,@function
_ZN7rocprim6detail20lookback_scan_kernelILNS0_25lookback_scan_determinismE0ELb0ENS0_19wrapped_scan_configINS_14default_configE12hip_bfloat16EEPS5_S7_N6hipcub3MaxES5_S5_NS0_19lookback_scan_stateIS5_Lb1ELb1EEEEEvT2_T3_mT5_T4_T7_jPT6_SI_bb: ; @_ZN7rocprim6detail20lookback_scan_kernelILNS0_25lookback_scan_determinismE0ELb0ENS0_19wrapped_scan_configINS_14default_configE12hip_bfloat16EEPS5_S7_N6hipcub3MaxES5_S5_NS0_19lookback_scan_stateIS5_Lb1ELb1EEEEEvT2_T3_mT5_T4_T7_jPT6_SI_bb
; %bb.0:
	s_endpgm
	.section	.rodata,"a",@progbits
	.p2align	6, 0x0
	.amdhsa_kernel _ZN7rocprim6detail20lookback_scan_kernelILNS0_25lookback_scan_determinismE0ELb0ENS0_19wrapped_scan_configINS_14default_configE12hip_bfloat16EEPS5_S7_N6hipcub3MaxES5_S5_NS0_19lookback_scan_stateIS5_Lb1ELb1EEEEEvT2_T3_mT5_T4_T7_jPT6_SI_bb
		.amdhsa_group_segment_fixed_size 0
		.amdhsa_private_segment_fixed_size 0
		.amdhsa_kernarg_size 68
		.amdhsa_user_sgpr_count 6
		.amdhsa_user_sgpr_private_segment_buffer 1
		.amdhsa_user_sgpr_dispatch_ptr 0
		.amdhsa_user_sgpr_queue_ptr 0
		.amdhsa_user_sgpr_kernarg_segment_ptr 1
		.amdhsa_user_sgpr_dispatch_id 0
		.amdhsa_user_sgpr_flat_scratch_init 0
		.amdhsa_user_sgpr_kernarg_preload_length 0
		.amdhsa_user_sgpr_kernarg_preload_offset 0
		.amdhsa_user_sgpr_private_segment_size 0
		.amdhsa_uses_dynamic_stack 0
		.amdhsa_system_sgpr_private_segment_wavefront_offset 0
		.amdhsa_system_sgpr_workgroup_id_x 1
		.amdhsa_system_sgpr_workgroup_id_y 0
		.amdhsa_system_sgpr_workgroup_id_z 0
		.amdhsa_system_sgpr_workgroup_info 0
		.amdhsa_system_vgpr_workitem_id 0
		.amdhsa_next_free_vgpr 1
		.amdhsa_next_free_sgpr 0
		.amdhsa_accum_offset 4
		.amdhsa_reserve_vcc 0
		.amdhsa_reserve_flat_scratch 0
		.amdhsa_float_round_mode_32 0
		.amdhsa_float_round_mode_16_64 0
		.amdhsa_float_denorm_mode_32 3
		.amdhsa_float_denorm_mode_16_64 3
		.amdhsa_dx10_clamp 1
		.amdhsa_ieee_mode 1
		.amdhsa_fp16_overflow 0
		.amdhsa_tg_split 0
		.amdhsa_exception_fp_ieee_invalid_op 0
		.amdhsa_exception_fp_denorm_src 0
		.amdhsa_exception_fp_ieee_div_zero 0
		.amdhsa_exception_fp_ieee_overflow 0
		.amdhsa_exception_fp_ieee_underflow 0
		.amdhsa_exception_fp_ieee_inexact 0
		.amdhsa_exception_int_div_zero 0
	.end_amdhsa_kernel
	.section	.text._ZN7rocprim6detail20lookback_scan_kernelILNS0_25lookback_scan_determinismE0ELb0ENS0_19wrapped_scan_configINS_14default_configE12hip_bfloat16EEPS5_S7_N6hipcub3MaxES5_S5_NS0_19lookback_scan_stateIS5_Lb1ELb1EEEEEvT2_T3_mT5_T4_T7_jPT6_SI_bb,"axG",@progbits,_ZN7rocprim6detail20lookback_scan_kernelILNS0_25lookback_scan_determinismE0ELb0ENS0_19wrapped_scan_configINS_14default_configE12hip_bfloat16EEPS5_S7_N6hipcub3MaxES5_S5_NS0_19lookback_scan_stateIS5_Lb1ELb1EEEEEvT2_T3_mT5_T4_T7_jPT6_SI_bb,comdat
.Lfunc_end14:
	.size	_ZN7rocprim6detail20lookback_scan_kernelILNS0_25lookback_scan_determinismE0ELb0ENS0_19wrapped_scan_configINS_14default_configE12hip_bfloat16EEPS5_S7_N6hipcub3MaxES5_S5_NS0_19lookback_scan_stateIS5_Lb1ELb1EEEEEvT2_T3_mT5_T4_T7_jPT6_SI_bb, .Lfunc_end14-_ZN7rocprim6detail20lookback_scan_kernelILNS0_25lookback_scan_determinismE0ELb0ENS0_19wrapped_scan_configINS_14default_configE12hip_bfloat16EEPS5_S7_N6hipcub3MaxES5_S5_NS0_19lookback_scan_stateIS5_Lb1ELb1EEEEEvT2_T3_mT5_T4_T7_jPT6_SI_bb
                                        ; -- End function
	.section	.AMDGPU.csdata,"",@progbits
; Kernel info:
; codeLenInByte = 4
; NumSgprs: 4
; NumVgprs: 0
; NumAgprs: 0
; TotalNumVgprs: 0
; ScratchSize: 0
; MemoryBound: 0
; FloatMode: 240
; IeeeMode: 1
; LDSByteSize: 0 bytes/workgroup (compile time only)
; SGPRBlocks: 0
; VGPRBlocks: 0
; NumSGPRsForWavesPerEU: 4
; NumVGPRsForWavesPerEU: 1
; AccumOffset: 4
; Occupancy: 8
; WaveLimiterHint : 0
; COMPUTE_PGM_RSRC2:SCRATCH_EN: 0
; COMPUTE_PGM_RSRC2:USER_SGPR: 6
; COMPUTE_PGM_RSRC2:TRAP_HANDLER: 0
; COMPUTE_PGM_RSRC2:TGID_X_EN: 1
; COMPUTE_PGM_RSRC2:TGID_Y_EN: 0
; COMPUTE_PGM_RSRC2:TGID_Z_EN: 0
; COMPUTE_PGM_RSRC2:TIDIG_COMP_CNT: 0
; COMPUTE_PGM_RSRC3_GFX90A:ACCUM_OFFSET: 0
; COMPUTE_PGM_RSRC3_GFX90A:TG_SPLIT: 0
	.section	.text._ZN7rocprim6detail20lookback_scan_kernelILNS0_25lookback_scan_determinismE0ELb0ENS0_19wrapped_scan_configINS_14default_configE12hip_bfloat16EEPS5_S7_N6hipcub3MaxES5_S5_NS0_19lookback_scan_stateIS5_Lb0ELb1EEEEEvT2_T3_mT5_T4_T7_jPT6_SI_bb,"axG",@progbits,_ZN7rocprim6detail20lookback_scan_kernelILNS0_25lookback_scan_determinismE0ELb0ENS0_19wrapped_scan_configINS_14default_configE12hip_bfloat16EEPS5_S7_N6hipcub3MaxES5_S5_NS0_19lookback_scan_stateIS5_Lb0ELb1EEEEEvT2_T3_mT5_T4_T7_jPT6_SI_bb,comdat
	.protected	_ZN7rocprim6detail20lookback_scan_kernelILNS0_25lookback_scan_determinismE0ELb0ENS0_19wrapped_scan_configINS_14default_configE12hip_bfloat16EEPS5_S7_N6hipcub3MaxES5_S5_NS0_19lookback_scan_stateIS5_Lb0ELb1EEEEEvT2_T3_mT5_T4_T7_jPT6_SI_bb ; -- Begin function _ZN7rocprim6detail20lookback_scan_kernelILNS0_25lookback_scan_determinismE0ELb0ENS0_19wrapped_scan_configINS_14default_configE12hip_bfloat16EEPS5_S7_N6hipcub3MaxES5_S5_NS0_19lookback_scan_stateIS5_Lb0ELb1EEEEEvT2_T3_mT5_T4_T7_jPT6_SI_bb
	.globl	_ZN7rocprim6detail20lookback_scan_kernelILNS0_25lookback_scan_determinismE0ELb0ENS0_19wrapped_scan_configINS_14default_configE12hip_bfloat16EEPS5_S7_N6hipcub3MaxES5_S5_NS0_19lookback_scan_stateIS5_Lb0ELb1EEEEEvT2_T3_mT5_T4_T7_jPT6_SI_bb
	.p2align	8
	.type	_ZN7rocprim6detail20lookback_scan_kernelILNS0_25lookback_scan_determinismE0ELb0ENS0_19wrapped_scan_configINS_14default_configE12hip_bfloat16EEPS5_S7_N6hipcub3MaxES5_S5_NS0_19lookback_scan_stateIS5_Lb0ELb1EEEEEvT2_T3_mT5_T4_T7_jPT6_SI_bb,@function
_ZN7rocprim6detail20lookback_scan_kernelILNS0_25lookback_scan_determinismE0ELb0ENS0_19wrapped_scan_configINS_14default_configE12hip_bfloat16EEPS5_S7_N6hipcub3MaxES5_S5_NS0_19lookback_scan_stateIS5_Lb0ELb1EEEEEvT2_T3_mT5_T4_T7_jPT6_SI_bb: ; @_ZN7rocprim6detail20lookback_scan_kernelILNS0_25lookback_scan_determinismE0ELb0ENS0_19wrapped_scan_configINS_14default_configE12hip_bfloat16EEPS5_S7_N6hipcub3MaxES5_S5_NS0_19lookback_scan_stateIS5_Lb0ELb1EEEEEvT2_T3_mT5_T4_T7_jPT6_SI_bb
; %bb.0:
	s_load_dword s3, s[4:5], 0x28
	s_load_dwordx4 s[16:19], s[4:5], 0x0
	s_load_dwordx2 s[0:1], s[4:5], 0x10
	s_mul_i32 s2, s6, 0x600
	v_lshlrev_b32_e32 v20, 1, v0
	s_waitcnt lgkmcnt(0)
	s_add_i32 s7, s3, -1
	s_mul_i32 s8, s7, 0x600
	s_sub_u32 s28, s0, s8
	s_subb_u32 s29, s1, 0
	s_mov_b32 s3, 0
	s_cmp_lg_u32 s6, s7
	s_cselect_b64 s[20:21], -1, 0
	s_lshl_b64 s[22:23], s[2:3], 1
	s_add_u32 s2, s16, s22
	s_addc_u32 s3, s17, s23
	s_mov_b64 s[0:1], -1
	s_and_b64 vcc, exec, s[20:21]
	s_cbranch_vccz .LBB15_2
; %bb.1:
	global_load_ushort v1, v20, s[2:3]
	global_load_ushort v2, v20, s[2:3] offset:128
	global_load_ushort v3, v20, s[2:3] offset:256
	;; [unrolled: 1-line block ×23, first 2 shown]
	s_mov_b64 s[0:1], 0
	s_waitcnt vmcnt(23)
	ds_write_b16 v20, v1
	s_waitcnt vmcnt(22)
	ds_write_b16 v20, v2 offset:128
	s_waitcnt vmcnt(21)
	ds_write_b16 v20, v3 offset:256
	;; [unrolled: 2-line block ×23, first 2 shown]
	s_waitcnt lgkmcnt(0)
	; wave barrier
.LBB15_2:
	s_andn2_b64 vcc, exec, s[0:1]
	v_cmp_gt_u32_e64 s[0:1], s28, v0
	s_cbranch_vccnz .LBB15_52
; %bb.3:
	v_mov_b32_e32 v1, 0
	global_load_ushort v1, v1, s[2:3]
	v_mov_b32_e32 v3, s3
	v_add_co_u32_e32 v2, vcc, s2, v20
	v_addc_co_u32_e32 v3, vcc, 0, v3, vcc
	s_waitcnt vmcnt(0)
	v_mov_b32_e32 v4, v1
	s_and_saveexec_b64 s[2:3], s[0:1]
	s_cbranch_execz .LBB15_5
; %bb.4:
	global_load_ushort v4, v[2:3], off
.LBB15_5:
	s_or_b64 exec, exec, s[2:3]
	v_or_b32_e32 v5, 64, v0
	v_cmp_gt_u32_e32 vcc, s28, v5
	v_mov_b32_e32 v5, v1
	s_and_saveexec_b64 s[0:1], vcc
	s_cbranch_execz .LBB15_7
; %bb.6:
	global_load_ushort v5, v[2:3], off offset:128
.LBB15_7:
	s_or_b64 exec, exec, s[0:1]
	v_or_b32_e32 v6, 0x80, v0
	v_cmp_gt_u32_e32 vcc, s28, v6
	v_mov_b32_e32 v6, v1
	s_and_saveexec_b64 s[0:1], vcc
	s_cbranch_execz .LBB15_9
; %bb.8:
	global_load_ushort v6, v[2:3], off offset:256
.LBB15_9:
	s_or_b64 exec, exec, s[0:1]
	v_or_b32_e32 v7, 0xc0, v0
	v_cmp_gt_u32_e32 vcc, s28, v7
	v_mov_b32_e32 v7, v1
	s_and_saveexec_b64 s[0:1], vcc
	s_cbranch_execz .LBB15_11
; %bb.10:
	global_load_ushort v7, v[2:3], off offset:384
.LBB15_11:
	s_or_b64 exec, exec, s[0:1]
	v_or_b32_e32 v8, 0x100, v0
	v_cmp_gt_u32_e32 vcc, s28, v8
	v_mov_b32_e32 v8, v1
	s_and_saveexec_b64 s[0:1], vcc
	s_cbranch_execz .LBB15_13
; %bb.12:
	global_load_ushort v8, v[2:3], off offset:512
.LBB15_13:
	s_or_b64 exec, exec, s[0:1]
	v_or_b32_e32 v9, 0x140, v0
	v_cmp_gt_u32_e32 vcc, s28, v9
	v_mov_b32_e32 v9, v1
	s_and_saveexec_b64 s[0:1], vcc
	s_cbranch_execz .LBB15_15
; %bb.14:
	global_load_ushort v9, v[2:3], off offset:640
.LBB15_15:
	s_or_b64 exec, exec, s[0:1]
	v_or_b32_e32 v10, 0x180, v0
	v_cmp_gt_u32_e32 vcc, s28, v10
	v_mov_b32_e32 v10, v1
	s_and_saveexec_b64 s[0:1], vcc
	s_cbranch_execz .LBB15_17
; %bb.16:
	global_load_ushort v10, v[2:3], off offset:768
.LBB15_17:
	s_or_b64 exec, exec, s[0:1]
	v_or_b32_e32 v11, 0x1c0, v0
	v_cmp_gt_u32_e32 vcc, s28, v11
	v_mov_b32_e32 v11, v1
	s_and_saveexec_b64 s[0:1], vcc
	s_cbranch_execz .LBB15_19
; %bb.18:
	global_load_ushort v11, v[2:3], off offset:896
.LBB15_19:
	s_or_b64 exec, exec, s[0:1]
	v_or_b32_e32 v12, 0x200, v0
	v_cmp_gt_u32_e32 vcc, s28, v12
	v_mov_b32_e32 v12, v1
	s_and_saveexec_b64 s[0:1], vcc
	s_cbranch_execz .LBB15_21
; %bb.20:
	global_load_ushort v12, v[2:3], off offset:1024
.LBB15_21:
	s_or_b64 exec, exec, s[0:1]
	v_or_b32_e32 v13, 0x240, v0
	v_cmp_gt_u32_e32 vcc, s28, v13
	v_mov_b32_e32 v13, v1
	s_and_saveexec_b64 s[0:1], vcc
	s_cbranch_execz .LBB15_23
; %bb.22:
	global_load_ushort v13, v[2:3], off offset:1152
.LBB15_23:
	s_or_b64 exec, exec, s[0:1]
	v_or_b32_e32 v14, 0x280, v0
	v_cmp_gt_u32_e32 vcc, s28, v14
	v_mov_b32_e32 v14, v1
	s_and_saveexec_b64 s[0:1], vcc
	s_cbranch_execz .LBB15_25
; %bb.24:
	global_load_ushort v14, v[2:3], off offset:1280
.LBB15_25:
	s_or_b64 exec, exec, s[0:1]
	v_or_b32_e32 v15, 0x2c0, v0
	v_cmp_gt_u32_e32 vcc, s28, v15
	v_mov_b32_e32 v15, v1
	s_and_saveexec_b64 s[0:1], vcc
	s_cbranch_execz .LBB15_27
; %bb.26:
	global_load_ushort v15, v[2:3], off offset:1408
.LBB15_27:
	s_or_b64 exec, exec, s[0:1]
	v_or_b32_e32 v16, 0x300, v0
	v_cmp_gt_u32_e32 vcc, s28, v16
	v_mov_b32_e32 v16, v1
	s_and_saveexec_b64 s[0:1], vcc
	s_cbranch_execz .LBB15_29
; %bb.28:
	global_load_ushort v16, v[2:3], off offset:1536
.LBB15_29:
	s_or_b64 exec, exec, s[0:1]
	v_or_b32_e32 v17, 0x340, v0
	v_cmp_gt_u32_e32 vcc, s28, v17
	v_mov_b32_e32 v17, v1
	s_and_saveexec_b64 s[0:1], vcc
	s_cbranch_execz .LBB15_31
; %bb.30:
	global_load_ushort v17, v[2:3], off offset:1664
.LBB15_31:
	s_or_b64 exec, exec, s[0:1]
	v_or_b32_e32 v18, 0x380, v0
	v_cmp_gt_u32_e32 vcc, s28, v18
	v_mov_b32_e32 v18, v1
	s_and_saveexec_b64 s[0:1], vcc
	s_cbranch_execz .LBB15_33
; %bb.32:
	global_load_ushort v18, v[2:3], off offset:1792
.LBB15_33:
	s_or_b64 exec, exec, s[0:1]
	v_or_b32_e32 v19, 0x3c0, v0
	v_cmp_gt_u32_e32 vcc, s28, v19
	v_mov_b32_e32 v19, v1
	s_and_saveexec_b64 s[0:1], vcc
	s_cbranch_execz .LBB15_35
; %bb.34:
	global_load_ushort v19, v[2:3], off offset:1920
.LBB15_35:
	s_or_b64 exec, exec, s[0:1]
	v_or_b32_e32 v21, 0x400, v0
	v_cmp_gt_u32_e32 vcc, s28, v21
	v_mov_b32_e32 v21, v1
	s_and_saveexec_b64 s[0:1], vcc
	s_cbranch_execz .LBB15_37
; %bb.36:
	global_load_ushort v21, v[2:3], off offset:2048
.LBB15_37:
	s_or_b64 exec, exec, s[0:1]
	v_or_b32_e32 v22, 0x440, v0
	v_cmp_gt_u32_e32 vcc, s28, v22
	v_mov_b32_e32 v22, v1
	s_and_saveexec_b64 s[0:1], vcc
	s_cbranch_execz .LBB15_39
; %bb.38:
	global_load_ushort v22, v[2:3], off offset:2176
.LBB15_39:
	s_or_b64 exec, exec, s[0:1]
	v_or_b32_e32 v23, 0x480, v0
	v_cmp_gt_u32_e32 vcc, s28, v23
	v_mov_b32_e32 v23, v1
	s_and_saveexec_b64 s[0:1], vcc
	s_cbranch_execz .LBB15_41
; %bb.40:
	global_load_ushort v23, v[2:3], off offset:2304
.LBB15_41:
	s_or_b64 exec, exec, s[0:1]
	v_or_b32_e32 v24, 0x4c0, v0
	v_cmp_gt_u32_e32 vcc, s28, v24
	v_mov_b32_e32 v24, v1
	s_and_saveexec_b64 s[0:1], vcc
	s_cbranch_execz .LBB15_43
; %bb.42:
	global_load_ushort v24, v[2:3], off offset:2432
.LBB15_43:
	s_or_b64 exec, exec, s[0:1]
	v_or_b32_e32 v25, 0x500, v0
	v_cmp_gt_u32_e32 vcc, s28, v25
	v_mov_b32_e32 v25, v1
	s_and_saveexec_b64 s[0:1], vcc
	s_cbranch_execz .LBB15_45
; %bb.44:
	global_load_ushort v25, v[2:3], off offset:2560
.LBB15_45:
	s_or_b64 exec, exec, s[0:1]
	v_or_b32_e32 v26, 0x540, v0
	v_cmp_gt_u32_e32 vcc, s28, v26
	v_mov_b32_e32 v26, v1
	s_and_saveexec_b64 s[0:1], vcc
	s_cbranch_execz .LBB15_47
; %bb.46:
	global_load_ushort v26, v[2:3], off offset:2688
.LBB15_47:
	s_or_b64 exec, exec, s[0:1]
	v_or_b32_e32 v27, 0x580, v0
	v_cmp_gt_u32_e32 vcc, s28, v27
	v_mov_b32_e32 v27, v1
	s_and_saveexec_b64 s[0:1], vcc
	s_cbranch_execz .LBB15_49
; %bb.48:
	global_load_ushort v27, v[2:3], off offset:2816
.LBB15_49:
	s_or_b64 exec, exec, s[0:1]
	v_or_b32_e32 v28, 0x5c0, v0
	v_cmp_gt_u32_e32 vcc, s28, v28
	s_and_saveexec_b64 s[0:1], vcc
	s_cbranch_execz .LBB15_51
; %bb.50:
	global_load_ushort v1, v[2:3], off offset:2944
.LBB15_51:
	s_or_b64 exec, exec, s[0:1]
	s_waitcnt vmcnt(0)
	ds_write_b16 v20, v4
	ds_write_b16 v20, v5 offset:128
	ds_write_b16 v20, v6 offset:256
	ds_write_b16 v20, v7 offset:384
	ds_write_b16 v20, v8 offset:512
	ds_write_b16 v20, v9 offset:640
	ds_write_b16 v20, v10 offset:768
	ds_write_b16 v20, v11 offset:896
	ds_write_b16 v20, v12 offset:1024
	ds_write_b16 v20, v13 offset:1152
	ds_write_b16 v20, v14 offset:1280
	ds_write_b16 v20, v15 offset:1408
	ds_write_b16 v20, v16 offset:1536
	ds_write_b16 v20, v17 offset:1664
	ds_write_b16 v20, v18 offset:1792
	ds_write_b16 v20, v19 offset:1920
	ds_write_b16 v20, v21 offset:2048
	ds_write_b16 v20, v22 offset:2176
	ds_write_b16 v20, v23 offset:2304
	ds_write_b16 v20, v24 offset:2432
	ds_write_b16 v20, v25 offset:2560
	ds_write_b16 v20, v26 offset:2688
	ds_write_b16 v20, v27 offset:2816
	ds_write_b16 v20, v1 offset:2944
	s_waitcnt lgkmcnt(0)
	; wave barrier
.LBB15_52:
	v_mul_u32_u24_e32 v21, 24, v0
	v_lshlrev_b32_e32 v22, 1, v21
	s_waitcnt lgkmcnt(0)
	ds_read_b128 v[10:13], v22
	ds_read_b128 v[6:9], v22 offset:16
	ds_read_b128 v[2:5], v22 offset:32
	s_load_dwordx2 s[24:25], s[4:5], 0x20
	s_cmp_lg_u32 s6, 0
	v_mbcnt_lo_u32_b32 v56, -1, 0
	s_waitcnt lgkmcnt(0)
	v_lshrrev_b32_e32 v44, 16, v11
	v_lshrrev_b32_e32 v40, 16, v12
	;; [unrolled: 1-line block ×11, first 2 shown]
	v_lshlrev_b32_e32 v54, 16, v11
	v_lshlrev_b32_e32 v53, 16, v44
	;; [unrolled: 1-line block ×22, first 2 shown]
	v_lshrrev_b32_e32 v55, 16, v10
	v_cmp_eq_u32_e32 vcc, 63, v0
	s_waitcnt lgkmcnt(0)
	; wave barrier
	s_cbranch_scc0 .LBB15_79
; %bb.53:
	v_and_b32_e32 v57, 0xffff0000, v10
	v_lshlrev_b32_e32 v58, 16, v10
	v_cmp_lt_f32_e64 s[0:1], v58, v57
	v_cndmask_b32_e64 v14, v10, v55, s[0:1]
	v_lshlrev_b32_e32 v15, 16, v14
	v_cmp_lt_f32_e64 s[0:1], v15, v54
	v_cndmask_b32_e64 v14, v14, v11, s[0:1]
	;; [unrolled: 3-line block ×23, first 2 shown]
	v_and_b32_e32 v17, 0xffff, v14
	v_lshlrev_b32_e32 v59, 16, v14
	v_mbcnt_hi_u32_b32 v15, -1, v56
	v_mov_b32_dpp v18, v17 row_shr:1 row_mask:0xf bank_mask:0xf
	v_lshlrev_b32_e32 v19, 16, v18
	v_cmp_lt_f32_e64 s[0:1], v19, v59
	v_and_b32_e32 v16, 15, v15
	v_cndmask_b32_e64 v18, v18, v14, s[0:1]
	v_and_b32_e32 v19, 0xffff, v18
	v_cmp_eq_u32_e64 s[0:1], 0, v16
	v_cndmask_b32_e64 v17, v19, v17, s[0:1]
	v_cndmask_b32_e64 v14, v18, v14, s[0:1]
	v_lshlrev_b32_e32 v19, 16, v17
	v_mov_b32_dpp v18, v17 row_shr:2 row_mask:0xf bank_mask:0xf
	v_lshlrev_b32_e32 v59, 16, v18
	v_cmp_lt_f32_e64 s[0:1], v59, v19
	v_cndmask_b32_e64 v18, v18, v14, s[0:1]
	v_and_b32_e32 v19, 0xffff, v18
	v_cmp_lt_u32_e64 s[0:1], 1, v16
	v_cndmask_b32_e64 v17, v17, v19, s[0:1]
	v_cndmask_b32_e64 v14, v14, v18, s[0:1]
	v_lshlrev_b32_e32 v19, 16, v17
	v_mov_b32_dpp v18, v17 row_shr:4 row_mask:0xf bank_mask:0xf
	v_lshlrev_b32_e32 v59, 16, v18
	v_cmp_lt_f32_e64 s[0:1], v59, v19
	v_cndmask_b32_e64 v18, v18, v14, s[0:1]
	v_and_b32_e32 v19, 0xffff, v18
	v_cmp_lt_u32_e64 s[0:1], 3, v16
	;; [unrolled: 9-line block ×3, first 2 shown]
	v_cndmask_b32_e64 v16, v17, v19, s[0:1]
	v_lshlrev_b32_e32 v19, 16, v16
	v_cndmask_b32_e64 v14, v14, v18, s[0:1]
	v_mov_b32_dpp v17, v16 row_bcast:15 row_mask:0xf bank_mask:0xf
	v_lshlrev_b32_e32 v59, 16, v17
	v_cmp_lt_f32_e64 s[0:1], v59, v19
	v_and_b32_e32 v18, 16, v15
	v_cndmask_b32_e64 v17, v17, v14, s[0:1]
	v_and_b32_e32 v19, 0xffff, v17
	v_cmp_eq_u32_e64 s[0:1], 0, v18
	v_cndmask_b32_e64 v16, v19, v16, s[0:1]
	v_cndmask_b32_e64 v14, v17, v14, s[0:1]
	s_nop 0
	v_mov_b32_dpp v17, v16 row_bcast:31 row_mask:0xf bank_mask:0xf
	v_lshlrev_b32_e32 v16, 16, v16
	v_lshlrev_b32_e32 v18, 16, v17
	v_cmp_lt_f32_e64 s[0:1], v18, v16
	v_cndmask_b32_e64 v16, v17, v14, s[0:1]
	v_cmp_lt_u32_e64 s[0:1], 31, v15
	v_cndmask_b32_e64 v14, v14, v16, s[0:1]
	s_and_saveexec_b64 s[0:1], vcc
	s_cbranch_execz .LBB15_55
; %bb.54:
	v_mov_b32_e32 v16, 0
	ds_write_b16 v16, v14
.LBB15_55:
	s_or_b64 exec, exec, s[0:1]
	v_add_u32_e32 v16, -1, v15
	v_and_b32_e32 v17, 64, v15
	v_cmp_lt_i32_e32 vcc, v16, v17
	v_cndmask_b32_e32 v16, v16, v15, vcc
	v_and_b32_e32 v14, 0xffff, v14
	v_lshlrev_b32_e32 v16, 2, v16
	ds_bpermute_b32 v59, v16, v14
	v_cmp_gt_u32_e32 vcc, 64, v0
	s_waitcnt lgkmcnt(0)
	; wave barrier
	s_waitcnt lgkmcnt(0)
	s_and_saveexec_b64 s[26:27], vcc
	s_cbranch_execz .LBB15_78
; %bb.56:
	v_mov_b32_e32 v17, 0
	ds_read_u16 v60, v17
	s_mov_b32 s9, 0
	v_cmp_eq_u32_e64 s[0:1], 0, v15
	s_and_saveexec_b64 s[2:3], s[0:1]
	s_cbranch_execz .LBB15_58
; %bb.57:
	s_add_i32 s8, s6, 64
	s_lshl_b64 s[8:9], s[8:9], 2
	s_add_u32 s8, s24, s8
	s_addc_u32 s9, s25, s9
	s_waitcnt lgkmcnt(0)
	v_or_b32_e32 v14, 0x10000, v60
	global_store_dword v17, v14, s[8:9]
.LBB15_58:
	s_or_b64 exec, exec, s[2:3]
	v_xad_u32 v14, v15, -1, s6
	v_add_u32_e32 v16, 64, v14
	v_lshlrev_b64 v[18:19], 2, v[16:17]
	v_mov_b32_e32 v16, s25
	v_add_co_u32_e32 v18, vcc, s24, v18
	v_addc_co_u32_e32 v19, vcc, v16, v19, vcc
	global_load_dword v76, v[18:19], off glc
	s_waitcnt vmcnt(0)
	v_lshrrev_b32_e32 v62, 16, v76
	v_cmp_eq_u16_sdwa s[8:9], v62, v17 src0_sel:BYTE_0 src1_sel:DWORD
	s_and_saveexec_b64 s[2:3], s[8:9]
	s_cbranch_execz .LBB15_62
; %bb.59:
	s_mov_b64 s[8:9], 0
	v_mov_b32_e32 v16, 0
.LBB15_60:                              ; =>This Inner Loop Header: Depth=1
	global_load_dword v76, v[18:19], off glc
	s_waitcnt vmcnt(0)
	v_lshrrev_b32_e32 v62, 16, v76
	v_cmp_ne_u16_sdwa s[10:11], v62, v16 src0_sel:BYTE_0 src1_sel:DWORD
	s_or_b64 s[8:9], s[10:11], s[8:9]
	s_andn2_b64 exec, exec, s[8:9]
	s_cbranch_execnz .LBB15_60
; %bb.61:
	s_or_b64 exec, exec, s[8:9]
.LBB15_62:
	s_or_b64 exec, exec, s[2:3]
	v_and_b32_e32 v73, 63, v15
	v_cmp_ne_u32_e32 vcc, 63, v73
	v_addc_co_u32_e32 v63, vcc, 0, v15, vcc
	v_mov_b32_e32 v61, 2
	v_and_b32_e32 v65, 0xffff, v76
	v_lshlrev_b32_e32 v63, 2, v63
	v_cmp_eq_u16_sdwa s[2:3], v62, v61 src0_sel:BYTE_0 src1_sel:DWORD
	v_lshlrev_b64 v[16:17], v15, -1
	ds_bpermute_b32 v66, v63, v65
	v_and_b32_e32 v18, s3, v17
	v_or_b32_e32 v18, 0x80000000, v18
	v_and_b32_e32 v19, s2, v16
	v_ffbl_b32_e32 v18, v18
	v_add_u32_e32 v18, 32, v18
	v_ffbl_b32_e32 v19, v19
	v_min_u32_e32 v78, v19, v18
	s_waitcnt lgkmcnt(0)
	v_lshlrev_b32_e32 v18, 16, v66
	v_lshlrev_b32_e32 v19, 16, v76
	v_cmp_lt_f32_e32 vcc, v18, v19
	v_add_u32_e32 v64, 1, v15
	v_cndmask_b32_e32 v18, v66, v76, vcc
	v_and_b32_e32 v19, 0xffff, v18
	v_cmp_le_u32_e64 s[8:9], v64, v78
	v_cmp_gt_u32_e32 vcc, 62, v73
	v_cndmask_b32_e64 v19, v65, v19, s[8:9]
	v_cndmask_b32_e64 v65, 0, 1, vcc
	v_lshlrev_b32_e32 v65, 1, v65
	v_add_lshl_u32 v65, v65, v15, 2
	ds_bpermute_b32 v67, v65, v19
	v_lshlrev_b32_e32 v68, 16, v19
	v_cndmask_b32_e64 v18, v76, v18, s[8:9]
	v_add_u32_e32 v66, 2, v15
	v_cmp_le_u32_e64 s[10:11], v66, v78
	s_waitcnt lgkmcnt(0)
	v_lshlrev_b32_e32 v69, 16, v67
	v_cmp_lt_f32_e32 vcc, v69, v68
	v_cndmask_b32_e32 v68, v67, v18, vcc
	v_and_b32_e32 v67, 0xffff, v68
	v_cmp_gt_u32_e32 vcc, 60, v73
	v_cndmask_b32_e64 v19, v19, v67, s[10:11]
	v_cndmask_b32_e64 v67, 0, 1, vcc
	v_lshlrev_b32_e32 v67, 2, v67
	v_add_lshl_u32 v67, v67, v15, 2
	ds_bpermute_b32 v69, v67, v19
	v_lshlrev_b32_e32 v70, 16, v19
	v_cndmask_b32_e64 v18, v18, v68, s[10:11]
	v_add_u32_e32 v68, 4, v15
	v_cmp_le_u32_e64 s[12:13], v68, v78
	s_waitcnt lgkmcnt(0)
	v_lshlrev_b32_e32 v71, 16, v69
	v_cmp_lt_f32_e32 vcc, v71, v70
	v_cndmask_b32_e32 v70, v69, v18, vcc
	v_and_b32_e32 v69, 0xffff, v70
	;; [unrolled: 15-line block ×3, first 2 shown]
	v_cmp_gt_u32_e32 vcc, 48, v73
	v_cndmask_b32_e64 v74, v19, v71, s[14:15]
	v_cndmask_b32_e64 v19, 0, 1, vcc
	v_lshlrev_b32_e32 v19, 4, v19
	v_add_lshl_u32 v71, v19, v15, 2
	ds_bpermute_b32 v19, v71, v74
	v_lshlrev_b32_e32 v75, 16, v74
	v_cndmask_b32_e64 v18, v18, v72, s[14:15]
	v_add_u32_e32 v72, 16, v15
	v_cmp_gt_u32_e64 s[2:3], 32, v73
	s_waitcnt lgkmcnt(0)
	v_lshlrev_b32_e32 v77, 16, v19
	v_cmp_lt_f32_e32 vcc, v77, v75
	v_cndmask_b32_e32 v19, v19, v18, vcc
	v_and_b32_e32 v75, 0xffff, v19
	v_cmp_le_u32_e32 vcc, v72, v78
	v_cndmask_b32_e64 v73, 0, 1, s[2:3]
	v_cndmask_b32_e32 v75, v74, v75, vcc
	v_lshlrev_b32_e32 v73, 5, v73
	v_add_u32_e32 v74, 32, v15
	v_add_lshl_u32 v73, v73, v15, 2
	v_cmp_le_u32_e64 s[16:17], v74, v78
	ds_bpermute_b32 v77, v73, v75
	s_or_b64 s[10:11], s[10:11], s[16:17]
	s_or_b64 s[8:9], s[8:9], s[10:11]
	;; [unrolled: 1-line block ×4, first 2 shown]
	v_cmp_gt_u32_e64 s[2:3], v74, v78
	s_or_b64 s[10:11], vcc, s[8:9]
	s_and_saveexec_b64 s[8:9], s[10:11]
	s_cbranch_execz .LBB15_64
; %bb.63:
	v_cndmask_b32_e32 v15, v18, v19, vcc
	s_waitcnt lgkmcnt(0)
	v_lshlrev_b32_e32 v18, 16, v77
	v_lshlrev_b32_e32 v19, 16, v75
	v_cmp_lt_f32_e32 vcc, v18, v19
	s_or_b64 vcc, s[2:3], vcc
	v_cndmask_b32_e32 v76, v77, v15, vcc
.LBB15_64:
	s_or_b64 exec, exec, s[8:9]
	v_mov_b32_e32 v15, 0
	s_branch .LBB15_66
.LBB15_65:                              ;   in Loop: Header=BB15_66 Depth=1
                                        ; implicit-def: $vgpr76
                                        ; implicit-def: $vgpr62
	s_cbranch_execnz .LBB15_74
.LBB15_66:                              ; =>This Loop Header: Depth=1
                                        ;     Child Loop BB15_69 Depth 2
	v_cmp_ne_u16_sdwa s[2:3], v62, v61 src0_sel:BYTE_0 src1_sel:DWORD
	v_cndmask_b32_e64 v18, 0, 1, s[2:3]
	;;#ASMSTART
	;;#ASMEND
	v_cmp_ne_u32_e32 vcc, 0, v18
	s_cmp_lg_u64 vcc, exec
	v_mov_b32_e32 v75, v76
	s_cbranch_scc1 .LBB15_65
; %bb.67:                               ;   in Loop: Header=BB15_66 Depth=1
	v_lshlrev_b64 v[18:19], 2, v[14:15]
	v_mov_b32_e32 v62, s25
	v_add_co_u32_e32 v18, vcc, s24, v18
	v_addc_co_u32_e32 v19, vcc, v62, v19, vcc
	global_load_dword v76, v[18:19], off glc
	s_waitcnt vmcnt(0)
	v_lshrrev_b32_e32 v62, 16, v76
	v_cmp_eq_u16_sdwa s[8:9], v62, v15 src0_sel:BYTE_0 src1_sel:DWORD
	s_and_saveexec_b64 s[2:3], s[8:9]
	s_cbranch_execz .LBB15_71
; %bb.68:                               ;   in Loop: Header=BB15_66 Depth=1
	s_mov_b64 s[8:9], 0
.LBB15_69:                              ;   Parent Loop BB15_66 Depth=1
                                        ; =>  This Inner Loop Header: Depth=2
	global_load_dword v76, v[18:19], off glc
	s_waitcnt vmcnt(0)
	v_lshrrev_b32_e32 v62, 16, v76
	v_cmp_ne_u16_sdwa s[10:11], v62, v15 src0_sel:BYTE_0 src1_sel:DWORD
	s_or_b64 s[8:9], s[10:11], s[8:9]
	s_andn2_b64 exec, exec, s[8:9]
	s_cbranch_execnz .LBB15_69
; %bb.70:                               ;   in Loop: Header=BB15_66 Depth=1
	s_or_b64 exec, exec, s[8:9]
.LBB15_71:                              ;   in Loop: Header=BB15_66 Depth=1
	s_or_b64 exec, exec, s[2:3]
	s_waitcnt lgkmcnt(0)
	v_and_b32_e32 v77, 0xffff, v76
	v_cmp_eq_u16_sdwa s[2:3], v62, v61 src0_sel:BYTE_0 src1_sel:DWORD
	ds_bpermute_b32 v78, v63, v77
	v_and_b32_e32 v18, s3, v17
	v_or_b32_e32 v18, 0x80000000, v18
	v_and_b32_e32 v19, s2, v16
	v_ffbl_b32_e32 v18, v18
	v_add_u32_e32 v18, 32, v18
	v_ffbl_b32_e32 v19, v19
	v_min_u32_e32 v79, v19, v18
	v_lshlrev_b32_e32 v18, 16, v76
	s_waitcnt lgkmcnt(0)
	v_lshlrev_b32_e32 v19, 16, v78
	v_cmp_lt_f32_e32 vcc, v19, v18
	v_cndmask_b32_e32 v18, v78, v76, vcc
	v_and_b32_e32 v19, 0xffff, v18
	v_cmp_le_u32_e64 s[8:9], v64, v79
	v_cndmask_b32_e64 v19, v77, v19, s[8:9]
	ds_bpermute_b32 v77, v65, v19
	v_lshlrev_b32_e32 v78, 16, v19
	v_cndmask_b32_e64 v18, v76, v18, s[8:9]
	v_cmp_le_u32_e64 s[10:11], v66, v79
	v_cmp_le_u32_e64 s[12:13], v68, v79
	s_waitcnt lgkmcnt(0)
	v_lshlrev_b32_e32 v80, 16, v77
	v_cmp_lt_f32_e32 vcc, v80, v78
	v_cndmask_b32_e32 v77, v77, v18, vcc
	v_and_b32_e32 v78, 0xffff, v77
	v_cndmask_b32_e64 v19, v19, v78, s[10:11]
	ds_bpermute_b32 v78, v67, v19
	v_cndmask_b32_e64 v18, v18, v77, s[10:11]
	v_lshlrev_b32_e32 v77, 16, v19
	v_cmp_le_u32_e64 s[14:15], v70, v79
	v_cmp_le_u32_e64 s[2:3], v72, v79
	s_waitcnt lgkmcnt(0)
	v_lshlrev_b32_e32 v80, 16, v78
	v_cmp_lt_f32_e32 vcc, v80, v77
	v_cndmask_b32_e32 v77, v78, v18, vcc
	v_and_b32_e32 v78, 0xffff, v77
	v_cndmask_b32_e64 v19, v19, v78, s[12:13]
	ds_bpermute_b32 v78, v69, v19
	v_cndmask_b32_e64 v18, v18, v77, s[12:13]
	v_lshlrev_b32_e32 v77, 16, v19
	v_cmp_le_u32_e64 s[16:17], v74, v79
	s_or_b64 s[10:11], s[10:11], s[16:17]
	s_waitcnt lgkmcnt(0)
	v_lshlrev_b32_e32 v80, 16, v78
	v_cmp_lt_f32_e32 vcc, v80, v77
	v_cndmask_b32_e32 v77, v78, v18, vcc
	v_and_b32_e32 v78, 0xffff, v77
	v_cndmask_b32_e64 v19, v19, v78, s[14:15]
	ds_bpermute_b32 v78, v71, v19
	v_cndmask_b32_e64 v18, v18, v77, s[14:15]
	v_lshlrev_b32_e32 v77, 16, v19
	s_or_b64 s[8:9], s[8:9], s[10:11]
	s_or_b64 s[8:9], s[12:13], s[8:9]
	s_waitcnt lgkmcnt(0)
	v_lshlrev_b32_e32 v80, 16, v78
	v_cmp_lt_f32_e32 vcc, v80, v77
	v_cndmask_b32_e32 v77, v78, v18, vcc
	v_and_b32_e32 v78, 0xffff, v77
	v_cndmask_b32_e64 v78, v19, v78, s[2:3]
	ds_bpermute_b32 v19, v73, v78
	s_or_b64 s[8:9], s[14:15], s[8:9]
	v_cmp_gt_u32_e32 vcc, v74, v79
	s_or_b64 s[10:11], s[2:3], s[8:9]
	s_and_saveexec_b64 s[8:9], s[10:11]
	s_cbranch_execz .LBB15_73
; %bb.72:                               ;   in Loop: Header=BB15_66 Depth=1
	v_cndmask_b32_e64 v18, v18, v77, s[2:3]
	s_waitcnt lgkmcnt(0)
	v_lshlrev_b32_e32 v76, 16, v19
	v_lshlrev_b32_e32 v77, 16, v78
	v_cmp_lt_f32_e64 s[2:3], v76, v77
	s_or_b64 vcc, vcc, s[2:3]
	v_cndmask_b32_e32 v76, v19, v18, vcc
.LBB15_73:                              ;   in Loop: Header=BB15_66 Depth=1
	s_or_b64 exec, exec, s[8:9]
	v_lshlrev_b32_e32 v18, 16, v75
	s_waitcnt lgkmcnt(0)
	v_lshlrev_b32_e32 v19, 16, v76
	v_cmp_lt_f32_e32 vcc, v19, v18
	v_subrev_u32_e32 v14, 64, v14
	v_cndmask_b32_e32 v76, v76, v75, vcc
	s_branch .LBB15_66
.LBB15_74:
	s_and_saveexec_b64 s[2:3], s[0:1]
	s_cbranch_execz .LBB15_76
; %bb.75:
	v_lshlrev_b32_e32 v14, 16, v60
	v_lshlrev_b32_e32 v15, 16, v75
	s_add_i32 s0, s6, 64
	s_mov_b32 s1, 0
	v_cmp_lt_f32_e32 vcc, v15, v14
	s_lshl_b64 s[0:1], s[0:1], 2
	v_cndmask_b32_e32 v14, v75, v60, vcc
	s_add_u32 s0, s24, s0
	s_mov_b32 s6, 0x20000
	s_addc_u32 s1, s25, s1
	v_mov_b32_e32 v15, 0
	v_or_b32_sdwa v14, v14, s6 dst_sel:DWORD dst_unused:UNUSED_PAD src0_sel:WORD_0 src1_sel:DWORD
	global_store_dword v15, v14, s[0:1]
.LBB15_76:
	s_or_b64 exec, exec, s[2:3]
	v_cmp_eq_u32_e32 vcc, 0, v0
	s_and_b64 exec, exec, vcc
	s_cbranch_execz .LBB15_78
; %bb.77:
	v_mov_b32_e32 v14, 0
	ds_write_b16 v14, v75
.LBB15_78:
	s_or_b64 exec, exec, s[26:27]
	v_mov_b32_e32 v14, 0
	s_waitcnt lgkmcnt(0)
	; wave barrier
	s_waitcnt lgkmcnt(0)
	ds_read_u16 v14, v14
	v_lshlrev_b32_e32 v15, 16, v59
	v_cmp_eq_u32_e32 vcc, 0, v0
	v_cmp_gt_f32_e64 s[0:1], v58, v15
	s_or_b64 vcc, vcc, s[0:1]
	v_cndmask_b32_e32 v15, v59, v10, vcc
	v_lshlrev_b32_e32 v16, 16, v15
	s_waitcnt lgkmcnt(0)
	v_lshlrev_b32_e32 v17, 16, v14
	v_cmp_lt_f32_e32 vcc, v17, v16
	v_cndmask_b32_e32 v14, v14, v15, vcc
	v_lshlrev_b32_e32 v15, 16, v14
	v_cmp_gt_f32_e32 vcc, v57, v15
	v_cndmask_b32_e32 v15, v14, v55, vcc
	v_lshlrev_b32_e32 v16, 16, v15
	v_cmp_gt_f32_e32 vcc, v54, v16
	v_cndmask_b32_e32 v16, v15, v11, vcc
	v_lshlrev_b32_e32 v17, 16, v16
	v_cmp_gt_f32_e32 vcc, v53, v17
	v_cndmask_b32_e32 v17, v16, v44, vcc
	v_lshlrev_b32_e32 v18, 16, v17
	v_cmp_gt_f32_e32 vcc, v52, v18
	v_cndmask_b32_e32 v18, v17, v12, vcc
	v_lshlrev_b32_e32 v19, 16, v18
	v_cmp_gt_f32_e32 vcc, v51, v19
	v_cndmask_b32_e32 v19, v18, v40, vcc
	v_lshlrev_b32_e32 v57, 16, v19
	v_cmp_gt_f32_e32 vcc, v50, v57
	v_cndmask_b32_e32 v57, v19, v13, vcc
	v_lshlrev_b32_e32 v58, 16, v57
	v_cmp_gt_f32_e32 vcc, v49, v58
	v_cndmask_b32_e32 v59, v57, v37, vcc
	v_lshlrev_b32_e32 v58, 16, v59
	v_cmp_gt_f32_e32 vcc, v48, v58
	v_cndmask_b32_e32 v58, v59, v6, vcc
	v_lshlrev_b32_e32 v60, 16, v58
	v_cmp_gt_f32_e32 vcc, v47, v60
	v_cndmask_b32_e32 v60, v58, v33, vcc
	v_lshlrev_b32_e32 v61, 16, v60
	v_cmp_gt_f32_e32 vcc, v46, v61
	v_cndmask_b32_e32 v61, v60, v7, vcc
	v_lshlrev_b32_e32 v62, 16, v61
	v_cmp_gt_f32_e32 vcc, v45, v62
	v_cndmask_b32_e32 v62, v61, v30, vcc
	v_lshlrev_b32_e32 v63, 16, v62
	v_cmp_gt_f32_e32 vcc, v43, v63
	v_cndmask_b32_e32 v63, v62, v8, vcc
	v_lshlrev_b32_e32 v64, 16, v63
	v_cmp_gt_f32_e32 vcc, v42, v64
	v_cndmask_b32_e32 v64, v63, v27, vcc
	v_lshlrev_b32_e32 v65, 16, v64
	v_cmp_gt_f32_e32 vcc, v41, v65
	v_cndmask_b32_e32 v65, v64, v9, vcc
	v_lshlrev_b32_e32 v66, 16, v65
	v_cmp_gt_f32_e32 vcc, v39, v66
	v_cndmask_b32_e32 v67, v65, v26, vcc
	v_lshlrev_b32_e32 v66, 16, v67
	v_cmp_gt_f32_e32 vcc, v38, v66
	v_cndmask_b32_e32 v66, v67, v2, vcc
	v_lshlrev_b32_e32 v68, 16, v66
	v_cmp_gt_f32_e32 vcc, v36, v68
	v_cndmask_b32_e32 v68, v66, v25, vcc
	v_lshlrev_b32_e32 v69, 16, v68
	v_cmp_gt_f32_e32 vcc, v35, v69
	v_cndmask_b32_e32 v69, v68, v3, vcc
	v_lshlrev_b32_e32 v70, 16, v69
	v_cmp_gt_f32_e32 vcc, v34, v70
	v_cndmask_b32_e32 v70, v69, v24, vcc
	v_lshlrev_b32_e32 v71, 16, v70
	v_cmp_gt_f32_e32 vcc, v32, v71
	v_cndmask_b32_e32 v71, v70, v4, vcc
	v_lshlrev_b32_e32 v72, 16, v71
	v_cmp_gt_f32_e32 vcc, v31, v72
	v_cndmask_b32_e32 v72, v71, v23, vcc
	v_lshlrev_b32_e32 v73, 16, v72
	v_cmp_gt_f32_e32 vcc, v29, v73
	v_cndmask_b32_e32 v73, v72, v5, vcc
	v_lshlrev_b32_e32 v74, 16, v73
	v_cmp_gt_f32_e32 vcc, v28, v74
	v_cndmask_b32_e32 v74, v73, v1, vcc
	s_load_dwordx4 s[0:3], s[4:5], 0x30
	s_branch .LBB15_87
.LBB15_79:
                                        ; implicit-def: $vgpr14
                                        ; implicit-def: $vgpr15
                                        ; implicit-def: $vgpr16
                                        ; implicit-def: $vgpr17
                                        ; implicit-def: $vgpr18
                                        ; implicit-def: $vgpr19
                                        ; implicit-def: $vgpr57
                                        ; implicit-def: $vgpr59
                                        ; implicit-def: $vgpr58
                                        ; implicit-def: $vgpr60
                                        ; implicit-def: $vgpr61
                                        ; implicit-def: $vgpr62
                                        ; implicit-def: $vgpr63
                                        ; implicit-def: $vgpr64
                                        ; implicit-def: $vgpr65
                                        ; implicit-def: $vgpr67
                                        ; implicit-def: $vgpr66
                                        ; implicit-def: $vgpr68
                                        ; implicit-def: $vgpr69
                                        ; implicit-def: $vgpr70
                                        ; implicit-def: $vgpr71
                                        ; implicit-def: $vgpr72
                                        ; implicit-def: $vgpr73
                                        ; implicit-def: $vgpr74
	s_load_dwordx4 s[0:3], s[4:5], 0x30
	s_cbranch_execz .LBB15_87
; %bb.80:
	s_load_dword s6, s[4:5], 0x40
	v_cmp_eq_u32_e32 vcc, 0, v0
	v_mov_b32_e32 v14, v10
	s_waitcnt lgkmcnt(0)
	s_bitcmp1_b32 s6, 0
	s_cselect_b64 s[6:7], -1, 0
	s_and_b64 s[8:9], vcc, s[6:7]
	s_and_saveexec_b64 s[6:7], s[8:9]
	s_cbranch_execz .LBB15_82
; %bb.81:
	v_mov_b32_e32 v14, 0
	global_load_ushort v14, v14, s[0:1]
	v_lshlrev_b32_e32 v15, 16, v10
	s_waitcnt vmcnt(0)
	v_lshlrev_b32_e32 v16, 16, v14
	v_cmp_lt_f32_e64 s[0:1], v16, v15
	v_cndmask_b32_e64 v14, v14, v10, s[0:1]
.LBB15_82:
	s_or_b64 exec, exec, s[6:7]
	v_and_b32_e32 v10, 0xffff0000, v10
	v_lshlrev_b32_e32 v15, 16, v14
	v_cmp_lt_f32_e64 s[0:1], v15, v10
	v_cndmask_b32_e64 v16, v14, v55, s[0:1]
	v_lshlrev_b32_e32 v17, 16, v16
	v_cmp_lt_f32_e64 s[0:1], v17, v54
	v_cndmask_b32_e64 v16, v16, v11, s[0:1]
	;; [unrolled: 3-line block ×23, first 2 shown]
	v_and_b32_e32 v19, 0xffff, v17
	v_mbcnt_hi_u32_b32 v16, -1, v56
	v_lshlrev_b32_e32 v58, 16, v17
	v_mov_b32_dpp v56, v19 row_shr:1 row_mask:0xf bank_mask:0xf
	v_lshlrev_b32_e32 v57, 16, v56
	v_cmp_lt_f32_e64 s[0:1], v57, v58
	v_and_b32_e32 v18, 15, v16
	v_cndmask_b32_e64 v56, v56, v17, s[0:1]
	v_and_b32_e32 v57, 0xffff, v56
	v_cmp_eq_u32_e64 s[0:1], 0, v18
	v_cndmask_b32_e64 v19, v57, v19, s[0:1]
	v_cndmask_b32_e64 v17, v56, v17, s[0:1]
	v_lshlrev_b32_e32 v57, 16, v19
	v_mov_b32_dpp v56, v19 row_shr:2 row_mask:0xf bank_mask:0xf
	v_lshlrev_b32_e32 v58, 16, v56
	v_cmp_lt_f32_e64 s[0:1], v58, v57
	v_cndmask_b32_e64 v56, v56, v17, s[0:1]
	v_and_b32_e32 v57, 0xffff, v56
	v_cmp_lt_u32_e64 s[0:1], 1, v18
	v_cndmask_b32_e64 v19, v19, v57, s[0:1]
	v_cndmask_b32_e64 v17, v17, v56, s[0:1]
	v_lshlrev_b32_e32 v57, 16, v19
	v_mov_b32_dpp v56, v19 row_shr:4 row_mask:0xf bank_mask:0xf
	v_lshlrev_b32_e32 v58, 16, v56
	v_cmp_lt_f32_e64 s[0:1], v58, v57
	v_cndmask_b32_e64 v56, v56, v17, s[0:1]
	v_and_b32_e32 v57, 0xffff, v56
	v_cmp_lt_u32_e64 s[0:1], 3, v18
	;; [unrolled: 9-line block ×3, first 2 shown]
	v_cndmask_b32_e64 v18, v19, v57, s[0:1]
	v_lshlrev_b32_e32 v57, 16, v18
	v_cndmask_b32_e64 v17, v17, v56, s[0:1]
	v_mov_b32_dpp v19, v18 row_bcast:15 row_mask:0xf bank_mask:0xf
	v_lshlrev_b32_e32 v58, 16, v19
	v_cmp_lt_f32_e64 s[0:1], v58, v57
	v_and_b32_e32 v56, 16, v16
	v_cndmask_b32_e64 v19, v19, v17, s[0:1]
	v_and_b32_e32 v57, 0xffff, v19
	v_cmp_eq_u32_e64 s[0:1], 0, v56
	v_cndmask_b32_e64 v18, v57, v18, s[0:1]
	v_cndmask_b32_e64 v17, v19, v17, s[0:1]
	s_nop 0
	v_mov_b32_dpp v19, v18 row_bcast:31 row_mask:0xf bank_mask:0xf
	v_lshlrev_b32_e32 v18, 16, v18
	v_lshlrev_b32_e32 v56, 16, v19
	v_cmp_lt_f32_e64 s[0:1], v56, v18
	v_cndmask_b32_e64 v18, v19, v17, s[0:1]
	v_cmp_lt_u32_e64 s[0:1], 31, v16
	v_cndmask_b32_e64 v17, v17, v18, s[0:1]
	v_cmp_eq_u32_e64 s[0:1], 63, v0
	s_and_saveexec_b64 s[6:7], s[0:1]
	s_cbranch_execz .LBB15_84
; %bb.83:
	v_mov_b32_e32 v18, 0
	ds_write_b16 v18, v17
.LBB15_84:
	s_or_b64 exec, exec, s[6:7]
	v_add_u32_e32 v18, -1, v16
	v_and_b32_e32 v19, 64, v16
	v_cmp_lt_i32_e64 s[0:1], v18, v19
	v_cndmask_b32_e64 v16, v18, v16, s[0:1]
	v_and_b32_e32 v17, 0xffff, v17
	v_lshlrev_b32_e32 v16, 2, v16
	ds_bpermute_b32 v16, v16, v17
	s_waitcnt lgkmcnt(0)
	; wave barrier
	s_waitcnt lgkmcnt(0)
	v_lshlrev_b32_e32 v17, 16, v16
	v_cmp_gt_f32_e64 s[0:1], v15, v17
	s_or_b64 s[0:1], vcc, s[0:1]
	v_cndmask_b32_e64 v14, v16, v14, s[0:1]
	v_lshlrev_b32_e32 v15, 16, v14
	v_cmp_gt_f32_e64 s[0:1], v10, v15
	v_cndmask_b32_e64 v15, v14, v55, s[0:1]
	v_lshlrev_b32_e32 v10, 16, v15
	v_cmp_gt_f32_e64 s[0:1], v54, v10
	;; [unrolled: 3-line block ×23, first 2 shown]
	s_and_saveexec_b64 s[6:7], vcc
	s_cbranch_execz .LBB15_86
; %bb.85:
	v_mov_b32_e32 v2, 0
	ds_read_u16 v3, v2
	s_waitcnt lgkmcnt(0)
	v_or_b32_e32 v3, 0x20000, v3
	global_store_dword v2, v3, s[24:25] offset:256
.LBB15_86:
	s_or_b64 exec, exec, s[6:7]
	v_cndmask_b32_e64 v74, v73, v1, s[0:1]
.LBB15_87:
	s_waitcnt lgkmcnt(0)
	s_add_u32 s0, s18, s22
	s_addc_u32 s1, s19, s23
	s_mov_b64 s[6:7], -1
	s_and_b64 vcc, exec, s[20:21]
	s_waitcnt lgkmcnt(0)
	; wave barrier
	s_cbranch_vccz .LBB15_89
; %bb.88:
	s_mov_b32 s6, 0x5040100
	v_perm_b32 v5, v59, v57, s6
	v_perm_b32 v4, v19, v18, s6
	;; [unrolled: 1-line block ×4, first 2 shown]
	ds_write_b128 v22, v[2:5]
	v_perm_b32 v5, v67, v65, s6
	v_perm_b32 v4, v64, v63, s6
	;; [unrolled: 1-line block ×4, first 2 shown]
	ds_write_b128 v22, v[2:5] offset:16
	v_perm_b32 v5, v74, v73, s6
	v_perm_b32 v4, v72, v71, s6
	v_perm_b32 v3, v70, v69, s6
	v_perm_b32 v2, v68, v66, s6
	ds_write_b128 v22, v[2:5] offset:32
	s_waitcnt lgkmcnt(0)
	; wave barrier
	s_waitcnt lgkmcnt(0)
	ds_read_u16 v1, v20
	ds_read_u16 v2, v20 offset:128
	ds_read_u16 v3, v20 offset:256
	;; [unrolled: 1-line block ×23, first 2 shown]
	s_waitcnt lgkmcnt(14)
	global_store_short v20, v1, s[0:1]
	global_store_short v20, v2, s[0:1] offset:128
	global_store_short v20, v3, s[0:1] offset:256
	global_store_short v20, v4, s[0:1] offset:384
	global_store_short v20, v5, s[0:1] offset:512
	global_store_short v20, v6, s[0:1] offset:640
	global_store_short v20, v7, s[0:1] offset:768
	global_store_short v20, v8, s[0:1] offset:896
	global_store_short v20, v9, s[0:1] offset:1024
	global_store_short v20, v10, s[0:1] offset:1152
	s_waitcnt lgkmcnt(13)
	global_store_short v20, v11, s[0:1] offset:1280
	s_waitcnt lgkmcnt(12)
	global_store_short v20, v12, s[0:1] offset:1408
	;; [unrolled: 2-line block ×14, first 2 shown]
	s_mov_b64 s[6:7], 0
.LBB15_89:
	s_andn2_b64 vcc, exec, s[6:7]
	s_cbranch_vccnz .LBB15_146
; %bb.90:
	s_mov_b32 s6, 0x5040100
	v_perm_b32 v5, v59, v57, s6
	v_perm_b32 v4, v19, v18, s6
	;; [unrolled: 1-line block ×4, first 2 shown]
	ds_write_b128 v22, v[2:5]
	v_perm_b32 v5, v67, v65, s6
	v_perm_b32 v4, v64, v63, s6
	;; [unrolled: 1-line block ×4, first 2 shown]
	ds_write_b128 v22, v[2:5] offset:16
	v_perm_b32 v5, v74, v73, s6
	v_perm_b32 v4, v72, v71, s6
	;; [unrolled: 1-line block ×4, first 2 shown]
	s_movk_i32 s6, 0xffd2
	ds_write_b128 v22, v[2:5] offset:32
	v_mad_i32_i24 v2, v0, s6, v22
	s_waitcnt lgkmcnt(0)
	; wave barrier
	s_waitcnt lgkmcnt(0)
	ds_read_u16 v5, v2
	ds_read_u16 v4, v2 offset:128
	ds_read_u16 v7, v2 offset:256
	;; [unrolled: 1-line block ×23, first 2 shown]
	v_mov_b32_e32 v3, s1
	v_add_co_u32_e32 v2, vcc, s0, v20
	v_addc_co_u32_e32 v3, vcc, 0, v3, vcc
	v_mov_b32_e32 v1, 0
	v_cmp_gt_u32_e32 vcc, s28, v0
	s_and_saveexec_b64 s[0:1], vcc
	s_cbranch_execz .LBB15_92
; %bb.91:
	s_waitcnt lgkmcnt(14)
	global_store_short v[2:3], v5, off
.LBB15_92:
	s_or_b64 exec, exec, s[0:1]
	v_or_b32_e32 v20, 64, v0
	v_cmp_gt_u32_e32 vcc, s28, v20
	s_and_saveexec_b64 s[0:1], vcc
	s_cbranch_execz .LBB15_94
; %bb.93:
	s_waitcnt lgkmcnt(14)
	global_store_short v[2:3], v4, off offset:128
.LBB15_94:
	s_or_b64 exec, exec, s[0:1]
	v_or_b32_e32 v20, 0x80, v0
	v_cmp_gt_u32_e32 vcc, s28, v20
	s_and_saveexec_b64 s[0:1], vcc
	s_cbranch_execz .LBB15_96
; %bb.95:
	s_waitcnt lgkmcnt(14)
	global_store_short v[2:3], v7, off offset:256
.LBB15_96:
	;; [unrolled: 9-line block ×23, first 2 shown]
	s_or_b64 exec, exec, s[0:1]
	s_load_dword s0, s[4:5], 0x40
	s_waitcnt lgkmcnt(0)
	s_bfe_u32 s0, s0, 0x10008
	s_cmp_eq_u32 s0, 0
	s_cbranch_scc1 .LBB15_146
; %bb.139:
	s_add_u32 s0, s28, -1
	s_addc_u32 s1, s29, -1
	s_add_u32 s4, 0, 0xaaaa0000
	s_addc_u32 s5, 0, 42
	s_add_i32 s5, s5, 0xaaaaa80
	s_mul_hi_u32 s9, s4, 0xffffffe8
	s_sub_i32 s9, s9, s4
	s_mul_i32 s10, s5, 0xffffffe8
	s_mul_i32 s6, s4, 0xffffffe8
	s_add_i32 s9, s9, s10
	s_mul_hi_u32 s7, s5, s6
	s_mul_i32 s8, s5, s6
	s_mul_i32 s11, s4, s9
	s_mul_hi_u32 s6, s4, s6
	s_mul_hi_u32 s10, s4, s9
	s_add_u32 s6, s6, s11
	s_addc_u32 s10, 0, s10
	s_add_u32 s6, s6, s8
	s_mul_hi_u32 s11, s5, s9
	s_addc_u32 s6, s10, s7
	s_addc_u32 s7, s11, 0
	s_mul_i32 s8, s5, s9
	s_add_u32 s6, s6, s8
	v_mov_b32_e32 v2, s6
	s_addc_u32 s7, 0, s7
	v_add_co_u32_e32 v2, vcc, s4, v2
	s_cmp_lg_u64 vcc, 0
	s_addc_u32 s4, s5, s7
	v_readfirstlane_b32 s7, v2
	s_mul_i32 s6, s0, s4
	s_mul_hi_u32 s8, s0, s7
	s_mul_hi_u32 s5, s0, s4
	s_add_u32 s6, s8, s6
	s_addc_u32 s5, 0, s5
	s_mul_hi_u32 s9, s1, s7
	s_mul_i32 s7, s1, s7
	s_add_u32 s6, s6, s7
	s_mul_hi_u32 s8, s1, s4
	s_addc_u32 s5, s5, s9
	s_addc_u32 s6, s8, 0
	s_mul_i32 s4, s1, s4
	s_add_u32 s4, s5, s4
	s_addc_u32 s5, 0, s6
	s_add_u32 s6, s4, 1
	s_addc_u32 s7, s5, 0
	s_add_u32 s8, s4, 2
	s_mul_i32 s10, s5, 24
	s_mul_hi_u32 s11, s4, 24
	s_addc_u32 s9, s5, 0
	s_add_i32 s11, s11, s10
	s_mul_i32 s10, s4, 24
	v_mov_b32_e32 v2, s10
	v_sub_co_u32_e32 v2, vcc, s0, v2
	s_cmp_lg_u64 vcc, 0
	s_subb_u32 s10, s1, s11
	v_subrev_co_u32_e32 v3, vcc, 24, v2
	s_cmp_lg_u64 vcc, 0
	s_subb_u32 s11, s10, 0
	v_readfirstlane_b32 s12, v3
	s_cmp_gt_u32 s12, 23
	s_cselect_b32 s12, -1, 0
	s_cmp_eq_u32 s11, 0
	s_cselect_b32 s11, s12, -1
	s_cmp_lg_u32 s11, 0
	s_cselect_b32 s6, s8, s6
	v_readfirstlane_b32 s8, v2
	s_cselect_b32 s7, s9, s7
	s_cmp_gt_u32 s8, 23
	s_cselect_b32 s8, -1, 0
	s_cmp_eq_u32 s10, 0
	s_cselect_b32 s8, s8, -1
	s_cmp_lg_u32 s8, 0
	s_cselect_b32 s5, s7, s5
	s_cselect_b32 s4, s6, s4
	v_cmp_eq_u64_e32 vcc, s[4:5], v[0:1]
	s_and_saveexec_b64 s[4:5], vcc
	s_cbranch_execz .LBB15_146
; %bb.140:
	v_mul_hi_u32_u24_e32 v1, 24, v0
	v_mov_b32_e32 v2, s1
	v_sub_co_u32_e32 v0, vcc, s0, v21
	v_subb_co_u32_e32 v1, vcc, v2, v1, vcc
	v_cmp_lt_i64_e32 vcc, 11, v[0:1]
	s_mov_b64 s[0:1], 0
	s_mov_b64 s[10:11], 0
	;; [unrolled: 1-line block ×4, first 2 shown]
	s_and_saveexec_b64 s[4:5], vcc
	s_xor_b64 s[4:5], exec, s[4:5]
	s_cbranch_execnz .LBB15_147
; %bb.141:
	s_andn2_saveexec_b64 s[4:5], s[4:5]
	s_cbranch_execnz .LBB15_192
.LBB15_142:
	s_or_b64 exec, exec, s[4:5]
	s_and_saveexec_b64 s[4:5], s[10:11]
	s_cbranch_execnz .LBB15_209
.LBB15_143:
	s_or_b64 exec, exec, s[4:5]
	s_and_saveexec_b64 s[4:5], s[8:9]
	s_cbranch_execnz .LBB15_210
.LBB15_144:
	s_or_b64 exec, exec, s[4:5]
	s_and_saveexec_b64 s[4:5], s[6:7]
	s_xor_b64 s[4:5], exec, s[4:5]
	s_cbranch_execnz .LBB15_211
.LBB15_145:
	s_or_b64 exec, exec, s[4:5]
	s_and_b64 exec, exec, s[0:1]
	s_cbranch_execnz .LBB15_212
.LBB15_146:
	s_endpgm
.LBB15_147:
	v_cmp_lt_i64_e32 vcc, 17, v[0:1]
	s_and_saveexec_b64 s[12:13], vcc
	s_xor_b64 s[12:13], exec, s[12:13]
	s_cbranch_execz .LBB15_169
; %bb.148:
	v_cmp_lt_i64_e32 vcc, 20, v[0:1]
                                        ; implicit-def: $vgpr10
	s_and_saveexec_b64 s[14:15], vcc
	s_xor_b64 s[14:15], exec, s[14:15]
	s_cbranch_execz .LBB15_158
; %bb.149:
	v_cmp_lt_i64_e32 vcc, 21, v[0:1]
	s_mov_b64 s[16:17], 0
                                        ; implicit-def: $vgpr10
	s_and_saveexec_b64 s[6:7], vcc
	s_xor_b64 s[6:7], exec, s[6:7]
	s_cbranch_execz .LBB15_155
; %bb.150:
	v_cmp_lt_i64_e32 vcc, 22, v[0:1]
	s_and_saveexec_b64 s[16:17], vcc
	s_xor_b64 s[16:17], exec, s[16:17]
	s_cbranch_execz .LBB15_152
; %bb.151:
	v_mov_b32_e32 v2, 0
	global_store_short v2, v29, s[2:3]
                                        ; implicit-def: $vgpr28
.LBB15_152:
	s_or_saveexec_b64 s[16:17], s[16:17]
	s_mov_b64 s[18:19], 0
	s_xor_b64 exec, exec, s[16:17]
; %bb.153:
	s_mov_b64 s[18:19], exec
; %bb.154:
	s_or_b64 exec, exec, s[16:17]
	s_and_b64 s[16:17], s[18:19], exec
	v_mov_b32_e32 v10, v28
                                        ; implicit-def: $vgpr11
.LBB15_155:
	s_andn2_saveexec_b64 s[6:7], s[6:7]
; %bb.156:
	s_mov_b64 s[8:9], exec
                                        ; implicit-def: $vgpr10
; %bb.157:
	s_or_b64 exec, exec, s[6:7]
	s_and_b64 s[6:7], s[16:17], exec
	s_and_b64 s[8:9], s[8:9], exec
                                        ; implicit-def: $vgpr26
                                        ; implicit-def: $vgpr12
                                        ; implicit-def: $vgpr23
.LBB15_158:
	s_andn2_saveexec_b64 s[14:15], s[14:15]
	s_cbranch_execz .LBB15_168
; %bb.159:
	v_cmp_lt_i64_e32 vcc, 18, v[0:1]
	s_mov_b64 s[16:17], 0
	s_and_saveexec_b64 s[10:11], vcc
	s_xor_b64 s[10:11], exec, s[10:11]
	s_cbranch_execz .LBB15_165
; %bb.160:
	v_cmp_lt_i64_e32 vcc, 19, v[0:1]
	s_and_saveexec_b64 s[18:19], vcc
	s_xor_b64 s[18:19], exec, s[18:19]
; %bb.161:
	s_mov_b64 s[16:17], exec
                                        ; implicit-def: $vgpr23
; %bb.162:
	s_andn2_saveexec_b64 s[18:19], s[18:19]
	s_cbranch_execz .LBB15_164
; %bb.163:
	v_mov_b32_e32 v2, 0
	global_store_short v2, v23, s[2:3]
                                        ; implicit-def: $vgpr12
.LBB15_164:
	s_or_b64 exec, exec, s[18:19]
	s_and_b64 s[16:17], s[16:17], exec
                                        ; implicit-def: $vgpr26
.LBB15_165:
	s_andn2_saveexec_b64 s[10:11], s[10:11]
	s_cbranch_execz .LBB15_167
; %bb.166:
	v_mov_b32_e32 v2, 0
	global_store_short v2, v26, s[2:3]
                                        ; implicit-def: $vgpr12
.LBB15_167:
	s_or_b64 exec, exec, s[10:11]
	s_and_b64 s[10:11], s[16:17], exec
                                        ; implicit-def: $vgpr10
                                        ; implicit-def: $vgpr11
.LBB15_168:
	s_or_b64 exec, exec, s[14:15]
	s_and_b64 s[6:7], s[6:7], exec
	s_and_b64 s[8:9], s[8:9], exec
	s_and_b64 s[10:11], s[10:11], exec
                                        ; implicit-def: $vgpr18
                                        ; implicit-def: $vgpr13
                                        ; implicit-def: $vgpr14
                                        ; implicit-def: $vgpr24
                                        ; implicit-def: $vgpr27
.LBB15_169:
	s_andn2_saveexec_b64 s[12:13], s[12:13]
	s_cbranch_execz .LBB15_191
; %bb.170:
	v_cmp_lt_i64_e32 vcc, 14, v[0:1]
	s_mov_b64 s[14:15], s[6:7]
	s_and_saveexec_b64 s[16:17], vcc
	s_xor_b64 s[16:17], exec, s[16:17]
	s_cbranch_execz .LBB15_180
; %bb.171:
	v_cmp_lt_i64_e32 vcc, 15, v[0:1]
	s_and_saveexec_b64 s[14:15], vcc
	s_xor_b64 s[14:15], exec, s[14:15]
	s_cbranch_execz .LBB15_177
; %bb.172:
	v_cmp_lt_i64_e32 vcc, 16, v[0:1]
	s_and_saveexec_b64 s[18:19], vcc
	s_xor_b64 s[18:19], exec, s[18:19]
	s_cbranch_execz .LBB15_174
; %bb.173:
	v_mov_b32_e32 v2, 0
	global_store_short v2, v27, s[2:3]
                                        ; implicit-def: $vgpr24
.LBB15_174:
	s_andn2_saveexec_b64 s[18:19], s[18:19]
	s_cbranch_execz .LBB15_176
; %bb.175:
	v_mov_b32_e32 v2, 0
	global_store_short v2, v24, s[2:3]
.LBB15_176:
	s_or_b64 exec, exec, s[18:19]
                                        ; implicit-def: $vgpr10
.LBB15_177:
	s_or_saveexec_b64 s[14:15], s[14:15]
	s_mov_b64 s[18:19], s[6:7]
	s_xor_b64 exec, exec, s[14:15]
; %bb.178:
	s_or_b64 s[18:19], s[6:7], exec
; %bb.179:
	s_or_b64 exec, exec, s[14:15]
	s_andn2_b64 s[14:15], s[6:7], exec
	s_and_b64 s[18:19], s[18:19], exec
	s_or_b64 s[14:15], s[14:15], s[18:19]
                                        ; implicit-def: $vgpr18
                                        ; implicit-def: $vgpr13
                                        ; implicit-def: $vgpr14
.LBB15_180:
	s_or_saveexec_b64 s[16:17], s[16:17]
	s_mov_b64 s[18:19], s[8:9]
                                        ; implicit-def: $vgpr11
	s_xor_b64 exec, exec, s[16:17]
	s_cbranch_execz .LBB15_190
; %bb.181:
	v_cmp_lt_i64_e32 vcc, 12, v[0:1]
	s_mov_b64 s[20:21], s[8:9]
	s_mov_b64 s[22:23], s[14:15]
                                        ; implicit-def: $vgpr10
                                        ; implicit-def: $vgpr11
	s_and_saveexec_b64 s[18:19], vcc
	s_xor_b64 s[18:19], exec, s[18:19]
	s_cbranch_execz .LBB15_187
; %bb.182:
	v_cmp_lt_i64_e32 vcc, 13, v[0:1]
	s_mov_b64 s[20:21], s[14:15]
	s_and_saveexec_b64 s[22:23], vcc
	s_xor_b64 s[22:23], exec, s[22:23]
; %bb.183:
	s_or_b64 s[20:21], s[14:15], exec
                                        ; implicit-def: $vgpr13
; %bb.184:
	s_or_saveexec_b64 s[22:23], s[22:23]
	s_mov_b64 s[24:25], s[8:9]
	s_xor_b64 exec, exec, s[22:23]
; %bb.185:
	s_or_b64 s[24:25], s[8:9], exec
                                        ; implicit-def: $vgpr14
; %bb.186:
	s_or_b64 exec, exec, s[22:23]
	s_andn2_b64 s[22:23], s[14:15], exec
	s_and_b64 s[20:21], s[20:21], exec
	s_or_b64 s[22:23], s[22:23], s[20:21]
	s_andn2_b64 s[20:21], s[8:9], exec
	s_and_b64 s[24:25], s[24:25], exec
	s_or_b64 s[20:21], s[20:21], s[24:25]
	v_mov_b32_e32 v10, v14
	v_mov_b32_e32 v11, v13
                                        ; implicit-def: $vgpr18
.LBB15_187:
	s_andn2_saveexec_b64 s[18:19], s[18:19]
; %bb.188:
	s_or_b64 s[20:21], s[20:21], exec
                                        ; implicit-def: $vgpr10
	v_mov_b32_e32 v11, v18
; %bb.189:
	s_or_b64 exec, exec, s[18:19]
	s_andn2_b64 s[14:15], s[14:15], exec
	s_and_b64 s[18:19], s[22:23], exec
	s_or_b64 s[14:15], s[14:15], s[18:19]
	s_andn2_b64 s[18:19], s[8:9], exec
	s_and_b64 s[20:21], s[20:21], exec
	s_or_b64 s[18:19], s[18:19], s[20:21]
.LBB15_190:
	s_or_b64 exec, exec, s[16:17]
	s_andn2_b64 s[6:7], s[6:7], exec
	s_and_b64 s[14:15], s[14:15], exec
	s_or_b64 s[6:7], s[6:7], s[14:15]
	s_andn2_b64 s[8:9], s[8:9], exec
	s_and_b64 s[14:15], s[18:19], exec
	s_or_b64 s[8:9], s[8:9], s[14:15]
                                        ; implicit-def: $vgpr12
.LBB15_191:
	s_or_b64 exec, exec, s[12:13]
	s_and_b64 s[6:7], s[6:7], exec
	s_and_b64 s[8:9], s[8:9], exec
	;; [unrolled: 1-line block ×3, first 2 shown]
                                        ; implicit-def: $vgpr17
                                        ; implicit-def: $vgpr15
                                        ; implicit-def: $vgpr16
                                        ; implicit-def: $vgpr25
                                        ; implicit-def: $vgpr22
                                        ; implicit-def: $vgpr19
	s_andn2_saveexec_b64 s[4:5], s[4:5]
	s_cbranch_execz .LBB15_142
.LBB15_192:
	v_cmp_lt_i64_e32 vcc, 5, v[0:1]
	s_mov_b64 s[14:15], -1
	s_mov_b64 s[12:13], s[10:11]
	s_mov_b64 s[16:17], s[8:9]
	;; [unrolled: 1-line block ×3, first 2 shown]
                                        ; implicit-def: $vgpr10
                                        ; implicit-def: $vgpr11
                                        ; implicit-def: $vgpr12
	s_and_saveexec_b64 s[0:1], vcc
	s_cbranch_execz .LBB15_208
; %bb.193:
	v_cmp_lt_i64_e32 vcc, 8, v[0:1]
	s_mov_b64 s[12:13], s[10:11]
                                        ; implicit-def: $vgpr12
	s_and_saveexec_b64 s[14:15], vcc
	s_xor_b64 s[14:15], exec, s[14:15]
	s_cbranch_execz .LBB15_203
; %bb.194:
	v_cmp_lt_i64_e32 vcc, 9, v[0:1]
	s_and_saveexec_b64 s[12:13], vcc
	s_xor_b64 s[12:13], exec, s[12:13]
	s_cbranch_execz .LBB15_200
; %bb.195:
	v_cmp_lt_i64_e32 vcc, 10, v[0:1]
	s_and_saveexec_b64 s[16:17], vcc
	s_xor_b64 s[16:17], exec, s[16:17]
; %bb.196:
                                        ; implicit-def: $vgpr22
; %bb.197:
	s_andn2_saveexec_b64 s[16:17], s[16:17]
; %bb.198:
	v_mov_b32_e32 v19, v22
; %bb.199:
	s_or_b64 exec, exec, s[16:17]
                                        ; implicit-def: $vgpr25
.LBB15_200:
	s_andn2_saveexec_b64 s[12:13], s[12:13]
; %bb.201:
	v_mov_b32_e32 v19, v25
; %bb.202:
	s_or_b64 exec, exec, s[12:13]
	s_or_b64 s[12:13], s[10:11], exec
	v_mov_b32_e32 v12, v19
                                        ; implicit-def: $vgpr17
                                        ; implicit-def: $vgpr15
                                        ; implicit-def: $vgpr16
.LBB15_203:
	s_or_saveexec_b64 s[14:15], s[14:15]
	s_mov_b64 s[16:17], s[8:9]
	s_mov_b64 s[20:21], s[6:7]
                                        ; implicit-def: $vgpr10
                                        ; implicit-def: $vgpr11
	s_xor_b64 exec, exec, s[14:15]
	s_cbranch_execz .LBB15_207
; %bb.204:
	v_cmp_lt_i64_e32 vcc, 6, v[0:1]
	s_mov_b64 s[20:21], -1
	s_mov_b64 s[18:19], s[12:13]
	s_mov_b64 s[16:17], s[8:9]
	s_and_saveexec_b64 s[22:23], vcc
; %bb.205:
	v_cmp_lt_i64_e32 vcc, 7, v[0:1]
	s_andn2_b64 s[18:19], s[12:13], exec
	s_and_b64 s[24:25], vcc, exec
	s_xor_b64 s[20:21], exec, -1
	s_or_b64 s[16:17], s[8:9], exec
	s_or_b64 s[18:19], s[18:19], s[24:25]
                                        ; implicit-def: $vgpr17
; %bb.206:
	s_or_b64 exec, exec, s[22:23]
	s_andn2_b64 s[22:23], s[6:7], exec
	s_and_b64 s[20:21], s[20:21], exec
	s_or_b64 s[20:21], s[22:23], s[20:21]
	s_andn2_b64 s[22:23], s[8:9], exec
	s_and_b64 s[16:17], s[16:17], exec
	s_andn2_b64 s[12:13], s[12:13], exec
	s_and_b64 s[18:19], s[18:19], exec
	s_or_b64 s[16:17], s[22:23], s[16:17]
	s_or_b64 s[12:13], s[12:13], s[18:19]
	v_mov_b32_e32 v10, v17
	v_mov_b32_e32 v11, v15
	;; [unrolled: 1-line block ×3, first 2 shown]
.LBB15_207:
	s_or_b64 exec, exec, s[14:15]
	s_andn2_b64 s[18:19], s[6:7], exec
	s_and_b64 s[20:21], s[20:21], exec
	s_or_b64 s[18:19], s[18:19], s[20:21]
	s_andn2_b64 s[20:21], s[8:9], exec
	s_and_b64 s[16:17], s[16:17], exec
	s_or_b64 s[16:17], s[20:21], s[16:17]
	s_andn2_b64 s[20:21], s[10:11], exec
	s_and_b64 s[12:13], s[12:13], exec
	s_xor_b64 s[14:15], exec, -1
	s_or_b64 s[12:13], s[20:21], s[12:13]
.LBB15_208:
	s_or_b64 exec, exec, s[0:1]
	s_and_b64 s[0:1], s[14:15], exec
	s_andn2_b64 s[6:7], s[6:7], exec
	s_and_b64 s[14:15], s[18:19], exec
	s_or_b64 s[6:7], s[6:7], s[14:15]
	s_andn2_b64 s[8:9], s[8:9], exec
	s_and_b64 s[14:15], s[16:17], exec
	s_andn2_b64 s[10:11], s[10:11], exec
	s_and_b64 s[12:13], s[12:13], exec
	s_or_b64 s[8:9], s[8:9], s[14:15]
	s_or_b64 s[10:11], s[10:11], s[12:13]
	s_or_b64 exec, exec, s[4:5]
	s_and_saveexec_b64 s[4:5], s[10:11]
	s_cbranch_execz .LBB15_143
.LBB15_209:
	v_mov_b32_e32 v2, 0
	s_andn2_b64 s[8:9], s[8:9], exec
	global_store_short v2, v12, s[2:3]
                                        ; implicit-def: $vgpr10
                                        ; implicit-def: $vgpr11
	s_or_b64 exec, exec, s[4:5]
	s_and_saveexec_b64 s[4:5], s[8:9]
	s_cbranch_execz .LBB15_144
.LBB15_210:
	v_mov_b32_e32 v2, 0
	global_store_short v2, v11, s[2:3]
                                        ; implicit-def: $vgpr10
	s_or_b64 exec, exec, s[4:5]
	s_and_saveexec_b64 s[4:5], s[6:7]
	s_xor_b64 s[4:5], exec, s[4:5]
	s_cbranch_execz .LBB15_145
.LBB15_211:
	v_mov_b32_e32 v2, 0
	global_store_short v2, v10, s[2:3]
	s_or_b64 exec, exec, s[4:5]
	s_and_b64 exec, exec, s[0:1]
	s_cbranch_execz .LBB15_146
.LBB15_212:
	v_cmp_lt_i64_e32 vcc, 2, v[0:1]
	s_and_saveexec_b64 s[0:1], vcc
	s_xor_b64 s[0:1], exec, s[0:1]
	s_cbranch_execz .LBB15_222
; %bb.213:
	v_cmp_lt_i64_e32 vcc, 3, v[0:1]
	s_and_saveexec_b64 s[4:5], vcc
	s_xor_b64 s[4:5], exec, s[4:5]
	s_cbranch_execz .LBB15_219
; %bb.214:
	;; [unrolled: 5-line block ×3, first 2 shown]
	v_mov_b32_e32 v0, 0
	global_store_short v0, v9, s[2:3]
                                        ; implicit-def: $vgpr6
.LBB15_216:
	s_andn2_saveexec_b64 s[6:7], s[6:7]
	s_cbranch_execz .LBB15_218
; %bb.217:
	v_mov_b32_e32 v0, 0
	global_store_short v0, v6, s[2:3]
.LBB15_218:
	s_or_b64 exec, exec, s[6:7]
                                        ; implicit-def: $vgpr8
.LBB15_219:
	s_andn2_saveexec_b64 s[4:5], s[4:5]
	s_cbranch_execz .LBB15_221
; %bb.220:
	v_mov_b32_e32 v0, 0
	global_store_short v0, v8, s[2:3]
.LBB15_221:
	s_or_b64 exec, exec, s[4:5]
                                        ; implicit-def: $vgpr0_vgpr1
                                        ; implicit-def: $vgpr7
                                        ; implicit-def: $vgpr4
                                        ; implicit-def: $vgpr5
.LBB15_222:
	s_andn2_saveexec_b64 s[0:1], s[0:1]
	s_cbranch_execz .LBB15_146
; %bb.223:
	v_cmp_lt_i64_e32 vcc, 1, v[0:1]
	s_and_saveexec_b64 s[0:1], vcc
	s_xor_b64 s[0:1], exec, s[0:1]
	s_cbranch_execz .LBB15_225
; %bb.224:
	v_mov_b32_e32 v0, 0
	global_store_short v0, v7, s[2:3]
                                        ; implicit-def: $vgpr4
                                        ; implicit-def: $vgpr0_vgpr1
                                        ; implicit-def: $vgpr5
.LBB15_225:
	s_andn2_saveexec_b64 s[0:1], s[0:1]
	s_cbranch_execz .LBB15_146
; %bb.226:
	v_cmp_ne_u64_e32 vcc, 1, v[0:1]
	s_and_saveexec_b64 s[0:1], vcc
	s_xor_b64 s[0:1], exec, s[0:1]
	s_cbranch_execz .LBB15_228
; %bb.227:
	v_mov_b32_e32 v0, 0
	global_store_short v0, v5, s[2:3]
                                        ; implicit-def: $vgpr4
.LBB15_228:
	s_andn2_saveexec_b64 s[0:1], s[0:1]
	s_cbranch_execz .LBB15_146
; %bb.229:
	v_mov_b32_e32 v0, 0
	global_store_short v0, v4, s[2:3]
	s_endpgm
	.section	.rodata,"a",@progbits
	.p2align	6, 0x0
	.amdhsa_kernel _ZN7rocprim6detail20lookback_scan_kernelILNS0_25lookback_scan_determinismE0ELb0ENS0_19wrapped_scan_configINS_14default_configE12hip_bfloat16EEPS5_S7_N6hipcub3MaxES5_S5_NS0_19lookback_scan_stateIS5_Lb0ELb1EEEEEvT2_T3_mT5_T4_T7_jPT6_SI_bb
		.amdhsa_group_segment_fixed_size 3072
		.amdhsa_private_segment_fixed_size 0
		.amdhsa_kernarg_size 68
		.amdhsa_user_sgpr_count 6
		.amdhsa_user_sgpr_private_segment_buffer 1
		.amdhsa_user_sgpr_dispatch_ptr 0
		.amdhsa_user_sgpr_queue_ptr 0
		.amdhsa_user_sgpr_kernarg_segment_ptr 1
		.amdhsa_user_sgpr_dispatch_id 0
		.amdhsa_user_sgpr_flat_scratch_init 0
		.amdhsa_user_sgpr_kernarg_preload_length 0
		.amdhsa_user_sgpr_kernarg_preload_offset 0
		.amdhsa_user_sgpr_private_segment_size 0
		.amdhsa_uses_dynamic_stack 0
		.amdhsa_system_sgpr_private_segment_wavefront_offset 0
		.amdhsa_system_sgpr_workgroup_id_x 1
		.amdhsa_system_sgpr_workgroup_id_y 0
		.amdhsa_system_sgpr_workgroup_id_z 0
		.amdhsa_system_sgpr_workgroup_info 0
		.amdhsa_system_vgpr_workitem_id 0
		.amdhsa_next_free_vgpr 81
		.amdhsa_next_free_sgpr 30
		.amdhsa_accum_offset 84
		.amdhsa_reserve_vcc 1
		.amdhsa_reserve_flat_scratch 0
		.amdhsa_float_round_mode_32 0
		.amdhsa_float_round_mode_16_64 0
		.amdhsa_float_denorm_mode_32 3
		.amdhsa_float_denorm_mode_16_64 3
		.amdhsa_dx10_clamp 1
		.amdhsa_ieee_mode 1
		.amdhsa_fp16_overflow 0
		.amdhsa_tg_split 0
		.amdhsa_exception_fp_ieee_invalid_op 0
		.amdhsa_exception_fp_denorm_src 0
		.amdhsa_exception_fp_ieee_div_zero 0
		.amdhsa_exception_fp_ieee_overflow 0
		.amdhsa_exception_fp_ieee_underflow 0
		.amdhsa_exception_fp_ieee_inexact 0
		.amdhsa_exception_int_div_zero 0
	.end_amdhsa_kernel
	.section	.text._ZN7rocprim6detail20lookback_scan_kernelILNS0_25lookback_scan_determinismE0ELb0ENS0_19wrapped_scan_configINS_14default_configE12hip_bfloat16EEPS5_S7_N6hipcub3MaxES5_S5_NS0_19lookback_scan_stateIS5_Lb0ELb1EEEEEvT2_T3_mT5_T4_T7_jPT6_SI_bb,"axG",@progbits,_ZN7rocprim6detail20lookback_scan_kernelILNS0_25lookback_scan_determinismE0ELb0ENS0_19wrapped_scan_configINS_14default_configE12hip_bfloat16EEPS5_S7_N6hipcub3MaxES5_S5_NS0_19lookback_scan_stateIS5_Lb0ELb1EEEEEvT2_T3_mT5_T4_T7_jPT6_SI_bb,comdat
.Lfunc_end15:
	.size	_ZN7rocprim6detail20lookback_scan_kernelILNS0_25lookback_scan_determinismE0ELb0ENS0_19wrapped_scan_configINS_14default_configE12hip_bfloat16EEPS5_S7_N6hipcub3MaxES5_S5_NS0_19lookback_scan_stateIS5_Lb0ELb1EEEEEvT2_T3_mT5_T4_T7_jPT6_SI_bb, .Lfunc_end15-_ZN7rocprim6detail20lookback_scan_kernelILNS0_25lookback_scan_determinismE0ELb0ENS0_19wrapped_scan_configINS_14default_configE12hip_bfloat16EEPS5_S7_N6hipcub3MaxES5_S5_NS0_19lookback_scan_stateIS5_Lb0ELb1EEEEEvT2_T3_mT5_T4_T7_jPT6_SI_bb
                                        ; -- End function
	.section	.AMDGPU.csdata,"",@progbits
; Kernel info:
; codeLenInByte = 9716
; NumSgprs: 34
; NumVgprs: 81
; NumAgprs: 0
; TotalNumVgprs: 81
; ScratchSize: 0
; MemoryBound: 0
; FloatMode: 240
; IeeeMode: 1
; LDSByteSize: 3072 bytes/workgroup (compile time only)
; SGPRBlocks: 4
; VGPRBlocks: 10
; NumSGPRsForWavesPerEU: 34
; NumVGPRsForWavesPerEU: 81
; AccumOffset: 84
; Occupancy: 5
; WaveLimiterHint : 1
; COMPUTE_PGM_RSRC2:SCRATCH_EN: 0
; COMPUTE_PGM_RSRC2:USER_SGPR: 6
; COMPUTE_PGM_RSRC2:TRAP_HANDLER: 0
; COMPUTE_PGM_RSRC2:TGID_X_EN: 1
; COMPUTE_PGM_RSRC2:TGID_Y_EN: 0
; COMPUTE_PGM_RSRC2:TGID_Z_EN: 0
; COMPUTE_PGM_RSRC2:TIDIG_COMP_CNT: 0
; COMPUTE_PGM_RSRC3_GFX90A:ACCUM_OFFSET: 20
; COMPUTE_PGM_RSRC3_GFX90A:TG_SPLIT: 0
	.section	.text._ZN7rocprim6detail16transform_kernelINS0_24wrapped_transform_configINS_14default_configE12hip_bfloat16EES4_PS4_S6_NS_8identityIS4_EEEEvT1_mT2_T3_,"axG",@progbits,_ZN7rocprim6detail16transform_kernelINS0_24wrapped_transform_configINS_14default_configE12hip_bfloat16EES4_PS4_S6_NS_8identityIS4_EEEEvT1_mT2_T3_,comdat
	.protected	_ZN7rocprim6detail16transform_kernelINS0_24wrapped_transform_configINS_14default_configE12hip_bfloat16EES4_PS4_S6_NS_8identityIS4_EEEEvT1_mT2_T3_ ; -- Begin function _ZN7rocprim6detail16transform_kernelINS0_24wrapped_transform_configINS_14default_configE12hip_bfloat16EES4_PS4_S6_NS_8identityIS4_EEEEvT1_mT2_T3_
	.globl	_ZN7rocprim6detail16transform_kernelINS0_24wrapped_transform_configINS_14default_configE12hip_bfloat16EES4_PS4_S6_NS_8identityIS4_EEEEvT1_mT2_T3_
	.p2align	8
	.type	_ZN7rocprim6detail16transform_kernelINS0_24wrapped_transform_configINS_14default_configE12hip_bfloat16EES4_PS4_S6_NS_8identityIS4_EEEEvT1_mT2_T3_,@function
_ZN7rocprim6detail16transform_kernelINS0_24wrapped_transform_configINS_14default_configE12hip_bfloat16EES4_PS4_S6_NS_8identityIS4_EEEEvT1_mT2_T3_: ; @_ZN7rocprim6detail16transform_kernelINS0_24wrapped_transform_configINS_14default_configE12hip_bfloat16EES4_PS4_S6_NS_8identityIS4_EEEEvT1_mT2_T3_
; %bb.0:
	s_load_dword s7, s[4:5], 0x20
	s_load_dwordx4 s[0:3], s[4:5], 0x0
	s_load_dwordx2 s[14:15], s[4:5], 0x10
	s_lshl_b32 s4, s6, 9
	s_mov_b32 s5, 0
	s_waitcnt lgkmcnt(0)
	s_add_i32 s7, s7, -1
	s_lshl_b64 s[16:17], s[4:5], 1
	s_add_u32 s0, s0, s16
	s_addc_u32 s1, s1, s17
	v_lshlrev_b32_e32 v4, 1, v0
	v_mov_b32_e32 v1, s1
	v_add_co_u32_e32 v2, vcc, s0, v4
	s_cmp_lg_u32 s6, s7
	v_addc_co_u32_e32 v3, vcc, 0, v1, vcc
	s_cbranch_scc0 .LBB16_2
; %bb.1:
	global_load_ushort v1, v[2:3], off
	global_load_ushort v6, v[2:3], off offset:128
	global_load_ushort v7, v[2:3], off offset:256
	;; [unrolled: 1-line block ×7, first 2 shown]
	s_add_u32 s6, s14, s16
	s_addc_u32 s7, s15, s17
	s_mov_b64 s[18:19], -1
	s_waitcnt vmcnt(7)
	global_store_short v4, v1, s[6:7]
	s_waitcnt vmcnt(7)
	global_store_short v4, v6, s[6:7] offset:128
	s_waitcnt vmcnt(7)
	global_store_short v4, v7, s[6:7] offset:256
	;; [unrolled: 2-line block ×6, first 2 shown]
	s_cbranch_execz .LBB16_3
	s_branch .LBB16_28
.LBB16_2:
	s_mov_b64 s[18:19], 0
                                        ; implicit-def: $vgpr5
.LBB16_3:
	s_sub_i32 s18, s2, s4
	v_cmp_gt_u32_e32 vcc, s18, v0
                                        ; implicit-def: $vgpr6
	s_and_saveexec_b64 s[0:1], vcc
	s_cbranch_execz .LBB16_5
; %bb.4:
	global_load_ushort v6, v[2:3], off
.LBB16_5:
	s_or_b64 exec, exec, s[0:1]
	v_or_b32_e32 v1, 64, v0
	v_cmp_gt_u32_e64 s[0:1], s18, v1
                                        ; implicit-def: $vgpr7
	s_and_saveexec_b64 s[2:3], s[0:1]
	s_cbranch_execz .LBB16_7
; %bb.6:
	global_load_ushort v7, v[2:3], off offset:128
.LBB16_7:
	s_or_b64 exec, exec, s[2:3]
	v_or_b32_e32 v1, 0x80, v0
	v_cmp_gt_u32_e64 s[2:3], s18, v1
                                        ; implicit-def: $vgpr8
	s_and_saveexec_b64 s[4:5], s[2:3]
	s_cbranch_execz .LBB16_9
; %bb.8:
	global_load_ushort v8, v[2:3], off offset:256
.LBB16_9:
	s_or_b64 exec, exec, s[4:5]
	v_or_b32_e32 v1, 0xc0, v0
	v_cmp_gt_u32_e64 s[4:5], s18, v1
                                        ; implicit-def: $vgpr9
	s_and_saveexec_b64 s[6:7], s[4:5]
	s_cbranch_execz .LBB16_11
; %bb.10:
	global_load_ushort v9, v[2:3], off offset:384
.LBB16_11:
	s_or_b64 exec, exec, s[6:7]
	v_or_b32_e32 v1, 0x100, v0
	v_cmp_gt_u32_e64 s[6:7], s18, v1
                                        ; implicit-def: $vgpr10
	s_and_saveexec_b64 s[8:9], s[6:7]
	s_cbranch_execz .LBB16_13
; %bb.12:
	global_load_ushort v10, v[2:3], off offset:512
.LBB16_13:
	s_or_b64 exec, exec, s[8:9]
	v_or_b32_e32 v1, 0x140, v0
	v_cmp_gt_u32_e64 s[8:9], s18, v1
                                        ; implicit-def: $vgpr11
	s_and_saveexec_b64 s[10:11], s[8:9]
	s_cbranch_execz .LBB16_15
; %bb.14:
	global_load_ushort v11, v[2:3], off offset:640
.LBB16_15:
	s_or_b64 exec, exec, s[10:11]
	v_or_b32_e32 v1, 0x180, v0
	v_cmp_gt_u32_e64 s[10:11], s18, v1
                                        ; implicit-def: $vgpr12
	s_and_saveexec_b64 s[12:13], s[10:11]
	s_cbranch_execz .LBB16_17
; %bb.16:
	global_load_ushort v12, v[2:3], off offset:768
.LBB16_17:
	s_or_b64 exec, exec, s[12:13]
	v_or_b32_e32 v0, 0x1c0, v0
	v_cmp_gt_u32_e64 s[18:19], s18, v0
                                        ; implicit-def: $vgpr5
	s_and_saveexec_b64 s[12:13], s[18:19]
	s_cbranch_execz .LBB16_19
; %bb.18:
	global_load_ushort v5, v[2:3], off offset:896
.LBB16_19:
	s_or_b64 exec, exec, s[12:13]
	s_add_u32 s12, s14, s16
	s_addc_u32 s13, s15, s17
	v_mov_b32_e32 v1, s13
	v_add_co_u32_e64 v0, s[12:13], s12, v4
	v_addc_co_u32_e64 v1, s[12:13], 0, v1, s[12:13]
	s_and_saveexec_b64 s[12:13], vcc
	s_xor_b64 s[12:13], exec, s[12:13]
	s_cbranch_execnz .LBB16_31
; %bb.20:
	s_or_b64 exec, exec, s[12:13]
	s_and_saveexec_b64 s[12:13], s[0:1]
	s_cbranch_execnz .LBB16_32
.LBB16_21:
	s_or_b64 exec, exec, s[12:13]
	s_and_saveexec_b64 s[0:1], s[2:3]
	s_cbranch_execnz .LBB16_33
.LBB16_22:
	s_or_b64 exec, exec, s[0:1]
	s_and_saveexec_b64 s[0:1], s[4:5]
	s_cbranch_execnz .LBB16_34
.LBB16_23:
	s_or_b64 exec, exec, s[0:1]
	s_and_saveexec_b64 s[0:1], s[6:7]
	s_cbranch_execnz .LBB16_35
.LBB16_24:
	s_or_b64 exec, exec, s[0:1]
	s_and_saveexec_b64 s[0:1], s[8:9]
	s_cbranch_execnz .LBB16_36
.LBB16_25:
	s_or_b64 exec, exec, s[0:1]
	s_and_saveexec_b64 s[0:1], s[10:11]
	s_cbranch_execz .LBB16_27
.LBB16_26:
	s_waitcnt vmcnt(0)
	global_store_short v[0:1], v12, off offset:768
.LBB16_27:
	s_or_b64 exec, exec, s[0:1]
.LBB16_28:
	s_and_saveexec_b64 s[0:1], s[18:19]
	s_cbranch_execnz .LBB16_30
; %bb.29:
	s_endpgm
.LBB16_30:
	s_add_u32 s0, s14, s16
	s_addc_u32 s1, s15, s17
	s_waitcnt vmcnt(0)
	global_store_short v4, v5, s[0:1] offset:896
	s_endpgm
.LBB16_31:
	s_waitcnt vmcnt(0)
	global_store_short v[0:1], v6, off
	s_or_b64 exec, exec, s[12:13]
	s_and_saveexec_b64 s[12:13], s[0:1]
	s_cbranch_execz .LBB16_21
.LBB16_32:
	s_waitcnt vmcnt(0)
	global_store_short v[0:1], v7, off offset:128
	s_or_b64 exec, exec, s[12:13]
	s_and_saveexec_b64 s[0:1], s[2:3]
	s_cbranch_execz .LBB16_22
.LBB16_33:
	s_waitcnt vmcnt(0)
	global_store_short v[0:1], v8, off offset:256
	s_or_b64 exec, exec, s[0:1]
	s_and_saveexec_b64 s[0:1], s[4:5]
	s_cbranch_execz .LBB16_23
.LBB16_34:
	s_waitcnt vmcnt(0)
	global_store_short v[0:1], v9, off offset:384
	s_or_b64 exec, exec, s[0:1]
	s_and_saveexec_b64 s[0:1], s[6:7]
	s_cbranch_execz .LBB16_24
.LBB16_35:
	s_waitcnt vmcnt(0)
	global_store_short v[0:1], v10, off offset:512
	s_or_b64 exec, exec, s[0:1]
	s_and_saveexec_b64 s[0:1], s[8:9]
	s_cbranch_execz .LBB16_25
.LBB16_36:
	s_waitcnt vmcnt(0)
	global_store_short v[0:1], v11, off offset:640
	s_or_b64 exec, exec, s[0:1]
	s_and_saveexec_b64 s[0:1], s[10:11]
	s_cbranch_execnz .LBB16_26
	s_branch .LBB16_27
	.section	.rodata,"a",@progbits
	.p2align	6, 0x0
	.amdhsa_kernel _ZN7rocprim6detail16transform_kernelINS0_24wrapped_transform_configINS_14default_configE12hip_bfloat16EES4_PS4_S6_NS_8identityIS4_EEEEvT1_mT2_T3_
		.amdhsa_group_segment_fixed_size 0
		.amdhsa_private_segment_fixed_size 0
		.amdhsa_kernarg_size 288
		.amdhsa_user_sgpr_count 6
		.amdhsa_user_sgpr_private_segment_buffer 1
		.amdhsa_user_sgpr_dispatch_ptr 0
		.amdhsa_user_sgpr_queue_ptr 0
		.amdhsa_user_sgpr_kernarg_segment_ptr 1
		.amdhsa_user_sgpr_dispatch_id 0
		.amdhsa_user_sgpr_flat_scratch_init 0
		.amdhsa_user_sgpr_kernarg_preload_length 0
		.amdhsa_user_sgpr_kernarg_preload_offset 0
		.amdhsa_user_sgpr_private_segment_size 0
		.amdhsa_uses_dynamic_stack 0
		.amdhsa_system_sgpr_private_segment_wavefront_offset 0
		.amdhsa_system_sgpr_workgroup_id_x 1
		.amdhsa_system_sgpr_workgroup_id_y 0
		.amdhsa_system_sgpr_workgroup_id_z 0
		.amdhsa_system_sgpr_workgroup_info 0
		.amdhsa_system_vgpr_workitem_id 0
		.amdhsa_next_free_vgpr 13
		.amdhsa_next_free_sgpr 20
		.amdhsa_accum_offset 16
		.amdhsa_reserve_vcc 1
		.amdhsa_reserve_flat_scratch 0
		.amdhsa_float_round_mode_32 0
		.amdhsa_float_round_mode_16_64 0
		.amdhsa_float_denorm_mode_32 3
		.amdhsa_float_denorm_mode_16_64 3
		.amdhsa_dx10_clamp 1
		.amdhsa_ieee_mode 1
		.amdhsa_fp16_overflow 0
		.amdhsa_tg_split 0
		.amdhsa_exception_fp_ieee_invalid_op 0
		.amdhsa_exception_fp_denorm_src 0
		.amdhsa_exception_fp_ieee_div_zero 0
		.amdhsa_exception_fp_ieee_overflow 0
		.amdhsa_exception_fp_ieee_underflow 0
		.amdhsa_exception_fp_ieee_inexact 0
		.amdhsa_exception_int_div_zero 0
	.end_amdhsa_kernel
	.section	.text._ZN7rocprim6detail16transform_kernelINS0_24wrapped_transform_configINS_14default_configE12hip_bfloat16EES4_PS4_S6_NS_8identityIS4_EEEEvT1_mT2_T3_,"axG",@progbits,_ZN7rocprim6detail16transform_kernelINS0_24wrapped_transform_configINS_14default_configE12hip_bfloat16EES4_PS4_S6_NS_8identityIS4_EEEEvT1_mT2_T3_,comdat
.Lfunc_end16:
	.size	_ZN7rocprim6detail16transform_kernelINS0_24wrapped_transform_configINS_14default_configE12hip_bfloat16EES4_PS4_S6_NS_8identityIS4_EEEEvT1_mT2_T3_, .Lfunc_end16-_ZN7rocprim6detail16transform_kernelINS0_24wrapped_transform_configINS_14default_configE12hip_bfloat16EES4_PS4_S6_NS_8identityIS4_EEEEvT1_mT2_T3_
                                        ; -- End function
	.section	.AMDGPU.csdata,"",@progbits
; Kernel info:
; codeLenInByte = 836
; NumSgprs: 24
; NumVgprs: 13
; NumAgprs: 0
; TotalNumVgprs: 13
; ScratchSize: 0
; MemoryBound: 0
; FloatMode: 240
; IeeeMode: 1
; LDSByteSize: 0 bytes/workgroup (compile time only)
; SGPRBlocks: 2
; VGPRBlocks: 1
; NumSGPRsForWavesPerEU: 24
; NumVGPRsForWavesPerEU: 13
; AccumOffset: 16
; Occupancy: 8
; WaveLimiterHint : 1
; COMPUTE_PGM_RSRC2:SCRATCH_EN: 0
; COMPUTE_PGM_RSRC2:USER_SGPR: 6
; COMPUTE_PGM_RSRC2:TRAP_HANDLER: 0
; COMPUTE_PGM_RSRC2:TGID_X_EN: 1
; COMPUTE_PGM_RSRC2:TGID_Y_EN: 0
; COMPUTE_PGM_RSRC2:TGID_Z_EN: 0
; COMPUTE_PGM_RSRC2:TIDIG_COMP_CNT: 0
; COMPUTE_PGM_RSRC3_GFX90A:ACCUM_OFFSET: 3
; COMPUTE_PGM_RSRC3_GFX90A:TG_SPLIT: 0
	.section	.text._ZN7rocprim6detail18single_scan_kernelILb0ENS0_19wrapped_scan_configINS_14default_configE12hip_bfloat16EEPS4_S6_N6hipcub3MaxES4_S4_EEvT1_mT4_T2_T3_,"axG",@progbits,_ZN7rocprim6detail18single_scan_kernelILb0ENS0_19wrapped_scan_configINS_14default_configE12hip_bfloat16EEPS4_S6_N6hipcub3MaxES4_S4_EEvT1_mT4_T2_T3_,comdat
	.protected	_ZN7rocprim6detail18single_scan_kernelILb0ENS0_19wrapped_scan_configINS_14default_configE12hip_bfloat16EEPS4_S6_N6hipcub3MaxES4_S4_EEvT1_mT4_T2_T3_ ; -- Begin function _ZN7rocprim6detail18single_scan_kernelILb0ENS0_19wrapped_scan_configINS_14default_configE12hip_bfloat16EEPS4_S6_N6hipcub3MaxES4_S4_EEvT1_mT4_T2_T3_
	.globl	_ZN7rocprim6detail18single_scan_kernelILb0ENS0_19wrapped_scan_configINS_14default_configE12hip_bfloat16EEPS4_S6_N6hipcub3MaxES4_S4_EEvT1_mT4_T2_T3_
	.p2align	8
	.type	_ZN7rocprim6detail18single_scan_kernelILb0ENS0_19wrapped_scan_configINS_14default_configE12hip_bfloat16EEPS4_S6_N6hipcub3MaxES4_S4_EEvT1_mT4_T2_T3_,@function
_ZN7rocprim6detail18single_scan_kernelILb0ENS0_19wrapped_scan_configINS_14default_configE12hip_bfloat16EEPS4_S6_N6hipcub3MaxES4_S4_EEvT1_mT4_T2_T3_: ; @_ZN7rocprim6detail18single_scan_kernelILb0ENS0_19wrapped_scan_configINS_14default_configE12hip_bfloat16EEPS4_S6_N6hipcub3MaxES4_S4_EEvT1_mT4_T2_T3_
; %bb.0:
	s_load_dwordx4 s[44:47], s[4:5], 0x0
	v_mov_b32_e32 v1, 0
	v_lshlrev_b32_e32 v14, 1, v0
	s_waitcnt lgkmcnt(0)
	global_load_ushort v1, v1, s[44:45]
	v_mov_b32_e32 v3, s45
	v_add_co_u32_e32 v2, vcc, s44, v14
	v_addc_co_u32_e32 v3, vcc, 0, v3, vcc
	v_cmp_gt_u32_e32 vcc, s46, v0
	s_waitcnt vmcnt(0)
	v_mov_b32_e32 v4, v1
	s_and_saveexec_b64 s[0:1], vcc
	s_cbranch_execz .LBB17_2
; %bb.1:
	global_load_ushort v4, v[2:3], off
.LBB17_2:
	s_or_b64 exec, exec, s[0:1]
	v_or_b32_e32 v5, 64, v0
	v_cmp_gt_u32_e64 s[0:1], s46, v5
	v_mov_b32_e32 v5, v1
	s_and_saveexec_b64 s[2:3], s[0:1]
	s_cbranch_execz .LBB17_4
; %bb.3:
	global_load_ushort v5, v[2:3], off offset:128
.LBB17_4:
	s_or_b64 exec, exec, s[2:3]
	v_or_b32_e32 v6, 0x80, v0
	v_cmp_gt_u32_e64 s[2:3], s46, v6
	v_mov_b32_e32 v6, v1
	s_and_saveexec_b64 s[6:7], s[2:3]
	s_cbranch_execz .LBB17_6
; %bb.5:
	global_load_ushort v6, v[2:3], off offset:256
.LBB17_6:
	;; [unrolled: 9-line block ×22, first 2 shown]
	s_or_b64 exec, exec, s[50:51]
	v_or_b32_e32 v28, 0x5c0, v0
	v_cmp_gt_u32_e64 s[46:47], s46, v28
	s_and_saveexec_b64 s[50:51], s[46:47]
	s_cbranch_execz .LBB17_48
; %bb.47:
	global_load_ushort v1, v[2:3], off offset:2944
.LBB17_48:
	s_or_b64 exec, exec, s[50:51]
	s_waitcnt vmcnt(0)
	ds_write_b16 v14, v4
	ds_write_b16 v14, v5 offset:128
	ds_write_b16 v14, v6 offset:256
	;; [unrolled: 1-line block ×23, first 2 shown]
	v_mad_u32_u24 v1, v0, 46, v14
	s_waitcnt lgkmcnt(0)
	; wave barrier
	s_waitcnt lgkmcnt(0)
	ds_read_b128 v[10:13], v1
	ds_read_b128 v[6:9], v1 offset:16
	ds_read_b128 v[2:5], v1 offset:32
	s_waitcnt lgkmcnt(0)
	; wave barrier
	s_waitcnt lgkmcnt(0)
	v_and_b32_e32 v26, 0xffff0000, v10
	v_lshlrev_b32_e32 v29, 16, v10
	v_lshrrev_b32_e32 v27, 16, v10
	v_cmp_lt_f32_e64 s[50:51], v29, v26
	v_cndmask_b32_e64 v30, v10, v27, s[50:51]
	v_lshlrev_b32_e32 v31, 16, v30
	v_lshlrev_b32_e32 v28, 16, v11
	v_cmp_lt_f32_e64 s[50:51], v31, v28
	v_cndmask_b32_e64 v31, v30, v11, s[50:51]
	v_lshlrev_b32_e32 v32, 16, v31
	v_and_b32_e32 v30, 0xffff0000, v11
	v_lshrrev_b32_e32 v25, 16, v11
	v_cmp_lt_f32_e64 s[50:51], v32, v30
	v_cndmask_b32_e64 v32, v31, v25, s[50:51]
	v_lshlrev_b32_e32 v33, 16, v32
	v_lshlrev_b32_e32 v31, 16, v12
	v_cmp_lt_f32_e64 s[50:51], v33, v31
	v_cndmask_b32_e64 v33, v32, v12, s[50:51]
	v_lshlrev_b32_e32 v34, 16, v33
	v_and_b32_e32 v32, 0xffff0000, v12
	;; [unrolled: 9-line block ×11, first 2 shown]
	v_lshrrev_b32_e32 v15, 16, v5
	v_cmp_lt_f32_e64 s[50:51], v52, v50
	v_cndmask_b32_e64 v52, v51, v15, s[50:51]
	v_and_b32_e32 v54, 0xffff, v52
	v_mbcnt_lo_u32_b32 v51, -1, 0
	v_lshlrev_b32_e32 v57, 16, v52
	v_mov_b32_dpp v55, v54 row_shr:1 row_mask:0xf bank_mask:0xf
	v_lshlrev_b32_e32 v56, 16, v55
	v_mbcnt_hi_u32_b32 v51, -1, v51
	v_cmp_lt_f32_e64 s[50:51], v56, v57
	v_and_b32_e32 v53, 15, v51
	v_cndmask_b32_e64 v55, v55, v52, s[50:51]
	v_and_b32_e32 v56, 0xffff, v55
	v_cmp_eq_u32_e64 s[50:51], 0, v53
	v_cndmask_b32_e64 v54, v56, v54, s[50:51]
	v_cndmask_b32_e64 v52, v55, v52, s[50:51]
	v_lshlrev_b32_e32 v56, 16, v54
	v_mov_b32_dpp v55, v54 row_shr:2 row_mask:0xf bank_mask:0xf
	v_lshlrev_b32_e32 v57, 16, v55
	v_cmp_lt_f32_e64 s[50:51], v57, v56
	v_cndmask_b32_e64 v55, v55, v52, s[50:51]
	v_and_b32_e32 v56, 0xffff, v55
	v_cmp_lt_u32_e64 s[50:51], 1, v53
	v_cndmask_b32_e64 v54, v54, v56, s[50:51]
	v_cndmask_b32_e64 v52, v52, v55, s[50:51]
	v_lshlrev_b32_e32 v56, 16, v54
	v_mov_b32_dpp v55, v54 row_shr:4 row_mask:0xf bank_mask:0xf
	v_lshlrev_b32_e32 v57, 16, v55
	v_cmp_lt_f32_e64 s[50:51], v57, v56
	v_cndmask_b32_e64 v55, v55, v52, s[50:51]
	v_and_b32_e32 v56, 0xffff, v55
	v_cmp_lt_u32_e64 s[50:51], 3, v53
	;; [unrolled: 9-line block ×3, first 2 shown]
	v_cndmask_b32_e64 v53, v54, v56, s[50:51]
	v_lshlrev_b32_e32 v56, 16, v53
	v_cndmask_b32_e64 v52, v52, v55, s[50:51]
	v_mov_b32_dpp v54, v53 row_bcast:15 row_mask:0xf bank_mask:0xf
	v_lshlrev_b32_e32 v57, 16, v54
	v_cmp_lt_f32_e64 s[50:51], v57, v56
	v_and_b32_e32 v55, 16, v51
	v_cndmask_b32_e64 v54, v54, v52, s[50:51]
	v_and_b32_e32 v56, 0xffff, v54
	v_cmp_eq_u32_e64 s[50:51], 0, v55
	v_cndmask_b32_e64 v53, v56, v53, s[50:51]
	v_cndmask_b32_e64 v52, v54, v52, s[50:51]
	s_nop 0
	v_mov_b32_dpp v54, v53 row_bcast:31 row_mask:0xf bank_mask:0xf
	v_lshlrev_b32_e32 v53, 16, v53
	v_lshlrev_b32_e32 v55, 16, v54
	v_cmp_lt_f32_e64 s[50:51], v55, v53
	v_cndmask_b32_e64 v53, v54, v52, s[50:51]
	v_cmp_lt_u32_e64 s[50:51], 31, v51
	v_cndmask_b32_e64 v52, v52, v53, s[50:51]
	v_cmp_eq_u32_e64 s[50:51], 63, v0
	s_and_saveexec_b64 s[52:53], s[50:51]
	s_cbranch_execz .LBB17_50
; %bb.49:
	v_mov_b32_e32 v53, 0
	ds_write_b16 v53, v52
.LBB17_50:
	s_or_b64 exec, exec, s[52:53]
	v_add_u32_e32 v53, -1, v51
	v_and_b32_e32 v54, 64, v51
	v_cmp_lt_i32_e64 s[50:51], v53, v54
	v_cndmask_b32_e64 v51, v53, v51, s[50:51]
	v_and_b32_e32 v52, 0xffff, v52
	v_lshlrev_b32_e32 v51, 2, v51
	ds_bpermute_b32 v51, v51, v52
	s_load_dwordx2 s[52:53], s[4:5], 0x18
	v_cmp_eq_u32_e64 s[4:5], 0, v0
	s_waitcnt lgkmcnt(0)
	; wave barrier
	s_waitcnt lgkmcnt(0)
	v_lshlrev_b32_e32 v52, 16, v51
	v_cmp_gt_f32_e64 s[50:51], v29, v52
	s_or_b64 s[4:5], s[4:5], s[50:51]
	v_cndmask_b32_e64 v10, v51, v10, s[4:5]
	v_lshlrev_b32_e32 v29, 16, v10
	v_cmp_gt_f32_e64 s[4:5], v26, v29
	v_cndmask_b32_e64 v26, v10, v27, s[4:5]
	v_lshlrev_b32_e32 v27, 16, v26
	v_cmp_gt_f32_e64 s[4:5], v28, v27
	;; [unrolled: 3-line block ×23, first 2 shown]
	v_cndmask_b32_e64 v15, v30, v15, s[4:5]
	s_mov_b32 s4, 0x5040100
	v_perm_b32 v5, v23, v13, s4
	v_perm_b32 v4, v24, v12, s4
	;; [unrolled: 1-line block ×4, first 2 shown]
	s_waitcnt lgkmcnt(0)
	; wave barrier
	ds_write_b128 v1, v[2:5]
	v_perm_b32 v5, v19, v9, s4
	v_perm_b32 v4, v20, v8, s4
	v_perm_b32 v3, v21, v7, s4
	v_perm_b32 v2, v22, v6, s4
	ds_write_b128 v1, v[2:5] offset:16
	v_perm_b32 v5, v15, v30, s4
	v_perm_b32 v4, v16, v29, s4
	;; [unrolled: 1-line block ×4, first 2 shown]
	s_movk_i32 s4, 0xffd2
	v_mad_i32_i24 v0, v0, s4, v1
	ds_write_b128 v1, v[2:5] offset:32
	s_waitcnt lgkmcnt(0)
	; wave barrier
	s_waitcnt lgkmcnt(0)
	ds_read_u16 v24, v0 offset:256
	ds_read_u16 v23, v0 offset:384
	;; [unrolled: 1-line block ×23, first 2 shown]
	v_mov_b32_e32 v1, s53
	v_add_co_u32_e64 v0, s[4:5], s52, v14
	v_addc_co_u32_e64 v1, s[4:5], 0, v1, s[4:5]
	s_and_saveexec_b64 s[4:5], vcc
	s_cbranch_execnz .LBB17_75
; %bb.51:
	s_or_b64 exec, exec, s[4:5]
	s_and_saveexec_b64 s[4:5], s[0:1]
	s_cbranch_execnz .LBB17_76
.LBB17_52:
	s_or_b64 exec, exec, s[4:5]
	s_and_saveexec_b64 s[0:1], s[2:3]
	s_cbranch_execnz .LBB17_77
.LBB17_53:
	s_or_b64 exec, exec, s[0:1]
	s_and_saveexec_b64 s[0:1], s[48:49]
	s_cbranch_execnz .LBB17_78
.LBB17_54:
	s_or_b64 exec, exec, s[0:1]
	s_and_saveexec_b64 s[0:1], s[6:7]
	s_cbranch_execnz .LBB17_79
.LBB17_55:
	s_or_b64 exec, exec, s[0:1]
	s_and_saveexec_b64 s[0:1], s[8:9]
	s_cbranch_execnz .LBB17_80
.LBB17_56:
	s_or_b64 exec, exec, s[0:1]
	s_and_saveexec_b64 s[0:1], s[10:11]
	s_cbranch_execnz .LBB17_81
.LBB17_57:
	s_or_b64 exec, exec, s[0:1]
	s_and_saveexec_b64 s[0:1], s[12:13]
	s_cbranch_execnz .LBB17_82
.LBB17_58:
	s_or_b64 exec, exec, s[0:1]
	s_and_saveexec_b64 s[0:1], s[14:15]
	s_cbranch_execnz .LBB17_83
.LBB17_59:
	s_or_b64 exec, exec, s[0:1]
	s_and_saveexec_b64 s[0:1], s[16:17]
	s_cbranch_execnz .LBB17_84
.LBB17_60:
	s_or_b64 exec, exec, s[0:1]
	s_and_saveexec_b64 s[0:1], s[18:19]
	s_cbranch_execnz .LBB17_85
.LBB17_61:
	s_or_b64 exec, exec, s[0:1]
	s_and_saveexec_b64 s[0:1], s[20:21]
	s_cbranch_execnz .LBB17_86
.LBB17_62:
	s_or_b64 exec, exec, s[0:1]
	s_and_saveexec_b64 s[0:1], s[22:23]
	s_cbranch_execnz .LBB17_87
.LBB17_63:
	s_or_b64 exec, exec, s[0:1]
	s_and_saveexec_b64 s[0:1], s[24:25]
	s_cbranch_execnz .LBB17_88
.LBB17_64:
	s_or_b64 exec, exec, s[0:1]
	s_and_saveexec_b64 s[0:1], s[26:27]
	s_cbranch_execnz .LBB17_89
.LBB17_65:
	s_or_b64 exec, exec, s[0:1]
	s_and_saveexec_b64 s[0:1], s[28:29]
	s_cbranch_execnz .LBB17_90
.LBB17_66:
	s_or_b64 exec, exec, s[0:1]
	s_and_saveexec_b64 s[0:1], s[30:31]
	s_cbranch_execnz .LBB17_91
.LBB17_67:
	s_or_b64 exec, exec, s[0:1]
	s_and_saveexec_b64 s[0:1], s[34:35]
	s_cbranch_execnz .LBB17_92
.LBB17_68:
	s_or_b64 exec, exec, s[0:1]
	s_and_saveexec_b64 s[0:1], s[36:37]
	s_cbranch_execnz .LBB17_93
.LBB17_69:
	s_or_b64 exec, exec, s[0:1]
	s_and_saveexec_b64 s[0:1], s[38:39]
	s_cbranch_execnz .LBB17_94
.LBB17_70:
	s_or_b64 exec, exec, s[0:1]
	s_and_saveexec_b64 s[0:1], s[40:41]
	s_cbranch_execnz .LBB17_95
.LBB17_71:
	s_or_b64 exec, exec, s[0:1]
	s_and_saveexec_b64 s[0:1], s[42:43]
	s_cbranch_execnz .LBB17_96
.LBB17_72:
	s_or_b64 exec, exec, s[0:1]
	s_and_saveexec_b64 s[0:1], s[44:45]
	s_cbranch_execnz .LBB17_97
.LBB17_73:
	s_or_b64 exec, exec, s[0:1]
	s_and_saveexec_b64 s[0:1], s[46:47]
	s_cbranch_execnz .LBB17_98
.LBB17_74:
	s_endpgm
.LBB17_75:
	ds_read_u16 v14, v14
	s_waitcnt lgkmcnt(0)
	global_store_short v[0:1], v14, off
	s_or_b64 exec, exec, s[4:5]
	s_and_saveexec_b64 s[4:5], s[0:1]
	s_cbranch_execz .LBB17_52
.LBB17_76:
	s_waitcnt lgkmcnt(8)
	global_store_short v[0:1], v25, off offset:128
	s_or_b64 exec, exec, s[4:5]
	s_and_saveexec_b64 s[0:1], s[2:3]
	s_cbranch_execz .LBB17_53
.LBB17_77:
	s_waitcnt lgkmcnt(14)
	global_store_short v[0:1], v24, off offset:256
	s_or_b64 exec, exec, s[0:1]
	s_and_saveexec_b64 s[0:1], s[48:49]
	s_cbranch_execz .LBB17_54
.LBB17_78:
	s_waitcnt lgkmcnt(14)
	global_store_short v[0:1], v23, off offset:384
	s_or_b64 exec, exec, s[0:1]
	s_and_saveexec_b64 s[0:1], s[6:7]
	s_cbranch_execz .LBB17_55
.LBB17_79:
	s_waitcnt lgkmcnt(14)
	global_store_short v[0:1], v22, off offset:512
	s_or_b64 exec, exec, s[0:1]
	s_and_saveexec_b64 s[0:1], s[8:9]
	s_cbranch_execz .LBB17_56
.LBB17_80:
	s_waitcnt lgkmcnt(14)
	global_store_short v[0:1], v21, off offset:640
	s_or_b64 exec, exec, s[0:1]
	s_and_saveexec_b64 s[0:1], s[10:11]
	s_cbranch_execz .LBB17_57
.LBB17_81:
	s_waitcnt lgkmcnt(14)
	global_store_short v[0:1], v20, off offset:768
	s_or_b64 exec, exec, s[0:1]
	s_and_saveexec_b64 s[0:1], s[12:13]
	s_cbranch_execz .LBB17_58
.LBB17_82:
	s_waitcnt lgkmcnt(14)
	global_store_short v[0:1], v19, off offset:896
	s_or_b64 exec, exec, s[0:1]
	s_and_saveexec_b64 s[0:1], s[14:15]
	s_cbranch_execz .LBB17_59
.LBB17_83:
	s_waitcnt lgkmcnt(14)
	global_store_short v[0:1], v18, off offset:1024
	s_or_b64 exec, exec, s[0:1]
	s_and_saveexec_b64 s[0:1], s[16:17]
	s_cbranch_execz .LBB17_60
.LBB17_84:
	s_waitcnt lgkmcnt(14)
	global_store_short v[0:1], v17, off offset:1152
	s_or_b64 exec, exec, s[0:1]
	s_and_saveexec_b64 s[0:1], s[18:19]
	s_cbranch_execz .LBB17_61
.LBB17_85:
	s_waitcnt lgkmcnt(14)
	global_store_short v[0:1], v16, off offset:1280
	s_or_b64 exec, exec, s[0:1]
	s_and_saveexec_b64 s[0:1], s[20:21]
	s_cbranch_execz .LBB17_62
.LBB17_86:
	s_waitcnt lgkmcnt(13)
	global_store_short v[0:1], v15, off offset:1408
	s_or_b64 exec, exec, s[0:1]
	s_and_saveexec_b64 s[0:1], s[22:23]
	s_cbranch_execz .LBB17_63
.LBB17_87:
	s_waitcnt lgkmcnt(12)
	global_store_short v[0:1], v13, off offset:1536
	s_or_b64 exec, exec, s[0:1]
	s_and_saveexec_b64 s[0:1], s[24:25]
	s_cbranch_execz .LBB17_64
.LBB17_88:
	s_waitcnt lgkmcnt(11)
	global_store_short v[0:1], v12, off offset:1664
	s_or_b64 exec, exec, s[0:1]
	s_and_saveexec_b64 s[0:1], s[26:27]
	s_cbranch_execz .LBB17_65
.LBB17_89:
	s_waitcnt lgkmcnt(10)
	global_store_short v[0:1], v11, off offset:1792
	s_or_b64 exec, exec, s[0:1]
	s_and_saveexec_b64 s[0:1], s[28:29]
	s_cbranch_execz .LBB17_66
.LBB17_90:
	s_waitcnt lgkmcnt(9)
	global_store_short v[0:1], v10, off offset:1920
	s_or_b64 exec, exec, s[0:1]
	s_and_saveexec_b64 s[0:1], s[30:31]
	s_cbranch_execz .LBB17_67
.LBB17_91:
	s_waitcnt lgkmcnt(7)
	global_store_short v[0:1], v9, off offset:2048
	s_or_b64 exec, exec, s[0:1]
	s_and_saveexec_b64 s[0:1], s[34:35]
	s_cbranch_execz .LBB17_68
.LBB17_92:
	s_waitcnt lgkmcnt(6)
	global_store_short v[0:1], v8, off offset:2176
	s_or_b64 exec, exec, s[0:1]
	s_and_saveexec_b64 s[0:1], s[36:37]
	s_cbranch_execz .LBB17_69
.LBB17_93:
	s_waitcnt lgkmcnt(5)
	global_store_short v[0:1], v7, off offset:2304
	s_or_b64 exec, exec, s[0:1]
	s_and_saveexec_b64 s[0:1], s[38:39]
	s_cbranch_execz .LBB17_70
.LBB17_94:
	s_waitcnt lgkmcnt(4)
	global_store_short v[0:1], v6, off offset:2432
	s_or_b64 exec, exec, s[0:1]
	s_and_saveexec_b64 s[0:1], s[40:41]
	s_cbranch_execz .LBB17_71
.LBB17_95:
	s_waitcnt lgkmcnt(3)
	global_store_short v[0:1], v5, off offset:2560
	s_or_b64 exec, exec, s[0:1]
	s_and_saveexec_b64 s[0:1], s[42:43]
	s_cbranch_execz .LBB17_72
.LBB17_96:
	s_waitcnt lgkmcnt(2)
	global_store_short v[0:1], v4, off offset:2688
	s_or_b64 exec, exec, s[0:1]
	s_and_saveexec_b64 s[0:1], s[44:45]
	s_cbranch_execz .LBB17_73
.LBB17_97:
	s_waitcnt lgkmcnt(1)
	global_store_short v[0:1], v3, off offset:2816
	s_or_b64 exec, exec, s[0:1]
	s_and_saveexec_b64 s[0:1], s[46:47]
	s_cbranch_execz .LBB17_74
.LBB17_98:
	s_waitcnt lgkmcnt(0)
	global_store_short v[0:1], v2, off offset:2944
	s_endpgm
	.section	.rodata,"a",@progbits
	.p2align	6, 0x0
	.amdhsa_kernel _ZN7rocprim6detail18single_scan_kernelILb0ENS0_19wrapped_scan_configINS_14default_configE12hip_bfloat16EEPS4_S6_N6hipcub3MaxES4_S4_EEvT1_mT4_T2_T3_
		.amdhsa_group_segment_fixed_size 3072
		.amdhsa_private_segment_fixed_size 0
		.amdhsa_kernarg_size 36
		.amdhsa_user_sgpr_count 6
		.amdhsa_user_sgpr_private_segment_buffer 1
		.amdhsa_user_sgpr_dispatch_ptr 0
		.amdhsa_user_sgpr_queue_ptr 0
		.amdhsa_user_sgpr_kernarg_segment_ptr 1
		.amdhsa_user_sgpr_dispatch_id 0
		.amdhsa_user_sgpr_flat_scratch_init 0
		.amdhsa_user_sgpr_kernarg_preload_length 0
		.amdhsa_user_sgpr_kernarg_preload_offset 0
		.amdhsa_user_sgpr_private_segment_size 0
		.amdhsa_uses_dynamic_stack 0
		.amdhsa_system_sgpr_private_segment_wavefront_offset 0
		.amdhsa_system_sgpr_workgroup_id_x 1
		.amdhsa_system_sgpr_workgroup_id_y 0
		.amdhsa_system_sgpr_workgroup_id_z 0
		.amdhsa_system_sgpr_workgroup_info 0
		.amdhsa_system_vgpr_workitem_id 0
		.amdhsa_next_free_vgpr 58
		.amdhsa_next_free_sgpr 54
		.amdhsa_accum_offset 60
		.amdhsa_reserve_vcc 1
		.amdhsa_reserve_flat_scratch 0
		.amdhsa_float_round_mode_32 0
		.amdhsa_float_round_mode_16_64 0
		.amdhsa_float_denorm_mode_32 3
		.amdhsa_float_denorm_mode_16_64 3
		.amdhsa_dx10_clamp 1
		.amdhsa_ieee_mode 1
		.amdhsa_fp16_overflow 0
		.amdhsa_tg_split 0
		.amdhsa_exception_fp_ieee_invalid_op 0
		.amdhsa_exception_fp_denorm_src 0
		.amdhsa_exception_fp_ieee_div_zero 0
		.amdhsa_exception_fp_ieee_overflow 0
		.amdhsa_exception_fp_ieee_underflow 0
		.amdhsa_exception_fp_ieee_inexact 0
		.amdhsa_exception_int_div_zero 0
	.end_amdhsa_kernel
	.section	.text._ZN7rocprim6detail18single_scan_kernelILb0ENS0_19wrapped_scan_configINS_14default_configE12hip_bfloat16EEPS4_S6_N6hipcub3MaxES4_S4_EEvT1_mT4_T2_T3_,"axG",@progbits,_ZN7rocprim6detail18single_scan_kernelILb0ENS0_19wrapped_scan_configINS_14default_configE12hip_bfloat16EEPS4_S6_N6hipcub3MaxES4_S4_EEvT1_mT4_T2_T3_,comdat
.Lfunc_end17:
	.size	_ZN7rocprim6detail18single_scan_kernelILb0ENS0_19wrapped_scan_configINS_14default_configE12hip_bfloat16EEPS4_S6_N6hipcub3MaxES4_S4_EEvT1_mT4_T2_T3_, .Lfunc_end17-_ZN7rocprim6detail18single_scan_kernelILb0ENS0_19wrapped_scan_configINS_14default_configE12hip_bfloat16EEPS4_S6_N6hipcub3MaxES4_S4_EEvT1_mT4_T2_T3_
                                        ; -- End function
	.section	.AMDGPU.csdata,"",@progbits
; Kernel info:
; codeLenInByte = 4084
; NumSgprs: 58
; NumVgprs: 58
; NumAgprs: 0
; TotalNumVgprs: 58
; ScratchSize: 0
; MemoryBound: 0
; FloatMode: 240
; IeeeMode: 1
; LDSByteSize: 3072 bytes/workgroup (compile time only)
; SGPRBlocks: 7
; VGPRBlocks: 7
; NumSGPRsForWavesPerEU: 58
; NumVGPRsForWavesPerEU: 58
; AccumOffset: 60
; Occupancy: 6
; WaveLimiterHint : 0
; COMPUTE_PGM_RSRC2:SCRATCH_EN: 0
; COMPUTE_PGM_RSRC2:USER_SGPR: 6
; COMPUTE_PGM_RSRC2:TRAP_HANDLER: 0
; COMPUTE_PGM_RSRC2:TGID_X_EN: 1
; COMPUTE_PGM_RSRC2:TGID_Y_EN: 0
; COMPUTE_PGM_RSRC2:TGID_Z_EN: 0
; COMPUTE_PGM_RSRC2:TIDIG_COMP_CNT: 0
; COMPUTE_PGM_RSRC3_GFX90A:ACCUM_OFFSET: 14
; COMPUTE_PGM_RSRC3_GFX90A:TG_SPLIT: 0
	.section	.text._ZN7rocprim6detail20lookback_scan_kernelILNS0_25lookback_scan_determinismE0ELb0ENS0_19wrapped_scan_configINS_14default_configEiEEN6hipcub22TransformInputIteratorIiNS6_6CastOpIiEEPilEEPdNS6_3SumEiiNS0_19lookback_scan_stateIiLb1ELb1EEEEEvT2_T3_mT5_T4_T7_jPT6_SM_bb,"axG",@progbits,_ZN7rocprim6detail20lookback_scan_kernelILNS0_25lookback_scan_determinismE0ELb0ENS0_19wrapped_scan_configINS_14default_configEiEEN6hipcub22TransformInputIteratorIiNS6_6CastOpIiEEPilEEPdNS6_3SumEiiNS0_19lookback_scan_stateIiLb1ELb1EEEEEvT2_T3_mT5_T4_T7_jPT6_SM_bb,comdat
	.protected	_ZN7rocprim6detail20lookback_scan_kernelILNS0_25lookback_scan_determinismE0ELb0ENS0_19wrapped_scan_configINS_14default_configEiEEN6hipcub22TransformInputIteratorIiNS6_6CastOpIiEEPilEEPdNS6_3SumEiiNS0_19lookback_scan_stateIiLb1ELb1EEEEEvT2_T3_mT5_T4_T7_jPT6_SM_bb ; -- Begin function _ZN7rocprim6detail20lookback_scan_kernelILNS0_25lookback_scan_determinismE0ELb0ENS0_19wrapped_scan_configINS_14default_configEiEEN6hipcub22TransformInputIteratorIiNS6_6CastOpIiEEPilEEPdNS6_3SumEiiNS0_19lookback_scan_stateIiLb1ELb1EEEEEvT2_T3_mT5_T4_T7_jPT6_SM_bb
	.globl	_ZN7rocprim6detail20lookback_scan_kernelILNS0_25lookback_scan_determinismE0ELb0ENS0_19wrapped_scan_configINS_14default_configEiEEN6hipcub22TransformInputIteratorIiNS6_6CastOpIiEEPilEEPdNS6_3SumEiiNS0_19lookback_scan_stateIiLb1ELb1EEEEEvT2_T3_mT5_T4_T7_jPT6_SM_bb
	.p2align	8
	.type	_ZN7rocprim6detail20lookback_scan_kernelILNS0_25lookback_scan_determinismE0ELb0ENS0_19wrapped_scan_configINS_14default_configEiEEN6hipcub22TransformInputIteratorIiNS6_6CastOpIiEEPilEEPdNS6_3SumEiiNS0_19lookback_scan_stateIiLb1ELb1EEEEEvT2_T3_mT5_T4_T7_jPT6_SM_bb,@function
_ZN7rocprim6detail20lookback_scan_kernelILNS0_25lookback_scan_determinismE0ELb0ENS0_19wrapped_scan_configINS_14default_configEiEEN6hipcub22TransformInputIteratorIiNS6_6CastOpIiEEPilEEPdNS6_3SumEiiNS0_19lookback_scan_stateIiLb1ELb1EEEEEvT2_T3_mT5_T4_T7_jPT6_SM_bb: ; @_ZN7rocprim6detail20lookback_scan_kernelILNS0_25lookback_scan_determinismE0ELb0ENS0_19wrapped_scan_configINS_14default_configEiEEN6hipcub22TransformInputIteratorIiNS6_6CastOpIiEEPilEEPdNS6_3SumEiiNS0_19lookback_scan_stateIiLb1ELb1EEEEEvT2_T3_mT5_T4_T7_jPT6_SM_bb
; %bb.0:
	s_endpgm
	.section	.rodata,"a",@progbits
	.p2align	6, 0x0
	.amdhsa_kernel _ZN7rocprim6detail20lookback_scan_kernelILNS0_25lookback_scan_determinismE0ELb0ENS0_19wrapped_scan_configINS_14default_configEiEEN6hipcub22TransformInputIteratorIiNS6_6CastOpIiEEPilEEPdNS6_3SumEiiNS0_19lookback_scan_stateIiLb1ELb1EEEEEvT2_T3_mT5_T4_T7_jPT6_SM_bb
		.amdhsa_group_segment_fixed_size 0
		.amdhsa_private_segment_fixed_size 0
		.amdhsa_kernarg_size 76
		.amdhsa_user_sgpr_count 6
		.amdhsa_user_sgpr_private_segment_buffer 1
		.amdhsa_user_sgpr_dispatch_ptr 0
		.amdhsa_user_sgpr_queue_ptr 0
		.amdhsa_user_sgpr_kernarg_segment_ptr 1
		.amdhsa_user_sgpr_dispatch_id 0
		.amdhsa_user_sgpr_flat_scratch_init 0
		.amdhsa_user_sgpr_kernarg_preload_length 0
		.amdhsa_user_sgpr_kernarg_preload_offset 0
		.amdhsa_user_sgpr_private_segment_size 0
		.amdhsa_uses_dynamic_stack 0
		.amdhsa_system_sgpr_private_segment_wavefront_offset 0
		.amdhsa_system_sgpr_workgroup_id_x 1
		.amdhsa_system_sgpr_workgroup_id_y 0
		.amdhsa_system_sgpr_workgroup_id_z 0
		.amdhsa_system_sgpr_workgroup_info 0
		.amdhsa_system_vgpr_workitem_id 0
		.amdhsa_next_free_vgpr 1
		.amdhsa_next_free_sgpr 0
		.amdhsa_accum_offset 4
		.amdhsa_reserve_vcc 0
		.amdhsa_reserve_flat_scratch 0
		.amdhsa_float_round_mode_32 0
		.amdhsa_float_round_mode_16_64 0
		.amdhsa_float_denorm_mode_32 3
		.amdhsa_float_denorm_mode_16_64 3
		.amdhsa_dx10_clamp 1
		.amdhsa_ieee_mode 1
		.amdhsa_fp16_overflow 0
		.amdhsa_tg_split 0
		.amdhsa_exception_fp_ieee_invalid_op 0
		.amdhsa_exception_fp_denorm_src 0
		.amdhsa_exception_fp_ieee_div_zero 0
		.amdhsa_exception_fp_ieee_overflow 0
		.amdhsa_exception_fp_ieee_underflow 0
		.amdhsa_exception_fp_ieee_inexact 0
		.amdhsa_exception_int_div_zero 0
	.end_amdhsa_kernel
	.section	.text._ZN7rocprim6detail20lookback_scan_kernelILNS0_25lookback_scan_determinismE0ELb0ENS0_19wrapped_scan_configINS_14default_configEiEEN6hipcub22TransformInputIteratorIiNS6_6CastOpIiEEPilEEPdNS6_3SumEiiNS0_19lookback_scan_stateIiLb1ELb1EEEEEvT2_T3_mT5_T4_T7_jPT6_SM_bb,"axG",@progbits,_ZN7rocprim6detail20lookback_scan_kernelILNS0_25lookback_scan_determinismE0ELb0ENS0_19wrapped_scan_configINS_14default_configEiEEN6hipcub22TransformInputIteratorIiNS6_6CastOpIiEEPilEEPdNS6_3SumEiiNS0_19lookback_scan_stateIiLb1ELb1EEEEEvT2_T3_mT5_T4_T7_jPT6_SM_bb,comdat
.Lfunc_end18:
	.size	_ZN7rocprim6detail20lookback_scan_kernelILNS0_25lookback_scan_determinismE0ELb0ENS0_19wrapped_scan_configINS_14default_configEiEEN6hipcub22TransformInputIteratorIiNS6_6CastOpIiEEPilEEPdNS6_3SumEiiNS0_19lookback_scan_stateIiLb1ELb1EEEEEvT2_T3_mT5_T4_T7_jPT6_SM_bb, .Lfunc_end18-_ZN7rocprim6detail20lookback_scan_kernelILNS0_25lookback_scan_determinismE0ELb0ENS0_19wrapped_scan_configINS_14default_configEiEEN6hipcub22TransformInputIteratorIiNS6_6CastOpIiEEPilEEPdNS6_3SumEiiNS0_19lookback_scan_stateIiLb1ELb1EEEEEvT2_T3_mT5_T4_T7_jPT6_SM_bb
                                        ; -- End function
	.section	.AMDGPU.csdata,"",@progbits
; Kernel info:
; codeLenInByte = 4
; NumSgprs: 4
; NumVgprs: 0
; NumAgprs: 0
; TotalNumVgprs: 0
; ScratchSize: 0
; MemoryBound: 0
; FloatMode: 240
; IeeeMode: 1
; LDSByteSize: 0 bytes/workgroup (compile time only)
; SGPRBlocks: 0
; VGPRBlocks: 0
; NumSGPRsForWavesPerEU: 4
; NumVGPRsForWavesPerEU: 1
; AccumOffset: 4
; Occupancy: 8
; WaveLimiterHint : 0
; COMPUTE_PGM_RSRC2:SCRATCH_EN: 0
; COMPUTE_PGM_RSRC2:USER_SGPR: 6
; COMPUTE_PGM_RSRC2:TRAP_HANDLER: 0
; COMPUTE_PGM_RSRC2:TGID_X_EN: 1
; COMPUTE_PGM_RSRC2:TGID_Y_EN: 0
; COMPUTE_PGM_RSRC2:TGID_Z_EN: 0
; COMPUTE_PGM_RSRC2:TIDIG_COMP_CNT: 0
; COMPUTE_PGM_RSRC3_GFX90A:ACCUM_OFFSET: 0
; COMPUTE_PGM_RSRC3_GFX90A:TG_SPLIT: 0
	.section	.text._ZN7rocprim6detail20lookback_scan_kernelILNS0_25lookback_scan_determinismE0ELb0ENS0_19wrapped_scan_configINS_14default_configEiEEN6hipcub22TransformInputIteratorIiNS6_6CastOpIiEEPilEEPdNS6_3SumEiiNS0_19lookback_scan_stateIiLb0ELb1EEEEEvT2_T3_mT5_T4_T7_jPT6_SM_bb,"axG",@progbits,_ZN7rocprim6detail20lookback_scan_kernelILNS0_25lookback_scan_determinismE0ELb0ENS0_19wrapped_scan_configINS_14default_configEiEEN6hipcub22TransformInputIteratorIiNS6_6CastOpIiEEPilEEPdNS6_3SumEiiNS0_19lookback_scan_stateIiLb0ELb1EEEEEvT2_T3_mT5_T4_T7_jPT6_SM_bb,comdat
	.protected	_ZN7rocprim6detail20lookback_scan_kernelILNS0_25lookback_scan_determinismE0ELb0ENS0_19wrapped_scan_configINS_14default_configEiEEN6hipcub22TransformInputIteratorIiNS6_6CastOpIiEEPilEEPdNS6_3SumEiiNS0_19lookback_scan_stateIiLb0ELb1EEEEEvT2_T3_mT5_T4_T7_jPT6_SM_bb ; -- Begin function _ZN7rocprim6detail20lookback_scan_kernelILNS0_25lookback_scan_determinismE0ELb0ENS0_19wrapped_scan_configINS_14default_configEiEEN6hipcub22TransformInputIteratorIiNS6_6CastOpIiEEPilEEPdNS6_3SumEiiNS0_19lookback_scan_stateIiLb0ELb1EEEEEvT2_T3_mT5_T4_T7_jPT6_SM_bb
	.globl	_ZN7rocprim6detail20lookback_scan_kernelILNS0_25lookback_scan_determinismE0ELb0ENS0_19wrapped_scan_configINS_14default_configEiEEN6hipcub22TransformInputIteratorIiNS6_6CastOpIiEEPilEEPdNS6_3SumEiiNS0_19lookback_scan_stateIiLb0ELb1EEEEEvT2_T3_mT5_T4_T7_jPT6_SM_bb
	.p2align	8
	.type	_ZN7rocprim6detail20lookback_scan_kernelILNS0_25lookback_scan_determinismE0ELb0ENS0_19wrapped_scan_configINS_14default_configEiEEN6hipcub22TransformInputIteratorIiNS6_6CastOpIiEEPilEEPdNS6_3SumEiiNS0_19lookback_scan_stateIiLb0ELb1EEEEEvT2_T3_mT5_T4_T7_jPT6_SM_bb,@function
_ZN7rocprim6detail20lookback_scan_kernelILNS0_25lookback_scan_determinismE0ELb0ENS0_19wrapped_scan_configINS_14default_configEiEEN6hipcub22TransformInputIteratorIiNS6_6CastOpIiEEPilEEPdNS6_3SumEiiNS0_19lookback_scan_stateIiLb0ELb1EEEEEvT2_T3_mT5_T4_T7_jPT6_SM_bb: ; @_ZN7rocprim6detail20lookback_scan_kernelILNS0_25lookback_scan_determinismE0ELb0ENS0_19wrapped_scan_configINS_14default_configEiEEN6hipcub22TransformInputIteratorIiNS6_6CastOpIiEEPilEEPdNS6_3SumEiiNS0_19lookback_scan_stateIiLb0ELb1EEEEEvT2_T3_mT5_T4_T7_jPT6_SM_bb
; %bb.0:
	s_load_dword s2, s[4:5], 0x30
	s_load_dwordx2 s[0:1], s[4:5], 0x0
	s_load_dwordx4 s[20:23], s[4:5], 0x10
	s_mul_i32 s18, s6, 0x500
	s_mov_b32 s19, 0
	s_waitcnt lgkmcnt(0)
	s_add_i32 s2, s2, -1
	s_mul_i32 s3, s2, 0x500
	s_sub_u32 s24, s22, s3
	s_subb_u32 s25, s23, 0
	s_cmp_lg_u32 s6, s2
	s_cselect_b64 s[22:23], -1, 0
	s_lshl_b64 s[2:3], s[18:19], 2
	s_add_u32 s2, s0, s2
	s_addc_u32 s3, s1, s3
	s_mov_b64 s[0:1], -1
	s_and_b64 vcc, exec, s[22:23]
	v_lshlrev_b32_e32 v23, 2, v0
	s_cbranch_vccz .LBB19_2
; %bb.1:
	v_mov_b32_e32 v1, s3
	v_add_co_u32_e32 v2, vcc, s2, v23
	v_addc_co_u32_e32 v1, vcc, 0, v1, vcc
	v_add_co_u32_e32 v2, vcc, 0x1000, v2
	v_addc_co_u32_e32 v3, vcc, 0, v1, vcc
	global_load_dword v4, v23, s[2:3]
	global_load_dword v5, v23, s[2:3] offset:512
	global_load_dword v6, v23, s[2:3] offset:1024
	;; [unrolled: 1-line block ×7, first 2 shown]
	global_load_dword v1, v[2:3], off
	global_load_dword v12, v[2:3], off offset:512
	s_mov_b64 s[0:1], 0
	s_waitcnt vmcnt(8)
	ds_write2st64_b32 v23, v4, v5 offset1:2
	s_waitcnt vmcnt(6)
	ds_write2st64_b32 v23, v6, v7 offset0:4 offset1:6
	s_waitcnt vmcnt(4)
	ds_write2st64_b32 v23, v8, v9 offset0:8 offset1:10
	;; [unrolled: 2-line block ×4, first 2 shown]
	s_waitcnt lgkmcnt(0)
	s_barrier
.LBB19_2:
	s_andn2_b64 vcc, exec, s[0:1]
	v_cmp_gt_u32_e64 s[0:1], s24, v0
	s_cbranch_vccnz .LBB19_24
; %bb.3:
	s_load_dword s8, s[2:3], 0x0
	v_mov_b32_e32 v1, s3
	v_add_co_u32_e32 v12, vcc, s2, v23
	v_addc_co_u32_e32 v13, vcc, 0, v1, vcc
	s_waitcnt lgkmcnt(0)
	s_mov_b32 s9, s8
	s_mov_b32 s10, s8
	;; [unrolled: 1-line block ×9, first 2 shown]
	v_pk_mov_b32 v[2:3], s[8:9], s[8:9] op_sel:[0,1]
	v_pk_mov_b32 v[4:5], s[10:11], s[10:11] op_sel:[0,1]
	v_pk_mov_b32 v[6:7], s[12:13], s[12:13] op_sel:[0,1]
	v_pk_mov_b32 v[8:9], s[14:15], s[14:15] op_sel:[0,1]
	v_pk_mov_b32 v[10:11], s[16:17], s[16:17] op_sel:[0,1]
	v_mov_b32_e32 v1, s8
	s_and_saveexec_b64 s[2:3], s[0:1]
	s_cbranch_execz .LBB19_5
; %bb.4:
	global_load_dword v1, v[12:13], off
	v_pk_mov_b32 v[2:3], s[8:9], s[8:9] op_sel:[0,1]
	v_pk_mov_b32 v[4:5], s[10:11], s[10:11] op_sel:[0,1]
	;; [unrolled: 1-line block ×5, first 2 shown]
                                        ; kill: def $vgpr2 killed $vgpr1 killed $exec
.LBB19_5:
	s_or_b64 exec, exec, s[2:3]
	v_or_b32_e32 v2, 0x80, v0
	v_cmp_gt_u32_e32 vcc, s24, v2
	s_and_saveexec_b64 s[0:1], vcc
	s_cbranch_execz .LBB19_7
; %bb.6:
	global_load_dword v3, v[12:13], off offset:512
.LBB19_7:
	s_or_b64 exec, exec, s[0:1]
	v_or_b32_e32 v2, 0x100, v0
	v_cmp_gt_u32_e32 vcc, s24, v2
	s_and_saveexec_b64 s[0:1], vcc
	s_cbranch_execz .LBB19_9
; %bb.8:
	global_load_dword v4, v[12:13], off offset:1024
.LBB19_9:
	;; [unrolled: 8-line block ×7, first 2 shown]
	s_or_b64 exec, exec, s[0:1]
	v_or_b32_e32 v2, 0x400, v0
	v_cmp_gt_u32_e32 vcc, s24, v2
	s_and_saveexec_b64 s[0:1], vcc
	s_cbranch_execz .LBB19_21
; %bb.20:
	v_add_co_u32_e32 v14, vcc, 0x1000, v12
	v_addc_co_u32_e32 v15, vcc, 0, v13, vcc
	global_load_dword v10, v[14:15], off
.LBB19_21:
	s_or_b64 exec, exec, s[0:1]
	v_or_b32_e32 v2, 0x480, v0
	v_cmp_gt_u32_e32 vcc, s24, v2
	s_and_saveexec_b64 s[0:1], vcc
	s_cbranch_execz .LBB19_23
; %bb.22:
	v_add_co_u32_e32 v12, vcc, 0x1000, v12
	v_addc_co_u32_e32 v13, vcc, 0, v13, vcc
	global_load_dword v11, v[12:13], off offset:512
.LBB19_23:
	s_or_b64 exec, exec, s[0:1]
	s_waitcnt vmcnt(0)
	ds_write2st64_b32 v23, v1, v3 offset1:2
	ds_write2st64_b32 v23, v4, v5 offset0:4 offset1:6
	ds_write2st64_b32 v23, v6, v7 offset0:8 offset1:10
	;; [unrolled: 1-line block ×4, first 2 shown]
	s_waitcnt lgkmcnt(0)
	s_barrier
.LBB19_24:
	v_mul_u32_u24_e32 v22, 10, v0
	v_lshlrev_b32_e32 v1, 2, v22
	ds_read2_b64 v[16:19], v1 offset1:1
	ds_read2_b64 v[12:15], v1 offset0:2 offset1:3
	ds_read_b64 v[20:21], v1 offset:32
	s_load_dwordx2 s[12:13], s[4:5], 0x28
	s_cmp_lg_u32 s6, 0
	v_lshrrev_b32_e32 v24, 5, v0
	v_cmp_gt_u32_e32 vcc, 64, v0
	s_waitcnt lgkmcnt(0)
	s_barrier
	s_cbranch_scc0 .LBB19_49
; %bb.25:
	v_add_u32_e32 v2, v17, v16
	v_add3_u32 v2, v2, v18, v19
	v_add3_u32 v2, v2, v12, v13
	;; [unrolled: 1-line block ×4, first 2 shown]
	v_add_lshl_u32 v3, v24, v0, 2
	ds_write_b32 v3, v2
	s_waitcnt lgkmcnt(0)
	s_barrier
	s_and_saveexec_b64 s[2:3], vcc
	s_cbranch_execz .LBB19_27
; %bb.26:
	v_lshlrev_b32_e32 v3, 1, v0
	v_lshrrev_b32_e32 v4, 4, v0
	v_add_lshl_u32 v3, v4, v3, 2
	ds_read2_b32 v[4:5], v3 offset1:1
	v_mbcnt_lo_u32_b32 v6, -1, 0
	v_mbcnt_hi_u32_b32 v6, -1, v6
	v_and_b32_e32 v7, 15, v6
	v_cmp_ne_u32_e64 s[0:1], 0, v7
	s_waitcnt lgkmcnt(0)
	v_add_u32_e32 v8, v5, v4
	s_nop 1
	v_mov_b32_dpp v9, v8 row_shr:1 row_mask:0xf bank_mask:0xf
	v_cndmask_b32_e64 v9, 0, v9, s[0:1]
	v_add_u32_e32 v8, v9, v8
	v_cmp_lt_u32_e64 s[0:1], 1, v7
	s_nop 0
	v_mov_b32_dpp v9, v8 row_shr:2 row_mask:0xf bank_mask:0xf
	v_cndmask_b32_e64 v9, 0, v9, s[0:1]
	v_add_u32_e32 v8, v8, v9
	v_cmp_lt_u32_e64 s[0:1], 3, v7
	;; [unrolled: 5-line block ×3, first 2 shown]
	s_nop 0
	v_mov_b32_dpp v9, v8 row_shr:8 row_mask:0xf bank_mask:0xf
	v_cndmask_b32_e64 v7, 0, v9, s[0:1]
	v_add_u32_e32 v7, v8, v7
	v_bfe_i32 v9, v6, 4, 1
	v_cmp_lt_u32_e64 s[0:1], 31, v6
	v_mov_b32_dpp v8, v7 row_bcast:15 row_mask:0xf bank_mask:0xf
	v_and_b32_e32 v8, v9, v8
	v_add_u32_e32 v7, v7, v8
	v_and_b32_e32 v9, 64, v6
	s_nop 0
	v_mov_b32_dpp v8, v7 row_bcast:31 row_mask:0xf bank_mask:0xf
	v_cndmask_b32_e64 v8, 0, v8, s[0:1]
	v_add_u32_e32 v7, v7, v8
	v_add_u32_e32 v8, -1, v6
	v_cmp_lt_i32_e64 s[0:1], v8, v9
	v_cndmask_b32_e64 v6, v8, v6, s[0:1]
	v_lshlrev_b32_e32 v6, 2, v6
	ds_bpermute_b32 v6, v6, v7
	v_cmp_eq_u32_e64 s[0:1], 0, v0
	s_waitcnt lgkmcnt(0)
	v_add_u32_e32 v4, v6, v4
	v_cndmask_b32_e64 v2, v4, v2, s[0:1]
	v_add_u32_e32 v4, v2, v5
	ds_write2_b32 v3, v2, v4 offset1:1
.LBB19_27:
	s_or_b64 exec, exec, s[2:3]
	v_cmp_eq_u32_e64 s[0:1], 0, v0
	v_cmp_ne_u32_e64 s[2:3], 0, v0
	v_mov_b32_e32 v25, 0
	s_waitcnt lgkmcnt(0)
	s_barrier
	s_and_saveexec_b64 s[8:9], s[2:3]
	s_cbranch_execz .LBB19_29
; %bb.28:
	v_add_u32_e32 v2, -1, v0
	v_lshrrev_b32_e32 v3, 5, v2
	v_add_lshl_u32 v2, v3, v2, 2
	ds_read_b32 v25, v2
.LBB19_29:
	s_or_b64 exec, exec, s[8:9]
	s_and_saveexec_b64 s[8:9], vcc
	s_cbranch_execz .LBB19_48
; %bb.30:
	v_mov_b32_e32 v9, 0
	ds_read_b32 v2, v9 offset:520
	v_mbcnt_lo_u32_b32 v3, -1, 0
	v_mbcnt_hi_u32_b32 v5, -1, v3
	s_mov_b32 s15, 0
	v_cmp_eq_u32_e64 s[2:3], 0, v5
	s_and_saveexec_b64 s[10:11], s[2:3]
	s_cbranch_execz .LBB19_32
; %bb.31:
	s_add_i32 s14, s6, 64
	s_lshl_b64 s[14:15], s[14:15], 3
	s_add_u32 s14, s12, s14
	s_addc_u32 s15, s13, s15
	v_mov_b32_e32 v3, 1
	s_waitcnt lgkmcnt(0)
	global_store_dwordx2 v9, v[2:3], s[14:15]
.LBB19_32:
	s_or_b64 exec, exec, s[10:11]
	v_xad_u32 v4, v5, -1, s6
	v_add_u32_e32 v8, 64, v4
	v_lshlrev_b64 v[6:7], 3, v[8:9]
	v_mov_b32_e32 v3, s13
	v_add_co_u32_e32 v10, vcc, s12, v6
	v_addc_co_u32_e32 v11, vcc, v3, v7, vcc
	global_load_dwordx2 v[6:7], v[10:11], off glc
	s_waitcnt vmcnt(0)
	v_cmp_eq_u16_sdwa s[14:15], v7, v9 src0_sel:BYTE_0 src1_sel:DWORD
	s_and_saveexec_b64 s[10:11], s[14:15]
	s_cbranch_execz .LBB19_36
; %bb.33:
	s_mov_b64 s[14:15], 0
	v_mov_b32_e32 v3, 0
.LBB19_34:                              ; =>This Inner Loop Header: Depth=1
	global_load_dwordx2 v[6:7], v[10:11], off glc
	s_waitcnt vmcnt(0)
	v_cmp_ne_u16_sdwa s[16:17], v7, v3 src0_sel:BYTE_0 src1_sel:DWORD
	s_or_b64 s[14:15], s[16:17], s[14:15]
	s_andn2_b64 exec, exec, s[14:15]
	s_cbranch_execnz .LBB19_34
; %bb.35:
	s_or_b64 exec, exec, s[14:15]
.LBB19_36:
	s_or_b64 exec, exec, s[10:11]
	v_and_b32_e32 v34, 63, v5
	v_mov_b32_e32 v3, 2
	v_cmp_ne_u32_e32 vcc, 63, v34
	v_cmp_eq_u16_sdwa s[10:11], v7, v3 src0_sel:BYTE_0 src1_sel:DWORD
	v_lshlrev_b64 v[8:9], v5, -1
	v_addc_co_u32_e32 v26, vcc, 0, v5, vcc
	v_and_b32_e32 v10, s11, v9
	v_lshlrev_b32_e32 v26, 2, v26
	v_or_b32_e32 v10, 0x80000000, v10
	ds_bpermute_b32 v28, v26, v6
	v_and_b32_e32 v11, s10, v8
	v_ffbl_b32_e32 v10, v10
	v_add_u32_e32 v10, 32, v10
	v_ffbl_b32_e32 v11, v11
	v_min_u32_e32 v10, v11, v10
	v_add_u32_e32 v27, 1, v5
	v_cmp_le_u32_e32 vcc, v27, v10
	s_waitcnt lgkmcnt(0)
	v_cndmask_b32_e32 v11, 0, v28, vcc
	v_cmp_gt_u32_e32 vcc, 62, v34
	v_add_u32_e32 v6, v11, v6
	v_cndmask_b32_e64 v11, 0, 1, vcc
	v_lshlrev_b32_e32 v11, 1, v11
	v_add_lshl_u32 v28, v11, v5, 2
	ds_bpermute_b32 v11, v28, v6
	v_add_u32_e32 v29, 2, v5
	v_cmp_le_u32_e32 vcc, v29, v10
	v_add_u32_e32 v31, 4, v5
	v_add_u32_e32 v33, 8, v5
	s_waitcnt lgkmcnt(0)
	v_cndmask_b32_e32 v11, 0, v11, vcc
	v_cmp_gt_u32_e32 vcc, 60, v34
	v_add_u32_e32 v6, v6, v11
	v_cndmask_b32_e64 v11, 0, 1, vcc
	v_lshlrev_b32_e32 v11, 2, v11
	v_add_lshl_u32 v30, v11, v5, 2
	ds_bpermute_b32 v11, v30, v6
	v_cmp_le_u32_e32 vcc, v31, v10
	v_add_u32_e32 v36, 16, v5
	v_add_u32_e32 v38, 32, v5
	s_waitcnt lgkmcnt(0)
	v_cndmask_b32_e32 v11, 0, v11, vcc
	v_cmp_gt_u32_e32 vcc, 56, v34
	v_add_u32_e32 v6, v6, v11
	v_cndmask_b32_e64 v11, 0, 1, vcc
	v_lshlrev_b32_e32 v11, 3, v11
	v_add_lshl_u32 v32, v11, v5, 2
	ds_bpermute_b32 v11, v32, v6
	v_cmp_le_u32_e32 vcc, v33, v10
	s_waitcnt lgkmcnt(0)
	v_cndmask_b32_e32 v11, 0, v11, vcc
	v_cmp_gt_u32_e32 vcc, 48, v34
	v_add_u32_e32 v6, v6, v11
	v_cndmask_b32_e64 v11, 0, 1, vcc
	v_lshlrev_b32_e32 v11, 4, v11
	v_add_lshl_u32 v35, v11, v5, 2
	ds_bpermute_b32 v11, v35, v6
	v_cmp_le_u32_e32 vcc, v36, v10
	;; [unrolled: 9-line block ×3, first 2 shown]
	s_waitcnt lgkmcnt(0)
	v_cndmask_b32_e32 v5, 0, v11, vcc
	v_add_u32_e32 v6, v6, v5
	v_mov_b32_e32 v5, 0
	s_branch .LBB19_38
.LBB19_37:                              ;   in Loop: Header=BB19_38 Depth=1
	s_or_b64 exec, exec, s[10:11]
	v_cmp_eq_u16_sdwa s[10:11], v7, v3 src0_sel:BYTE_0 src1_sel:DWORD
	v_and_b32_e32 v10, s11, v9
	v_or_b32_e32 v10, 0x80000000, v10
	ds_bpermute_b32 v39, v26, v6
	v_and_b32_e32 v11, s10, v8
	v_ffbl_b32_e32 v10, v10
	v_add_u32_e32 v10, 32, v10
	v_ffbl_b32_e32 v11, v11
	v_min_u32_e32 v10, v11, v10
	v_cmp_le_u32_e32 vcc, v27, v10
	s_waitcnt lgkmcnt(0)
	v_cndmask_b32_e32 v11, 0, v39, vcc
	v_add_u32_e32 v6, v11, v6
	ds_bpermute_b32 v11, v28, v6
	v_cmp_le_u32_e32 vcc, v29, v10
	v_subrev_u32_e32 v4, 64, v4
	s_waitcnt lgkmcnt(0)
	v_cndmask_b32_e32 v11, 0, v11, vcc
	v_add_u32_e32 v6, v6, v11
	ds_bpermute_b32 v11, v30, v6
	v_cmp_le_u32_e32 vcc, v31, v10
	s_waitcnt lgkmcnt(0)
	v_cndmask_b32_e32 v11, 0, v11, vcc
	v_add_u32_e32 v6, v6, v11
	ds_bpermute_b32 v11, v32, v6
	v_cmp_le_u32_e32 vcc, v33, v10
	s_waitcnt lgkmcnt(0)
	v_cndmask_b32_e32 v11, 0, v11, vcc
	v_add_u32_e32 v6, v6, v11
	ds_bpermute_b32 v11, v35, v6
	v_cmp_le_u32_e32 vcc, v36, v10
	s_waitcnt lgkmcnt(0)
	v_cndmask_b32_e32 v11, 0, v11, vcc
	v_add_u32_e32 v6, v6, v11
	ds_bpermute_b32 v11, v37, v6
	v_cmp_le_u32_e32 vcc, v38, v10
	s_waitcnt lgkmcnt(0)
	v_cndmask_b32_e32 v10, 0, v11, vcc
	v_add3_u32 v6, v10, v34, v6
.LBB19_38:                              ; =>This Loop Header: Depth=1
                                        ;     Child Loop BB19_41 Depth 2
	v_cmp_ne_u16_sdwa s[10:11], v7, v3 src0_sel:BYTE_0 src1_sel:DWORD
	v_cndmask_b32_e64 v7, 0, 1, s[10:11]
	;;#ASMSTART
	;;#ASMEND
	v_cmp_ne_u32_e32 vcc, 0, v7
	s_cmp_lg_u64 vcc, exec
	v_mov_b32_e32 v34, v6
	s_cbranch_scc1 .LBB19_43
; %bb.39:                               ;   in Loop: Header=BB19_38 Depth=1
	v_lshlrev_b64 v[6:7], 3, v[4:5]
	v_mov_b32_e32 v11, s13
	v_add_co_u32_e32 v10, vcc, s12, v6
	v_addc_co_u32_e32 v11, vcc, v11, v7, vcc
	global_load_dwordx2 v[6:7], v[10:11], off glc
	s_waitcnt vmcnt(0)
	v_cmp_eq_u16_sdwa s[14:15], v7, v5 src0_sel:BYTE_0 src1_sel:DWORD
	s_and_saveexec_b64 s[10:11], s[14:15]
	s_cbranch_execz .LBB19_37
; %bb.40:                               ;   in Loop: Header=BB19_38 Depth=1
	s_mov_b64 s[14:15], 0
.LBB19_41:                              ;   Parent Loop BB19_38 Depth=1
                                        ; =>  This Inner Loop Header: Depth=2
	global_load_dwordx2 v[6:7], v[10:11], off glc
	s_waitcnt vmcnt(0)
	v_cmp_ne_u16_sdwa s[16:17], v7, v5 src0_sel:BYTE_0 src1_sel:DWORD
	s_or_b64 s[14:15], s[16:17], s[14:15]
	s_andn2_b64 exec, exec, s[14:15]
	s_cbranch_execnz .LBB19_41
; %bb.42:                               ;   in Loop: Header=BB19_38 Depth=1
	s_or_b64 exec, exec, s[14:15]
	s_branch .LBB19_37
.LBB19_43:                              ;   in Loop: Header=BB19_38 Depth=1
                                        ; implicit-def: $vgpr6
                                        ; implicit-def: $vgpr7
	s_cbranch_execz .LBB19_38
; %bb.44:
	s_and_saveexec_b64 s[10:11], s[2:3]
	s_cbranch_execz .LBB19_46
; %bb.45:
	s_add_i32 s2, s6, 64
	s_mov_b32 s3, 0
	s_lshl_b64 s[2:3], s[2:3], 3
	s_add_u32 s2, s12, s2
	s_addc_u32 s3, s13, s3
	v_mov_b32_e32 v4, 0
	v_add_u32_e32 v2, v34, v2
	v_mov_b32_e32 v3, 2
	global_store_dwordx2 v4, v[2:3], s[2:3]
.LBB19_46:
	s_or_b64 exec, exec, s[10:11]
	s_and_b64 exec, exec, s[0:1]
	s_cbranch_execz .LBB19_48
; %bb.47:
	v_mov_b32_e32 v2, 0
	ds_write_b32 v2, v34
.LBB19_48:
	s_or_b64 exec, exec, s[8:9]
	v_mov_b32_e32 v2, 0
	s_waitcnt lgkmcnt(0)
	s_barrier
	ds_read_b32 v2, v2
	s_waitcnt lgkmcnt(0)
	v_add3_u32 v2, v25, v16, v2
	v_add_u32_e32 v3, v2, v17
	v_add_u32_e32 v4, v3, v18
	;; [unrolled: 1-line block ×9, first 2 shown]
	s_load_dwordx4 s[8:11], s[4:5], 0x38
	s_branch .LBB19_59
.LBB19_49:
                                        ; implicit-def: $vgpr2_vgpr3_vgpr4_vgpr5_vgpr6_vgpr7_vgpr8_vgpr9_vgpr10_vgpr11
	s_load_dwordx4 s[8:11], s[4:5], 0x38
	s_cbranch_execz .LBB19_59
; %bb.50:
	s_load_dword s2, s[4:5], 0x48
	v_cmp_eq_u32_e32 vcc, 0, v0
	v_cmp_ne_u32_e64 s[0:1], 0, v0
	s_waitcnt lgkmcnt(0)
	s_bitcmp1_b32 s2, 0
	s_cselect_b64 s[2:3], -1, 0
	s_and_b64 s[6:7], vcc, s[2:3]
	s_and_saveexec_b64 s[2:3], s[6:7]
	s_cbranch_execz .LBB19_52
; %bb.51:
	s_load_dword s6, s[8:9], 0x0
	s_waitcnt lgkmcnt(0)
	v_add_u32_e32 v16, s6, v16
.LBB19_52:
	s_or_b64 exec, exec, s[2:3]
	v_add_u32_e32 v2, v17, v16
	v_add3_u32 v2, v2, v18, v19
	v_add3_u32 v2, v2, v12, v13
	;; [unrolled: 1-line block ×4, first 2 shown]
	v_add_lshl_u32 v3, v24, v0, 2
	v_cmp_gt_u32_e64 s[2:3], 64, v0
	ds_write_b32 v3, v2
	s_waitcnt lgkmcnt(0)
	s_barrier
	s_and_saveexec_b64 s[6:7], s[2:3]
	s_cbranch_execz .LBB19_54
; %bb.53:
	v_lshlrev_b32_e32 v3, 1, v0
	v_lshrrev_b32_e32 v4, 4, v0
	v_add_lshl_u32 v3, v4, v3, 2
	ds_read2_b32 v[4:5], v3 offset1:1
	v_mbcnt_lo_u32_b32 v6, -1, 0
	v_mbcnt_hi_u32_b32 v6, -1, v6
	v_and_b32_e32 v7, 15, v6
	v_cmp_ne_u32_e64 s[2:3], 0, v7
	s_waitcnt lgkmcnt(0)
	v_add_u32_e32 v8, v5, v4
	s_nop 1
	v_mov_b32_dpp v9, v8 row_shr:1 row_mask:0xf bank_mask:0xf
	v_cndmask_b32_e64 v9, 0, v9, s[2:3]
	v_add_u32_e32 v8, v9, v8
	v_cmp_lt_u32_e64 s[2:3], 1, v7
	s_nop 0
	v_mov_b32_dpp v9, v8 row_shr:2 row_mask:0xf bank_mask:0xf
	v_cndmask_b32_e64 v9, 0, v9, s[2:3]
	v_add_u32_e32 v8, v8, v9
	v_cmp_lt_u32_e64 s[2:3], 3, v7
	;; [unrolled: 5-line block ×3, first 2 shown]
	s_nop 0
	v_mov_b32_dpp v9, v8 row_shr:8 row_mask:0xf bank_mask:0xf
	v_cndmask_b32_e64 v7, 0, v9, s[2:3]
	v_add_u32_e32 v7, v8, v7
	v_bfe_i32 v9, v6, 4, 1
	v_cmp_lt_u32_e64 s[2:3], 31, v6
	v_mov_b32_dpp v8, v7 row_bcast:15 row_mask:0xf bank_mask:0xf
	v_and_b32_e32 v8, v9, v8
	v_add_u32_e32 v7, v7, v8
	v_and_b32_e32 v9, 64, v6
	s_nop 0
	v_mov_b32_dpp v8, v7 row_bcast:31 row_mask:0xf bank_mask:0xf
	v_cndmask_b32_e64 v8, 0, v8, s[2:3]
	v_add_u32_e32 v7, v7, v8
	v_add_u32_e32 v8, -1, v6
	v_cmp_lt_i32_e64 s[2:3], v8, v9
	v_cndmask_b32_e64 v6, v8, v6, s[2:3]
	v_lshlrev_b32_e32 v6, 2, v6
	ds_bpermute_b32 v6, v6, v7
	s_waitcnt lgkmcnt(0)
	v_add_u32_e32 v4, v6, v4
	v_cndmask_b32_e32 v2, v4, v2, vcc
	v_add_u32_e32 v4, v2, v5
	ds_write2_b32 v3, v2, v4 offset1:1
.LBB19_54:
	s_or_b64 exec, exec, s[6:7]
	v_mov_b32_e32 v2, 0
	s_waitcnt lgkmcnt(0)
	s_barrier
	s_and_saveexec_b64 s[2:3], s[0:1]
	s_cbranch_execz .LBB19_56
; %bb.55:
	v_add_u32_e32 v2, -1, v0
	v_lshrrev_b32_e32 v3, 5, v2
	v_add_lshl_u32 v2, v3, v2, 2
	ds_read_b32 v2, v2
.LBB19_56:
	s_or_b64 exec, exec, s[2:3]
	s_waitcnt lgkmcnt(0)
	v_add_u32_e32 v2, v2, v16
	v_add_u32_e32 v3, v2, v17
	;; [unrolled: 1-line block ×10, first 2 shown]
	s_and_saveexec_b64 s[0:1], vcc
	s_cbranch_execz .LBB19_58
; %bb.57:
	v_mov_b32_e32 v14, 0
	ds_read_b32 v12, v14 offset:520
	v_mov_b32_e32 v13, 2
	s_waitcnt lgkmcnt(0)
	global_store_dwordx2 v14, v[12:13], s[12:13] offset:512
.LBB19_58:
	s_or_b64 exec, exec, s[0:1]
.LBB19_59:
	s_lshl_b64 s[0:1], s[18:19], 3
	s_add_u32 s0, s20, s0
	s_addc_u32 s1, s21, s1
	s_mov_b64 s[2:3], -1
	s_and_b64 vcc, exec, s[22:23]
	v_lshlrev_b32_e32 v12, 3, v0
	s_waitcnt lgkmcnt(0)
	s_barrier
	s_cbranch_vccz .LBB19_61
; %bb.60:
	ds_write2_b64 v1, v[2:3], v[4:5] offset1:1
	ds_write2_b64 v1, v[6:7], v[8:9] offset0:2 offset1:3
	ds_write_b64 v1, v[10:11] offset:32
	s_waitcnt lgkmcnt(0)
	s_barrier
	ds_read2st64_b32 v[14:15], v23 offset1:2
	ds_read2st64_b32 v[16:17], v23 offset0:4 offset1:6
	ds_read2st64_b32 v[18:19], v23 offset0:8 offset1:10
	;; [unrolled: 1-line block ×4, first 2 shown]
	v_mov_b32_e32 v13, s1
	v_add_co_u32_e32 v28, vcc, s0, v12
	s_waitcnt lgkmcnt(4)
	v_cvt_f64_i32_e32 v[26:27], v14
	v_cvt_f64_i32_e32 v[14:15], v15
	v_addc_co_u32_e32 v13, vcc, 0, v13, vcc
	global_store_dwordx2 v12, v[14:15], s[0:1] offset:1024
	s_waitcnt lgkmcnt(3)
	v_cvt_f64_i32_e32 v[14:15], v16
	s_movk_i32 s2, 0x1000
	global_store_dwordx2 v12, v[14:15], s[0:1] offset:2048
	v_cvt_f64_i32_e32 v[14:15], v17
	v_add_co_u32_e32 v16, vcc, s2, v28
	global_store_dwordx2 v12, v[14:15], s[0:1] offset:3072
	s_waitcnt lgkmcnt(2)
	v_cvt_f64_i32_e32 v[14:15], v18
	v_addc_co_u32_e32 v17, vcc, 0, v13, vcc
	global_store_dwordx2 v[16:17], v[14:15], off
	v_cvt_f64_i32_e32 v[14:15], v19
	global_store_dwordx2 v[16:17], v[14:15], off offset:1024
	s_waitcnt lgkmcnt(1)
	v_cvt_f64_i32_e32 v[14:15], v20
	global_store_dwordx2 v[16:17], v[14:15], off offset:2048
	v_cvt_f64_i32_e32 v[14:15], v21
	global_store_dwordx2 v[16:17], v[14:15], off offset:3072
	v_add_co_u32_e32 v16, vcc, 0x2000, v28
	s_waitcnt lgkmcnt(0)
	v_cvt_f64_i32_e32 v[14:15], v24
	v_addc_co_u32_e32 v17, vcc, 0, v13, vcc
	global_store_dwordx2 v[16:17], v[14:15], off
	v_cvt_f64_i32_e32 v[14:15], v25
	global_store_dwordx2 v12, v[26:27], s[0:1]
	global_store_dwordx2 v[16:17], v[14:15], off offset:1024
	s_mov_b64 s[2:3], 0
.LBB19_61:
	s_andn2_b64 vcc, exec, s[2:3]
	s_cbranch_vccnz .LBB19_117
; %bb.62:
	ds_write2_b64 v1, v[2:3], v[4:5] offset1:1
	ds_write2_b64 v1, v[6:7], v[8:9] offset0:2 offset1:3
	ds_write_b64 v1, v[10:11] offset:32
	s_waitcnt lgkmcnt(0)
	s_barrier
	ds_read2st64_b32 v[2:3], v23 offset1:2
	ds_read2st64_b32 v[6:7], v23 offset0:4 offset1:6
	ds_read2st64_b32 v[4:5], v23 offset0:8 offset1:10
	;; [unrolled: 1-line block ×4, first 2 shown]
	v_mov_b32_e32 v13, s1
	v_add_co_u32_e32 v12, vcc, s0, v12
	v_addc_co_u32_e32 v13, vcc, 0, v13, vcc
	v_mov_b32_e32 v1, 0
	v_cmp_gt_u32_e32 vcc, s24, v0
	s_and_saveexec_b64 s[0:1], vcc
	s_cbranch_execz .LBB19_64
; %bb.63:
	s_waitcnt lgkmcnt(4)
	v_cvt_f64_i32_e32 v[14:15], v2
	global_store_dwordx2 v[12:13], v[14:15], off
.LBB19_64:
	s_or_b64 exec, exec, s[0:1]
	v_or_b32_e32 v14, 0x80, v0
	v_cmp_gt_u32_e32 vcc, s24, v14
	s_and_saveexec_b64 s[0:1], vcc
	s_cbranch_execz .LBB19_66
; %bb.65:
	s_waitcnt lgkmcnt(4)
	v_cvt_f64_i32_e32 v[14:15], v3
	global_store_dwordx2 v[12:13], v[14:15], off offset:1024
.LBB19_66:
	s_or_b64 exec, exec, s[0:1]
	v_or_b32_e32 v14, 0x100, v0
	v_cmp_gt_u32_e32 vcc, s24, v14
	s_and_saveexec_b64 s[0:1], vcc
	s_cbranch_execz .LBB19_68
; %bb.67:
	s_waitcnt lgkmcnt(3)
	v_cvt_f64_i32_e32 v[14:15], v6
	global_store_dwordx2 v[12:13], v[14:15], off offset:2048
.LBB19_68:
	;; [unrolled: 10-line block ×3, first 2 shown]
	s_or_b64 exec, exec, s[0:1]
	v_or_b32_e32 v14, 0x200, v0
	v_cmp_gt_u32_e32 vcc, s24, v14
	s_and_saveexec_b64 s[0:1], vcc
	s_cbranch_execz .LBB19_72
; %bb.71:
	v_add_co_u32_e32 v16, vcc, 0x1000, v12
	s_waitcnt lgkmcnt(2)
	v_cvt_f64_i32_e32 v[14:15], v4
	v_addc_co_u32_e32 v17, vcc, 0, v13, vcc
	global_store_dwordx2 v[16:17], v[14:15], off
.LBB19_72:
	s_or_b64 exec, exec, s[0:1]
	v_or_b32_e32 v14, 0x280, v0
	v_cmp_gt_u32_e32 vcc, s24, v14
	s_and_saveexec_b64 s[0:1], vcc
	s_cbranch_execz .LBB19_74
; %bb.73:
	v_add_co_u32_e32 v16, vcc, 0x1000, v12
	s_waitcnt lgkmcnt(2)
	v_cvt_f64_i32_e32 v[14:15], v5
	v_addc_co_u32_e32 v17, vcc, 0, v13, vcc
	global_store_dwordx2 v[16:17], v[14:15], off offset:1024
.LBB19_74:
	s_or_b64 exec, exec, s[0:1]
	v_or_b32_e32 v14, 0x300, v0
	v_cmp_gt_u32_e32 vcc, s24, v14
	s_and_saveexec_b64 s[0:1], vcc
	s_cbranch_execz .LBB19_76
; %bb.75:
	v_add_co_u32_e32 v16, vcc, 0x1000, v12
	s_waitcnt lgkmcnt(1)
	v_cvt_f64_i32_e32 v[14:15], v8
	v_addc_co_u32_e32 v17, vcc, 0, v13, vcc
	global_store_dwordx2 v[16:17], v[14:15], off offset:2048
.LBB19_76:
	;; [unrolled: 12-line block ×3, first 2 shown]
	s_or_b64 exec, exec, s[0:1]
	v_or_b32_e32 v14, 0x400, v0
	v_cmp_gt_u32_e32 vcc, s24, v14
	s_and_saveexec_b64 s[0:1], vcc
	s_cbranch_execz .LBB19_80
; %bb.79:
	v_add_co_u32_e32 v16, vcc, 0x2000, v12
	s_waitcnt lgkmcnt(0)
	v_cvt_f64_i32_e32 v[14:15], v10
	v_addc_co_u32_e32 v17, vcc, 0, v13, vcc
	global_store_dwordx2 v[16:17], v[14:15], off
.LBB19_80:
	s_or_b64 exec, exec, s[0:1]
	v_or_b32_e32 v14, 0x480, v0
	v_cmp_gt_u32_e32 vcc, s24, v14
	s_and_saveexec_b64 s[0:1], vcc
	s_cbranch_execz .LBB19_82
; %bb.81:
	v_add_co_u32_e32 v12, vcc, 0x2000, v12
	s_waitcnt lgkmcnt(0)
	v_cvt_f64_i32_e32 v[14:15], v11
	v_addc_co_u32_e32 v13, vcc, 0, v13, vcc
	global_store_dwordx2 v[12:13], v[14:15], off offset:1024
.LBB19_82:
	s_or_b64 exec, exec, s[0:1]
	s_load_dword s0, s[4:5], 0x48
	s_waitcnt lgkmcnt(0)
	s_bfe_u32 s0, s0, 0x10008
	s_cmp_eq_u32 s0, 0
	s_cbranch_scc1 .LBB19_117
; %bb.83:
	s_add_u32 s0, s24, -1
	s_addc_u32 s1, s25, -1
	s_add_u32 s2, 0, 0x99986000
	s_addc_u32 s3, 0, 0x59
	s_add_i32 s3, s3, 0x19999940
	s_mul_hi_u32 s7, s2, -10
	s_sub_i32 s7, s7, s2
	s_mul_i32 s8, s3, -10
	s_mul_i32 s4, s2, -10
	s_add_i32 s7, s7, s8
	s_mul_hi_u32 s5, s3, s4
	s_mul_i32 s6, s3, s4
	s_mul_i32 s9, s2, s7
	s_mul_hi_u32 s4, s2, s4
	s_mul_hi_u32 s8, s2, s7
	s_add_u32 s4, s4, s9
	s_addc_u32 s8, 0, s8
	s_add_u32 s4, s4, s6
	s_mul_hi_u32 s9, s3, s7
	s_addc_u32 s4, s8, s5
	s_addc_u32 s5, s9, 0
	s_mul_i32 s6, s3, s7
	s_add_u32 s4, s4, s6
	v_mov_b32_e32 v12, s4
	s_addc_u32 s5, 0, s5
	v_add_co_u32_e32 v12, vcc, s2, v12
	s_cmp_lg_u64 vcc, 0
	s_addc_u32 s2, s3, s5
	v_readfirstlane_b32 s5, v12
	s_mul_i32 s4, s0, s2
	s_mul_hi_u32 s6, s0, s5
	s_mul_hi_u32 s3, s0, s2
	s_add_u32 s4, s6, s4
	s_addc_u32 s3, 0, s3
	s_mul_hi_u32 s7, s1, s5
	s_mul_i32 s5, s1, s5
	s_add_u32 s4, s4, s5
	s_mul_hi_u32 s6, s1, s2
	s_addc_u32 s3, s3, s7
	s_addc_u32 s4, s6, 0
	s_mul_i32 s2, s1, s2
	s_add_u32 s2, s3, s2
	s_addc_u32 s3, 0, s4
	s_add_u32 s4, s2, 1
	s_addc_u32 s5, s3, 0
	s_add_u32 s6, s2, 2
	s_mul_i32 s8, s3, 10
	s_mul_hi_u32 s9, s2, 10
	s_addc_u32 s7, s3, 0
	s_add_i32 s9, s9, s8
	s_mul_i32 s8, s2, 10
	v_mov_b32_e32 v12, s8
	v_sub_co_u32_e32 v12, vcc, s0, v12
	s_cmp_lg_u64 vcc, 0
	s_subb_u32 s8, s1, s9
	v_subrev_co_u32_e32 v13, vcc, 10, v12
	s_cmp_lg_u64 vcc, 0
	s_subb_u32 s9, s8, 0
	v_readfirstlane_b32 s12, v13
	s_cmp_gt_u32 s12, 9
	s_cselect_b32 s12, -1, 0
	s_cmp_eq_u32 s9, 0
	s_cselect_b32 s9, s12, -1
	s_cmp_lg_u32 s9, 0
	s_cselect_b32 s4, s6, s4
	v_readfirstlane_b32 s6, v12
	s_cselect_b32 s5, s7, s5
	s_cmp_gt_u32 s6, 9
	s_cselect_b32 s6, -1, 0
	s_cmp_eq_u32 s8, 0
	s_cselect_b32 s6, s6, -1
	s_cmp_lg_u32 s6, 0
	s_cselect_b32 s3, s5, s3
	s_cselect_b32 s2, s4, s2
	v_cmp_eq_u64_e32 vcc, s[2:3], v[0:1]
	s_and_saveexec_b64 s[2:3], vcc
	s_cbranch_execz .LBB19_117
; %bb.84:
	v_mul_hi_u32_u24_e32 v1, 10, v0
	v_mov_b32_e32 v12, s1
	v_sub_co_u32_e32 v0, vcc, s0, v22
	v_subb_co_u32_e32 v1, vcc, v12, v1, vcc
	v_cmp_lt_i64_e32 vcc, 4, v[0:1]
	s_and_saveexec_b64 s[0:1], vcc
	s_xor_b64 s[0:1], exec, s[0:1]
	s_cbranch_execz .LBB19_102
; %bb.85:
	v_cmp_lt_i64_e32 vcc, 6, v[0:1]
	s_and_saveexec_b64 s[2:3], vcc
	s_xor_b64 s[2:3], exec, s[2:3]
	s_cbranch_execz .LBB19_95
; %bb.86:
	;; [unrolled: 5-line block ×4, first 2 shown]
	v_mov_b32_e32 v0, 0
	global_store_dword v0, v11, s[10:11]
                                        ; implicit-def: $vgpr10_vgpr11
.LBB19_89:
	s_andn2_saveexec_b64 s[6:7], s[6:7]
	s_cbranch_execz .LBB19_91
; %bb.90:
	v_mov_b32_e32 v0, 0
	global_store_dword v0, v10, s[10:11]
.LBB19_91:
	s_or_b64 exec, exec, s[6:7]
                                        ; implicit-def: $vgpr8_vgpr9
.LBB19_92:
	s_andn2_saveexec_b64 s[4:5], s[4:5]
	s_cbranch_execz .LBB19_94
; %bb.93:
	v_mov_b32_e32 v0, 0
	global_store_dword v0, v9, s[10:11]
.LBB19_94:
	s_or_b64 exec, exec, s[4:5]
                                        ; implicit-def: $vgpr4_vgpr5
                                        ; implicit-def: $vgpr0_vgpr1
                                        ; implicit-def: $vgpr8_vgpr9
.LBB19_95:
	s_andn2_saveexec_b64 s[2:3], s[2:3]
	s_cbranch_execz .LBB19_101
; %bb.96:
	v_cmp_lt_i64_e32 vcc, 5, v[0:1]
	s_and_saveexec_b64 s[4:5], vcc
	s_xor_b64 s[4:5], exec, s[4:5]
	s_cbranch_execz .LBB19_98
; %bb.97:
	v_mov_b32_e32 v0, 0
	global_store_dword v0, v8, s[10:11]
                                        ; implicit-def: $vgpr4_vgpr5
.LBB19_98:
	s_andn2_saveexec_b64 s[4:5], s[4:5]
	s_cbranch_execz .LBB19_100
; %bb.99:
	v_mov_b32_e32 v0, 0
	global_store_dword v0, v5, s[10:11]
.LBB19_100:
	s_or_b64 exec, exec, s[4:5]
.LBB19_101:
	s_or_b64 exec, exec, s[2:3]
                                        ; implicit-def: $vgpr0_vgpr1
                                        ; implicit-def: $vgpr6_vgpr7
                                        ; implicit-def: $vgpr2_vgpr3
                                        ; implicit-def: $vgpr4_vgpr5
.LBB19_102:
	s_andn2_saveexec_b64 s[0:1], s[0:1]
	s_cbranch_execz .LBB19_117
; %bb.103:
	v_cmp_lt_i64_e32 vcc, 2, v[0:1]
	s_and_saveexec_b64 s[0:1], vcc
	s_xor_b64 s[0:1], exec, s[0:1]
	s_cbranch_execz .LBB19_109
; %bb.104:
	v_cmp_lt_i64_e32 vcc, 3, v[0:1]
	s_and_saveexec_b64 s[2:3], vcc
	s_xor_b64 s[2:3], exec, s[2:3]
	s_cbranch_execz .LBB19_106
; %bb.105:
	v_mov_b32_e32 v0, 0
	global_store_dword v0, v4, s[10:11]
                                        ; implicit-def: $vgpr6_vgpr7
.LBB19_106:
	s_andn2_saveexec_b64 s[2:3], s[2:3]
	s_cbranch_execz .LBB19_108
; %bb.107:
	v_mov_b32_e32 v0, 0
	global_store_dword v0, v7, s[10:11]
.LBB19_108:
	s_or_b64 exec, exec, s[2:3]
                                        ; implicit-def: $vgpr0_vgpr1
                                        ; implicit-def: $vgpr6_vgpr7
                                        ; implicit-def: $vgpr2_vgpr3
.LBB19_109:
	s_andn2_saveexec_b64 s[0:1], s[0:1]
	s_cbranch_execz .LBB19_117
; %bb.110:
	v_cmp_lt_i64_e32 vcc, 1, v[0:1]
	s_and_saveexec_b64 s[0:1], vcc
	s_xor_b64 s[0:1], exec, s[0:1]
	s_cbranch_execz .LBB19_112
; %bb.111:
	v_mov_b32_e32 v0, 0
	global_store_dword v0, v6, s[10:11]
                                        ; implicit-def: $vgpr2_vgpr3
                                        ; implicit-def: $vgpr0_vgpr1
.LBB19_112:
	s_andn2_saveexec_b64 s[0:1], s[0:1]
	s_cbranch_execz .LBB19_117
; %bb.113:
	v_cmp_ne_u64_e32 vcc, 1, v[0:1]
	s_and_saveexec_b64 s[0:1], vcc
	s_xor_b64 s[0:1], exec, s[0:1]
	s_cbranch_execz .LBB19_115
; %bb.114:
	v_mov_b32_e32 v0, 0
	global_store_dword v0, v2, s[10:11]
                                        ; implicit-def: $vgpr2_vgpr3
.LBB19_115:
	s_andn2_saveexec_b64 s[0:1], s[0:1]
	s_cbranch_execz .LBB19_117
; %bb.116:
	v_mov_b32_e32 v0, 0
	global_store_dword v0, v3, s[10:11]
.LBB19_117:
	s_endpgm
	.section	.rodata,"a",@progbits
	.p2align	6, 0x0
	.amdhsa_kernel _ZN7rocprim6detail20lookback_scan_kernelILNS0_25lookback_scan_determinismE0ELb0ENS0_19wrapped_scan_configINS_14default_configEiEEN6hipcub22TransformInputIteratorIiNS6_6CastOpIiEEPilEEPdNS6_3SumEiiNS0_19lookback_scan_stateIiLb0ELb1EEEEEvT2_T3_mT5_T4_T7_jPT6_SM_bb
		.amdhsa_group_segment_fixed_size 5120
		.amdhsa_private_segment_fixed_size 0
		.amdhsa_kernarg_size 76
		.amdhsa_user_sgpr_count 6
		.amdhsa_user_sgpr_private_segment_buffer 1
		.amdhsa_user_sgpr_dispatch_ptr 0
		.amdhsa_user_sgpr_queue_ptr 0
		.amdhsa_user_sgpr_kernarg_segment_ptr 1
		.amdhsa_user_sgpr_dispatch_id 0
		.amdhsa_user_sgpr_flat_scratch_init 0
		.amdhsa_user_sgpr_kernarg_preload_length 0
		.amdhsa_user_sgpr_kernarg_preload_offset 0
		.amdhsa_user_sgpr_private_segment_size 0
		.amdhsa_uses_dynamic_stack 0
		.amdhsa_system_sgpr_private_segment_wavefront_offset 0
		.amdhsa_system_sgpr_workgroup_id_x 1
		.amdhsa_system_sgpr_workgroup_id_y 0
		.amdhsa_system_sgpr_workgroup_id_z 0
		.amdhsa_system_sgpr_workgroup_info 0
		.amdhsa_system_vgpr_workitem_id 0
		.amdhsa_next_free_vgpr 40
		.amdhsa_next_free_sgpr 26
		.amdhsa_accum_offset 40
		.amdhsa_reserve_vcc 1
		.amdhsa_reserve_flat_scratch 0
		.amdhsa_float_round_mode_32 0
		.amdhsa_float_round_mode_16_64 0
		.amdhsa_float_denorm_mode_32 3
		.amdhsa_float_denorm_mode_16_64 3
		.amdhsa_dx10_clamp 1
		.amdhsa_ieee_mode 1
		.amdhsa_fp16_overflow 0
		.amdhsa_tg_split 0
		.amdhsa_exception_fp_ieee_invalid_op 0
		.amdhsa_exception_fp_denorm_src 0
		.amdhsa_exception_fp_ieee_div_zero 0
		.amdhsa_exception_fp_ieee_overflow 0
		.amdhsa_exception_fp_ieee_underflow 0
		.amdhsa_exception_fp_ieee_inexact 0
		.amdhsa_exception_int_div_zero 0
	.end_amdhsa_kernel
	.section	.text._ZN7rocprim6detail20lookback_scan_kernelILNS0_25lookback_scan_determinismE0ELb0ENS0_19wrapped_scan_configINS_14default_configEiEEN6hipcub22TransformInputIteratorIiNS6_6CastOpIiEEPilEEPdNS6_3SumEiiNS0_19lookback_scan_stateIiLb0ELb1EEEEEvT2_T3_mT5_T4_T7_jPT6_SM_bb,"axG",@progbits,_ZN7rocprim6detail20lookback_scan_kernelILNS0_25lookback_scan_determinismE0ELb0ENS0_19wrapped_scan_configINS_14default_configEiEEN6hipcub22TransformInputIteratorIiNS6_6CastOpIiEEPilEEPdNS6_3SumEiiNS0_19lookback_scan_stateIiLb0ELb1EEEEEvT2_T3_mT5_T4_T7_jPT6_SM_bb,comdat
.Lfunc_end19:
	.size	_ZN7rocprim6detail20lookback_scan_kernelILNS0_25lookback_scan_determinismE0ELb0ENS0_19wrapped_scan_configINS_14default_configEiEEN6hipcub22TransformInputIteratorIiNS6_6CastOpIiEEPilEEPdNS6_3SumEiiNS0_19lookback_scan_stateIiLb0ELb1EEEEEvT2_T3_mT5_T4_T7_jPT6_SM_bb, .Lfunc_end19-_ZN7rocprim6detail20lookback_scan_kernelILNS0_25lookback_scan_determinismE0ELb0ENS0_19wrapped_scan_configINS_14default_configEiEEN6hipcub22TransformInputIteratorIiNS6_6CastOpIiEEPilEEPdNS6_3SumEiiNS0_19lookback_scan_stateIiLb0ELb1EEEEEvT2_T3_mT5_T4_T7_jPT6_SM_bb
                                        ; -- End function
	.section	.AMDGPU.csdata,"",@progbits
; Kernel info:
; codeLenInByte = 4524
; NumSgprs: 30
; NumVgprs: 40
; NumAgprs: 0
; TotalNumVgprs: 40
; ScratchSize: 0
; MemoryBound: 0
; FloatMode: 240
; IeeeMode: 1
; LDSByteSize: 5120 bytes/workgroup (compile time only)
; SGPRBlocks: 3
; VGPRBlocks: 4
; NumSGPRsForWavesPerEU: 30
; NumVGPRsForWavesPerEU: 40
; AccumOffset: 40
; Occupancy: 6
; WaveLimiterHint : 1
; COMPUTE_PGM_RSRC2:SCRATCH_EN: 0
; COMPUTE_PGM_RSRC2:USER_SGPR: 6
; COMPUTE_PGM_RSRC2:TRAP_HANDLER: 0
; COMPUTE_PGM_RSRC2:TGID_X_EN: 1
; COMPUTE_PGM_RSRC2:TGID_Y_EN: 0
; COMPUTE_PGM_RSRC2:TGID_Z_EN: 0
; COMPUTE_PGM_RSRC2:TIDIG_COMP_CNT: 0
; COMPUTE_PGM_RSRC3_GFX90A:ACCUM_OFFSET: 9
; COMPUTE_PGM_RSRC3_GFX90A:TG_SPLIT: 0
	.section	.text._ZN7rocprim6detail18single_scan_kernelILb0ENS0_19wrapped_scan_configINS_14default_configEiEEN6hipcub22TransformInputIteratorIiNS5_6CastOpIiEEPilEEPdNS5_3SumEiiEEvT1_mT4_T2_T3_,"axG",@progbits,_ZN7rocprim6detail18single_scan_kernelILb0ENS0_19wrapped_scan_configINS_14default_configEiEEN6hipcub22TransformInputIteratorIiNS5_6CastOpIiEEPilEEPdNS5_3SumEiiEEvT1_mT4_T2_T3_,comdat
	.protected	_ZN7rocprim6detail18single_scan_kernelILb0ENS0_19wrapped_scan_configINS_14default_configEiEEN6hipcub22TransformInputIteratorIiNS5_6CastOpIiEEPilEEPdNS5_3SumEiiEEvT1_mT4_T2_T3_ ; -- Begin function _ZN7rocprim6detail18single_scan_kernelILb0ENS0_19wrapped_scan_configINS_14default_configEiEEN6hipcub22TransformInputIteratorIiNS5_6CastOpIiEEPilEEPdNS5_3SumEiiEEvT1_mT4_T2_T3_
	.globl	_ZN7rocprim6detail18single_scan_kernelILb0ENS0_19wrapped_scan_configINS_14default_configEiEEN6hipcub22TransformInputIteratorIiNS5_6CastOpIiEEPilEEPdNS5_3SumEiiEEvT1_mT4_T2_T3_
	.p2align	8
	.type	_ZN7rocprim6detail18single_scan_kernelILb0ENS0_19wrapped_scan_configINS_14default_configEiEEN6hipcub22TransformInputIteratorIiNS5_6CastOpIiEEPilEEPdNS5_3SumEiiEEvT1_mT4_T2_T3_,@function
_ZN7rocprim6detail18single_scan_kernelILb0ENS0_19wrapped_scan_configINS_14default_configEiEEN6hipcub22TransformInputIteratorIiNS5_6CastOpIiEEPilEEPdNS5_3SumEiiEEvT1_mT4_T2_T3_: ; @_ZN7rocprim6detail18single_scan_kernelILb0ENS0_19wrapped_scan_configINS_14default_configEiEEN6hipcub22TransformInputIteratorIiNS5_6CastOpIiEEPilEEPdNS5_3SumEiiEEvT1_mT4_T2_T3_
; %bb.0:
	s_load_dwordx2 s[0:1], s[4:5], 0x0
	s_load_dword s22, s[4:5], 0x10
	v_lshlrev_b32_e32 v14, 2, v0
	s_waitcnt lgkmcnt(0)
	s_load_dword s8, s[0:1], 0x0
	v_mov_b32_e32 v1, s1
	v_add_co_u32_e32 v12, vcc, s0, v14
	v_addc_co_u32_e32 v13, vcc, 0, v1, vcc
	s_waitcnt lgkmcnt(0)
	s_mov_b32 s9, s8
	s_mov_b32 s10, s8
	;; [unrolled: 1-line block ×9, first 2 shown]
	v_pk_mov_b32 v[2:3], s[8:9], s[8:9] op_sel:[0,1]
	v_cmp_gt_u32_e64 s[0:1], s22, v0
	v_pk_mov_b32 v[4:5], s[10:11], s[10:11] op_sel:[0,1]
	v_pk_mov_b32 v[6:7], s[12:13], s[12:13] op_sel:[0,1]
	;; [unrolled: 1-line block ×4, first 2 shown]
	v_mov_b32_e32 v1, s8
	s_and_saveexec_b64 s[2:3], s[0:1]
	s_cbranch_execz .LBB20_2
; %bb.1:
	global_load_dword v1, v[12:13], off
	v_pk_mov_b32 v[2:3], s[8:9], s[8:9] op_sel:[0,1]
	v_pk_mov_b32 v[4:5], s[10:11], s[10:11] op_sel:[0,1]
	;; [unrolled: 1-line block ×5, first 2 shown]
                                        ; kill: def $vgpr2 killed $vgpr1 killed $exec
.LBB20_2:
	s_or_b64 exec, exec, s[2:3]
	v_or_b32_e32 v2, 0x80, v0
	v_cmp_gt_u32_e64 s[2:3], s22, v2
	s_and_saveexec_b64 s[6:7], s[2:3]
	s_cbranch_execz .LBB20_4
; %bb.3:
	global_load_dword v3, v[12:13], off offset:512
.LBB20_4:
	s_or_b64 exec, exec, s[6:7]
	v_or_b32_e32 v2, 0x100, v0
	v_cmp_gt_u32_e64 s[6:7], s22, v2
	s_and_saveexec_b64 s[8:9], s[6:7]
	s_cbranch_execz .LBB20_6
; %bb.5:
	global_load_dword v4, v[12:13], off offset:1024
.LBB20_6:
	;; [unrolled: 8-line block ×7, first 2 shown]
	s_or_b64 exec, exec, s[18:19]
	v_or_b32_e32 v2, 0x400, v0
	v_cmp_gt_u32_e64 s[18:19], s22, v2
	s_and_saveexec_b64 s[20:21], s[18:19]
	s_cbranch_execz .LBB20_18
; %bb.17:
	v_add_co_u32_e32 v16, vcc, 0x1000, v12
	v_addc_co_u32_e32 v17, vcc, 0, v13, vcc
	global_load_dword v10, v[16:17], off
.LBB20_18:
	s_or_b64 exec, exec, s[20:21]
	v_or_b32_e32 v2, 0x480, v0
	v_cmp_gt_u32_e64 s[20:21], s22, v2
	s_and_saveexec_b64 s[22:23], s[20:21]
	s_cbranch_execz .LBB20_20
; %bb.19:
	v_add_co_u32_e32 v12, vcc, 0x1000, v12
	v_addc_co_u32_e32 v13, vcc, 0, v13, vcc
	global_load_dword v11, v[12:13], off offset:512
.LBB20_20:
	s_or_b64 exec, exec, s[22:23]
	s_waitcnt vmcnt(0)
	ds_write2st64_b32 v14, v1, v3 offset1:2
	ds_write2st64_b32 v14, v4, v5 offset0:4 offset1:6
	ds_write2st64_b32 v14, v6, v7 offset0:8 offset1:10
	;; [unrolled: 1-line block ×4, first 2 shown]
	v_mad_u32_u24 v1, v0, 36, v14
	s_waitcnt lgkmcnt(0)
	s_barrier
	ds_read2_b64 v[6:9], v1 offset1:1
	ds_read2_b64 v[2:5], v1 offset0:2 offset1:3
	ds_read_b64 v[10:11], v1 offset:32
	v_lshrrev_b32_e32 v12, 3, v0
	v_and_b32_e32 v12, 12, v12
	s_waitcnt lgkmcnt(2)
	v_add_u32_e32 v1, v7, v6
	v_add3_u32 v1, v1, v8, v9
	s_waitcnt lgkmcnt(1)
	v_add3_u32 v1, v1, v2, v3
	v_add3_u32 v1, v1, v4, v5
	s_waitcnt lgkmcnt(0)
	v_add3_u32 v1, v1, v10, v11
	v_add_u32_e32 v12, v14, v12
	v_cmp_gt_u32_e32 vcc, 64, v0
	s_barrier
	ds_write_b32 v12, v1
	s_waitcnt lgkmcnt(0)
	s_barrier
	s_and_saveexec_b64 s[22:23], vcc
	s_cbranch_execz .LBB20_22
; %bb.21:
	v_lshlrev_b32_e32 v12, 1, v0
	v_lshrrev_b32_e32 v13, 4, v0
	v_add_lshl_u32 v15, v13, v12, 2
	ds_read2_b32 v[12:13], v15 offset1:1
	v_mbcnt_lo_u32_b32 v16, -1, 0
	v_mbcnt_hi_u32_b32 v16, -1, v16
	v_and_b32_e32 v17, 15, v16
	v_cmp_ne_u32_e32 vcc, 0, v17
	s_waitcnt lgkmcnt(0)
	v_add_u32_e32 v18, v13, v12
	s_nop 1
	v_mov_b32_dpp v19, v18 row_shr:1 row_mask:0xf bank_mask:0xf
	v_cndmask_b32_e32 v19, 0, v19, vcc
	v_add_u32_e32 v18, v19, v18
	v_cmp_lt_u32_e32 vcc, 1, v17
	s_nop 0
	v_mov_b32_dpp v19, v18 row_shr:2 row_mask:0xf bank_mask:0xf
	v_cndmask_b32_e32 v19, 0, v19, vcc
	v_add_u32_e32 v18, v18, v19
	v_cmp_lt_u32_e32 vcc, 3, v17
	;; [unrolled: 5-line block ×3, first 2 shown]
	s_nop 0
	v_mov_b32_dpp v19, v18 row_shr:8 row_mask:0xf bank_mask:0xf
	v_cndmask_b32_e32 v17, 0, v19, vcc
	v_add_u32_e32 v17, v18, v17
	v_bfe_i32 v19, v16, 4, 1
	v_cmp_lt_u32_e32 vcc, 31, v16
	v_mov_b32_dpp v18, v17 row_bcast:15 row_mask:0xf bank_mask:0xf
	v_and_b32_e32 v18, v19, v18
	v_add_u32_e32 v17, v17, v18
	v_and_b32_e32 v19, 64, v16
	s_nop 0
	v_mov_b32_dpp v18, v17 row_bcast:31 row_mask:0xf bank_mask:0xf
	v_cndmask_b32_e32 v18, 0, v18, vcc
	v_add_u32_e32 v17, v17, v18
	v_add_u32_e32 v18, -1, v16
	v_cmp_lt_i32_e32 vcc, v18, v19
	v_cndmask_b32_e32 v16, v18, v16, vcc
	v_lshlrev_b32_e32 v16, 2, v16
	ds_bpermute_b32 v16, v16, v17
	v_cmp_eq_u32_e32 vcc, 0, v0
	s_waitcnt lgkmcnt(0)
	v_add_u32_e32 v12, v16, v12
	v_cndmask_b32_e32 v1, v12, v1, vcc
	v_add_u32_e32 v12, v1, v13
	ds_write2_b32 v15, v1, v12 offset1:1
.LBB20_22:
	s_or_b64 exec, exec, s[22:23]
	v_mul_u32_u24_e32 v1, 36, v0
	v_cmp_ne_u32_e32 vcc, 0, v0
	v_mov_b32_e32 v12, 0
	s_waitcnt lgkmcnt(0)
	s_barrier
	s_and_saveexec_b64 s[22:23], vcc
	s_cbranch_execz .LBB20_24
; %bb.23:
	v_add_u32_e32 v12, -1, v0
	v_lshrrev_b32_e32 v13, 5, v12
	v_add_lshl_u32 v12, v13, v12, 2
	ds_read_b32 v12, v12
.LBB20_24:
	s_or_b64 exec, exec, s[22:23]
	s_waitcnt lgkmcnt(0)
	v_add_u32_e32 v6, v12, v6
	v_add_u32_e32 v7, v6, v7
	;; [unrolled: 1-line block ×11, first 2 shown]
	s_barrier
	ds_write2_b64 v1, v[6:7], v[8:9] offset1:1
	ds_write2_b64 v1, v[2:3], v[4:5] offset0:2 offset1:3
	ds_write_b64 v1, v[10:11] offset:32
	s_waitcnt lgkmcnt(0)
	s_barrier
	ds_read2st64_b32 v[8:9], v14 offset0:2 offset1:4
	ds_read2st64_b32 v[6:7], v14 offset0:6 offset1:8
	ds_read2st64_b32 v[4:5], v14 offset0:10 offset1:12
	ds_read2st64_b32 v[2:3], v14 offset0:14 offset1:16
	ds_read_b32 v10, v14 offset:4608
	s_load_dwordx2 s[4:5], s[4:5], 0x20
	v_lshlrev_b32_e32 v0, 3, v0
	s_waitcnt lgkmcnt(0)
	v_mov_b32_e32 v1, s5
	v_add_co_u32_e32 v0, vcc, s4, v0
	v_addc_co_u32_e32 v1, vcc, 0, v1, vcc
	s_and_saveexec_b64 s[4:5], s[0:1]
	s_cbranch_execnz .LBB20_35
; %bb.25:
	s_or_b64 exec, exec, s[4:5]
	s_and_saveexec_b64 s[0:1], s[2:3]
	s_cbranch_execnz .LBB20_36
.LBB20_26:
	s_or_b64 exec, exec, s[0:1]
	s_and_saveexec_b64 s[0:1], s[6:7]
	s_cbranch_execnz .LBB20_37
.LBB20_27:
	s_or_b64 exec, exec, s[0:1]
	s_and_saveexec_b64 s[0:1], s[8:9]
	s_cbranch_execnz .LBB20_38
.LBB20_28:
	s_or_b64 exec, exec, s[0:1]
	s_and_saveexec_b64 s[0:1], s[10:11]
	s_cbranch_execnz .LBB20_39
.LBB20_29:
	s_or_b64 exec, exec, s[0:1]
	s_and_saveexec_b64 s[0:1], s[12:13]
	s_cbranch_execnz .LBB20_40
.LBB20_30:
	s_or_b64 exec, exec, s[0:1]
	s_and_saveexec_b64 s[0:1], s[14:15]
	s_cbranch_execnz .LBB20_41
.LBB20_31:
	s_or_b64 exec, exec, s[0:1]
	s_and_saveexec_b64 s[0:1], s[16:17]
	s_cbranch_execnz .LBB20_42
.LBB20_32:
	s_or_b64 exec, exec, s[0:1]
	s_and_saveexec_b64 s[0:1], s[18:19]
	s_cbranch_execnz .LBB20_43
.LBB20_33:
	s_or_b64 exec, exec, s[0:1]
	s_and_saveexec_b64 s[0:1], s[20:21]
	s_cbranch_execnz .LBB20_44
.LBB20_34:
	s_endpgm
.LBB20_35:
	ds_read_b32 v11, v14
	s_waitcnt lgkmcnt(0)
	v_cvt_f64_i32_e32 v[12:13], v11
	global_store_dwordx2 v[0:1], v[12:13], off
	s_or_b64 exec, exec, s[4:5]
	s_and_saveexec_b64 s[0:1], s[2:3]
	s_cbranch_execz .LBB20_26
.LBB20_36:
	v_cvt_f64_i32_e32 v[12:13], v8
	global_store_dwordx2 v[0:1], v[12:13], off offset:1024
	s_or_b64 exec, exec, s[0:1]
	s_and_saveexec_b64 s[0:1], s[6:7]
	s_cbranch_execz .LBB20_27
.LBB20_37:
	v_cvt_f64_i32_e32 v[8:9], v9
	global_store_dwordx2 v[0:1], v[8:9], off offset:2048
	s_or_b64 exec, exec, s[0:1]
	s_and_saveexec_b64 s[0:1], s[8:9]
	s_cbranch_execz .LBB20_28
.LBB20_38:
	v_cvt_f64_i32_e32 v[8:9], v6
	global_store_dwordx2 v[0:1], v[8:9], off offset:3072
	s_or_b64 exec, exec, s[0:1]
	s_and_saveexec_b64 s[0:1], s[10:11]
	s_cbranch_execz .LBB20_29
.LBB20_39:
	v_add_co_u32_e32 v8, vcc, 0x1000, v0
	v_cvt_f64_i32_e32 v[6:7], v7
	v_addc_co_u32_e32 v9, vcc, 0, v1, vcc
	global_store_dwordx2 v[8:9], v[6:7], off
	s_or_b64 exec, exec, s[0:1]
	s_and_saveexec_b64 s[0:1], s[12:13]
	s_cbranch_execz .LBB20_30
.LBB20_40:
	v_add_co_u32_e32 v8, vcc, 0x1000, v0
	v_cvt_f64_i32_e32 v[6:7], v4
	v_addc_co_u32_e32 v9, vcc, 0, v1, vcc
	global_store_dwordx2 v[8:9], v[6:7], off offset:1024
	s_or_b64 exec, exec, s[0:1]
	s_and_saveexec_b64 s[0:1], s[14:15]
	s_cbranch_execz .LBB20_31
.LBB20_41:
	v_add_co_u32_e32 v6, vcc, 0x1000, v0
	v_cvt_f64_i32_e32 v[4:5], v5
	v_addc_co_u32_e32 v7, vcc, 0, v1, vcc
	global_store_dwordx2 v[6:7], v[4:5], off offset:2048
	s_or_b64 exec, exec, s[0:1]
	s_and_saveexec_b64 s[0:1], s[16:17]
	s_cbranch_execz .LBB20_32
.LBB20_42:
	v_add_co_u32_e32 v6, vcc, 0x1000, v0
	v_cvt_f64_i32_e32 v[4:5], v2
	v_addc_co_u32_e32 v7, vcc, 0, v1, vcc
	global_store_dwordx2 v[6:7], v[4:5], off offset:3072
	s_or_b64 exec, exec, s[0:1]
	s_and_saveexec_b64 s[0:1], s[18:19]
	s_cbranch_execz .LBB20_33
.LBB20_43:
	v_add_co_u32_e32 v4, vcc, 0x2000, v0
	v_cvt_f64_i32_e32 v[2:3], v3
	v_addc_co_u32_e32 v5, vcc, 0, v1, vcc
	global_store_dwordx2 v[4:5], v[2:3], off
	s_or_b64 exec, exec, s[0:1]
	s_and_saveexec_b64 s[0:1], s[20:21]
	s_cbranch_execz .LBB20_34
.LBB20_44:
	v_add_co_u32_e32 v0, vcc, 0x2000, v0
	v_cvt_f64_i32_e32 v[2:3], v10
	v_addc_co_u32_e32 v1, vcc, 0, v1, vcc
	global_store_dwordx2 v[0:1], v[2:3], off offset:1024
	s_endpgm
	.section	.rodata,"a",@progbits
	.p2align	6, 0x0
	.amdhsa_kernel _ZN7rocprim6detail18single_scan_kernelILb0ENS0_19wrapped_scan_configINS_14default_configEiEEN6hipcub22TransformInputIteratorIiNS5_6CastOpIiEEPilEEPdNS5_3SumEiiEEvT1_mT4_T2_T3_
		.amdhsa_group_segment_fixed_size 5120
		.amdhsa_private_segment_fixed_size 0
		.amdhsa_kernarg_size 44
		.amdhsa_user_sgpr_count 6
		.amdhsa_user_sgpr_private_segment_buffer 1
		.amdhsa_user_sgpr_dispatch_ptr 0
		.amdhsa_user_sgpr_queue_ptr 0
		.amdhsa_user_sgpr_kernarg_segment_ptr 1
		.amdhsa_user_sgpr_dispatch_id 0
		.amdhsa_user_sgpr_flat_scratch_init 0
		.amdhsa_user_sgpr_kernarg_preload_length 0
		.amdhsa_user_sgpr_kernarg_preload_offset 0
		.amdhsa_user_sgpr_private_segment_size 0
		.amdhsa_uses_dynamic_stack 0
		.amdhsa_system_sgpr_private_segment_wavefront_offset 0
		.amdhsa_system_sgpr_workgroup_id_x 1
		.amdhsa_system_sgpr_workgroup_id_y 0
		.amdhsa_system_sgpr_workgroup_id_z 0
		.amdhsa_system_sgpr_workgroup_info 0
		.amdhsa_system_vgpr_workitem_id 0
		.amdhsa_next_free_vgpr 20
		.amdhsa_next_free_sgpr 24
		.amdhsa_accum_offset 20
		.amdhsa_reserve_vcc 1
		.amdhsa_reserve_flat_scratch 0
		.amdhsa_float_round_mode_32 0
		.amdhsa_float_round_mode_16_64 0
		.amdhsa_float_denorm_mode_32 3
		.amdhsa_float_denorm_mode_16_64 3
		.amdhsa_dx10_clamp 1
		.amdhsa_ieee_mode 1
		.amdhsa_fp16_overflow 0
		.amdhsa_tg_split 0
		.amdhsa_exception_fp_ieee_invalid_op 0
		.amdhsa_exception_fp_denorm_src 0
		.amdhsa_exception_fp_ieee_div_zero 0
		.amdhsa_exception_fp_ieee_overflow 0
		.amdhsa_exception_fp_ieee_underflow 0
		.amdhsa_exception_fp_ieee_inexact 0
		.amdhsa_exception_int_div_zero 0
	.end_amdhsa_kernel
	.section	.text._ZN7rocprim6detail18single_scan_kernelILb0ENS0_19wrapped_scan_configINS_14default_configEiEEN6hipcub22TransformInputIteratorIiNS5_6CastOpIiEEPilEEPdNS5_3SumEiiEEvT1_mT4_T2_T3_,"axG",@progbits,_ZN7rocprim6detail18single_scan_kernelILb0ENS0_19wrapped_scan_configINS_14default_configEiEEN6hipcub22TransformInputIteratorIiNS5_6CastOpIiEEPilEEPdNS5_3SumEiiEEvT1_mT4_T2_T3_,comdat
.Lfunc_end20:
	.size	_ZN7rocprim6detail18single_scan_kernelILb0ENS0_19wrapped_scan_configINS_14default_configEiEEN6hipcub22TransformInputIteratorIiNS5_6CastOpIiEEPilEEPdNS5_3SumEiiEEvT1_mT4_T2_T3_, .Lfunc_end20-_ZN7rocprim6detail18single_scan_kernelILb0ENS0_19wrapped_scan_configINS_14default_configEiEEN6hipcub22TransformInputIteratorIiNS5_6CastOpIiEEPilEEPdNS5_3SumEiiEEvT1_mT4_T2_T3_
                                        ; -- End function
	.section	.AMDGPU.csdata,"",@progbits
; Kernel info:
; codeLenInByte = 1620
; NumSgprs: 28
; NumVgprs: 20
; NumAgprs: 0
; TotalNumVgprs: 20
; ScratchSize: 0
; MemoryBound: 0
; FloatMode: 240
; IeeeMode: 1
; LDSByteSize: 5120 bytes/workgroup (compile time only)
; SGPRBlocks: 3
; VGPRBlocks: 2
; NumSGPRsForWavesPerEU: 28
; NumVGPRsForWavesPerEU: 20
; AccumOffset: 20
; Occupancy: 6
; WaveLimiterHint : 0
; COMPUTE_PGM_RSRC2:SCRATCH_EN: 0
; COMPUTE_PGM_RSRC2:USER_SGPR: 6
; COMPUTE_PGM_RSRC2:TRAP_HANDLER: 0
; COMPUTE_PGM_RSRC2:TGID_X_EN: 1
; COMPUTE_PGM_RSRC2:TGID_Y_EN: 0
; COMPUTE_PGM_RSRC2:TGID_Z_EN: 0
; COMPUTE_PGM_RSRC2:TIDIG_COMP_CNT: 0
; COMPUTE_PGM_RSRC3_GFX90A:ACCUM_OFFSET: 4
; COMPUTE_PGM_RSRC3_GFX90A:TG_SPLIT: 0
	.section	.text._ZN7rocprim6detail31init_lookback_scan_state_kernelINS0_19lookback_scan_stateIsLb1ELb1EEEEEvT_jjPNS4_10value_typeE,"axG",@progbits,_ZN7rocprim6detail31init_lookback_scan_state_kernelINS0_19lookback_scan_stateIsLb1ELb1EEEEEvT_jjPNS4_10value_typeE,comdat
	.protected	_ZN7rocprim6detail31init_lookback_scan_state_kernelINS0_19lookback_scan_stateIsLb1ELb1EEEEEvT_jjPNS4_10value_typeE ; -- Begin function _ZN7rocprim6detail31init_lookback_scan_state_kernelINS0_19lookback_scan_stateIsLb1ELb1EEEEEvT_jjPNS4_10value_typeE
	.globl	_ZN7rocprim6detail31init_lookback_scan_state_kernelINS0_19lookback_scan_stateIsLb1ELb1EEEEEvT_jjPNS4_10value_typeE
	.p2align	8
	.type	_ZN7rocprim6detail31init_lookback_scan_state_kernelINS0_19lookback_scan_stateIsLb1ELb1EEEEEvT_jjPNS4_10value_typeE,@function
_ZN7rocprim6detail31init_lookback_scan_state_kernelINS0_19lookback_scan_stateIsLb1ELb1EEEEEvT_jjPNS4_10value_typeE: ; @_ZN7rocprim6detail31init_lookback_scan_state_kernelINS0_19lookback_scan_stateIsLb1ELb1EEEEEvT_jjPNS4_10value_typeE
; %bb.0:
	s_load_dword s7, s[4:5], 0x24
	s_load_dwordx2 s[8:9], s[4:5], 0x10
	s_load_dwordx4 s[0:3], s[4:5], 0x0
	s_waitcnt lgkmcnt(0)
	s_and_b32 s4, s7, 0xffff
	s_mul_i32 s6, s6, s4
	s_cmp_eq_u64 s[8:9], 0
	v_add_u32_e32 v0, s6, v0
	s_cbranch_scc1 .LBB21_9
; %bb.1:
	s_cmp_lt_u32 s3, s2
	s_cselect_b32 s4, s3, 0
	s_mov_b32 s7, 0
	v_cmp_eq_u32_e32 vcc, s4, v0
	s_and_saveexec_b64 s[4:5], vcc
	s_cbranch_execz .LBB21_8
; %bb.2:
	s_add_i32 s6, s3, 64
	s_lshl_b64 s[6:7], s[6:7], 2
	s_add_u32 s6, s0, s6
	s_addc_u32 s7, s1, s7
	v_mov_b32_e32 v1, 0
	global_load_dword v2, v1, s[6:7] glc
	s_waitcnt vmcnt(0)
	v_and_b32_e32 v3, 0xff0000, v2
	v_cmp_ne_u32_e32 vcc, 0, v3
	s_cbranch_vccnz .LBB21_7
; %bb.3:
	s_mov_b32 s3, 1
.LBB21_4:                               ; =>This Loop Header: Depth=1
                                        ;     Child Loop BB21_5 Depth 2
	s_max_u32 s10, s3, 1
.LBB21_5:                               ;   Parent Loop BB21_4 Depth=1
                                        ; =>  This Inner Loop Header: Depth=2
	s_add_i32 s10, s10, -1
	s_cmp_eq_u32 s10, 0
	s_sleep 1
	s_cbranch_scc0 .LBB21_5
; %bb.6:                                ;   in Loop: Header=BB21_4 Depth=1
	global_load_dword v2, v1, s[6:7] glc
	s_cmp_lt_u32 s3, 32
	s_cselect_b64 s[10:11], -1, 0
	s_cmp_lg_u64 s[10:11], 0
	s_addc_u32 s3, s3, 0
	s_waitcnt vmcnt(0)
	v_and_b32_e32 v3, 0xff0000, v2
	v_cmp_ne_u32_e32 vcc, 0, v3
	s_cbranch_vccz .LBB21_4
.LBB21_7:
	v_mov_b32_e32 v1, 0
	global_store_short v1, v2, s[8:9]
.LBB21_8:
	s_or_b64 exec, exec, s[4:5]
.LBB21_9:
	v_cmp_gt_u32_e32 vcc, s2, v0
	s_and_saveexec_b64 s[2:3], vcc
	s_cbranch_execnz .LBB21_12
; %bb.10:
	s_or_b64 exec, exec, s[2:3]
	v_cmp_gt_u32_e32 vcc, 64, v0
	s_and_saveexec_b64 s[2:3], vcc
	s_cbranch_execnz .LBB21_13
.LBB21_11:
	s_endpgm
.LBB21_12:
	v_add_u32_e32 v2, 64, v0
	v_mov_b32_e32 v3, 0
	v_lshlrev_b64 v[4:5], 2, v[2:3]
	v_mov_b32_e32 v1, s1
	v_add_co_u32_e32 v4, vcc, s0, v4
	v_addc_co_u32_e32 v5, vcc, v1, v5, vcc
	global_store_dword v[4:5], v3, off
	s_or_b64 exec, exec, s[2:3]
	v_cmp_gt_u32_e32 vcc, 64, v0
	s_and_saveexec_b64 s[2:3], vcc
	s_cbranch_execz .LBB21_11
.LBB21_13:
	v_mov_b32_e32 v1, 0
	v_lshlrev_b64 v[0:1], 2, v[0:1]
	v_mov_b32_e32 v2, s1
	v_add_co_u32_e32 v0, vcc, s0, v0
	v_addc_co_u32_e32 v1, vcc, v2, v1, vcc
	v_mov_b32_e32 v2, 0xff0000
	global_store_dword v[0:1], v2, off
	s_endpgm
	.section	.rodata,"a",@progbits
	.p2align	6, 0x0
	.amdhsa_kernel _ZN7rocprim6detail31init_lookback_scan_state_kernelINS0_19lookback_scan_stateIsLb1ELb1EEEEEvT_jjPNS4_10value_typeE
		.amdhsa_group_segment_fixed_size 0
		.amdhsa_private_segment_fixed_size 0
		.amdhsa_kernarg_size 280
		.amdhsa_user_sgpr_count 6
		.amdhsa_user_sgpr_private_segment_buffer 1
		.amdhsa_user_sgpr_dispatch_ptr 0
		.amdhsa_user_sgpr_queue_ptr 0
		.amdhsa_user_sgpr_kernarg_segment_ptr 1
		.amdhsa_user_sgpr_dispatch_id 0
		.amdhsa_user_sgpr_flat_scratch_init 0
		.amdhsa_user_sgpr_kernarg_preload_length 0
		.amdhsa_user_sgpr_kernarg_preload_offset 0
		.amdhsa_user_sgpr_private_segment_size 0
		.amdhsa_uses_dynamic_stack 0
		.amdhsa_system_sgpr_private_segment_wavefront_offset 0
		.amdhsa_system_sgpr_workgroup_id_x 1
		.amdhsa_system_sgpr_workgroup_id_y 0
		.amdhsa_system_sgpr_workgroup_id_z 0
		.amdhsa_system_sgpr_workgroup_info 0
		.amdhsa_system_vgpr_workitem_id 0
		.amdhsa_next_free_vgpr 6
		.amdhsa_next_free_sgpr 12
		.amdhsa_accum_offset 8
		.amdhsa_reserve_vcc 1
		.amdhsa_reserve_flat_scratch 0
		.amdhsa_float_round_mode_32 0
		.amdhsa_float_round_mode_16_64 0
		.amdhsa_float_denorm_mode_32 3
		.amdhsa_float_denorm_mode_16_64 3
		.amdhsa_dx10_clamp 1
		.amdhsa_ieee_mode 1
		.amdhsa_fp16_overflow 0
		.amdhsa_tg_split 0
		.amdhsa_exception_fp_ieee_invalid_op 0
		.amdhsa_exception_fp_denorm_src 0
		.amdhsa_exception_fp_ieee_div_zero 0
		.amdhsa_exception_fp_ieee_overflow 0
		.amdhsa_exception_fp_ieee_underflow 0
		.amdhsa_exception_fp_ieee_inexact 0
		.amdhsa_exception_int_div_zero 0
	.end_amdhsa_kernel
	.section	.text._ZN7rocprim6detail31init_lookback_scan_state_kernelINS0_19lookback_scan_stateIsLb1ELb1EEEEEvT_jjPNS4_10value_typeE,"axG",@progbits,_ZN7rocprim6detail31init_lookback_scan_state_kernelINS0_19lookback_scan_stateIsLb1ELb1EEEEEvT_jjPNS4_10value_typeE,comdat
.Lfunc_end21:
	.size	_ZN7rocprim6detail31init_lookback_scan_state_kernelINS0_19lookback_scan_stateIsLb1ELb1EEEEEvT_jjPNS4_10value_typeE, .Lfunc_end21-_ZN7rocprim6detail31init_lookback_scan_state_kernelINS0_19lookback_scan_stateIsLb1ELb1EEEEEvT_jjPNS4_10value_typeE
                                        ; -- End function
	.section	.AMDGPU.csdata,"",@progbits
; Kernel info:
; codeLenInByte = 336
; NumSgprs: 16
; NumVgprs: 6
; NumAgprs: 0
; TotalNumVgprs: 6
; ScratchSize: 0
; MemoryBound: 0
; FloatMode: 240
; IeeeMode: 1
; LDSByteSize: 0 bytes/workgroup (compile time only)
; SGPRBlocks: 1
; VGPRBlocks: 0
; NumSGPRsForWavesPerEU: 16
; NumVGPRsForWavesPerEU: 6
; AccumOffset: 8
; Occupancy: 8
; WaveLimiterHint : 0
; COMPUTE_PGM_RSRC2:SCRATCH_EN: 0
; COMPUTE_PGM_RSRC2:USER_SGPR: 6
; COMPUTE_PGM_RSRC2:TRAP_HANDLER: 0
; COMPUTE_PGM_RSRC2:TGID_X_EN: 1
; COMPUTE_PGM_RSRC2:TGID_Y_EN: 0
; COMPUTE_PGM_RSRC2:TGID_Z_EN: 0
; COMPUTE_PGM_RSRC2:TIDIG_COMP_CNT: 0
; COMPUTE_PGM_RSRC3_GFX90A:ACCUM_OFFSET: 1
; COMPUTE_PGM_RSRC3_GFX90A:TG_SPLIT: 0
	.section	.text._ZN7rocprim6detail31init_lookback_scan_state_kernelINS0_19lookback_scan_stateIsLb0ELb1EEEEEvT_jjPNS4_10value_typeE,"axG",@progbits,_ZN7rocprim6detail31init_lookback_scan_state_kernelINS0_19lookback_scan_stateIsLb0ELb1EEEEEvT_jjPNS4_10value_typeE,comdat
	.protected	_ZN7rocprim6detail31init_lookback_scan_state_kernelINS0_19lookback_scan_stateIsLb0ELb1EEEEEvT_jjPNS4_10value_typeE ; -- Begin function _ZN7rocprim6detail31init_lookback_scan_state_kernelINS0_19lookback_scan_stateIsLb0ELb1EEEEEvT_jjPNS4_10value_typeE
	.globl	_ZN7rocprim6detail31init_lookback_scan_state_kernelINS0_19lookback_scan_stateIsLb0ELb1EEEEEvT_jjPNS4_10value_typeE
	.p2align	8
	.type	_ZN7rocprim6detail31init_lookback_scan_state_kernelINS0_19lookback_scan_stateIsLb0ELb1EEEEEvT_jjPNS4_10value_typeE,@function
_ZN7rocprim6detail31init_lookback_scan_state_kernelINS0_19lookback_scan_stateIsLb0ELb1EEEEEvT_jjPNS4_10value_typeE: ; @_ZN7rocprim6detail31init_lookback_scan_state_kernelINS0_19lookback_scan_stateIsLb0ELb1EEEEEvT_jjPNS4_10value_typeE
; %bb.0:
	s_load_dword s7, s[4:5], 0x24
	s_load_dwordx2 s[8:9], s[4:5], 0x10
	s_load_dwordx4 s[0:3], s[4:5], 0x0
	s_waitcnt lgkmcnt(0)
	s_and_b32 s4, s7, 0xffff
	s_mul_i32 s6, s6, s4
	s_cmp_eq_u64 s[8:9], 0
	v_add_u32_e32 v0, s6, v0
	s_cbranch_scc1 .LBB22_6
; %bb.1:
	s_cmp_lt_u32 s3, s2
	s_cselect_b32 s4, s3, 0
	s_mov_b32 s7, 0
	v_cmp_eq_u32_e32 vcc, s4, v0
	s_and_saveexec_b64 s[4:5], vcc
	s_cbranch_execz .LBB22_5
; %bb.2:
	s_add_i32 s6, s3, 64
	s_lshl_b64 s[6:7], s[6:7], 2
	s_add_u32 s6, s0, s6
	s_addc_u32 s7, s1, s7
	v_mov_b32_e32 v2, 0
	global_load_dword v1, v2, s[6:7] glc
	s_waitcnt vmcnt(0)
	v_and_b32_e32 v3, 0xff0000, v1
	v_cmp_ne_u32_e32 vcc, 0, v3
	s_cbranch_vccnz .LBB22_4
.LBB22_3:                               ; =>This Inner Loop Header: Depth=1
	global_load_dword v1, v2, s[6:7] glc
	s_waitcnt vmcnt(0)
	v_and_b32_e32 v3, 0xff0000, v1
	v_cmp_eq_u32_e32 vcc, 0, v3
	s_cbranch_vccnz .LBB22_3
.LBB22_4:
	v_mov_b32_e32 v2, 0
	global_store_short v2, v1, s[8:9]
.LBB22_5:
	s_or_b64 exec, exec, s[4:5]
.LBB22_6:
	v_cmp_gt_u32_e32 vcc, s2, v0
	s_and_saveexec_b64 s[2:3], vcc
	s_cbranch_execnz .LBB22_9
; %bb.7:
	s_or_b64 exec, exec, s[2:3]
	v_cmp_gt_u32_e32 vcc, 64, v0
	s_and_saveexec_b64 s[2:3], vcc
	s_cbranch_execnz .LBB22_10
.LBB22_8:
	s_endpgm
.LBB22_9:
	v_add_u32_e32 v2, 64, v0
	v_mov_b32_e32 v3, 0
	v_lshlrev_b64 v[4:5], 2, v[2:3]
	v_mov_b32_e32 v1, s1
	v_add_co_u32_e32 v4, vcc, s0, v4
	v_addc_co_u32_e32 v5, vcc, v1, v5, vcc
	global_store_dword v[4:5], v3, off
	s_or_b64 exec, exec, s[2:3]
	v_cmp_gt_u32_e32 vcc, 64, v0
	s_and_saveexec_b64 s[2:3], vcc
	s_cbranch_execz .LBB22_8
.LBB22_10:
	v_mov_b32_e32 v1, 0
	v_lshlrev_b64 v[0:1], 2, v[0:1]
	v_mov_b32_e32 v2, s1
	v_add_co_u32_e32 v0, vcc, s0, v0
	v_addc_co_u32_e32 v1, vcc, v2, v1, vcc
	v_mov_b32_e32 v2, 0xff0000
	global_store_dword v[0:1], v2, off
	s_endpgm
	.section	.rodata,"a",@progbits
	.p2align	6, 0x0
	.amdhsa_kernel _ZN7rocprim6detail31init_lookback_scan_state_kernelINS0_19lookback_scan_stateIsLb0ELb1EEEEEvT_jjPNS4_10value_typeE
		.amdhsa_group_segment_fixed_size 0
		.amdhsa_private_segment_fixed_size 0
		.amdhsa_kernarg_size 280
		.amdhsa_user_sgpr_count 6
		.amdhsa_user_sgpr_private_segment_buffer 1
		.amdhsa_user_sgpr_dispatch_ptr 0
		.amdhsa_user_sgpr_queue_ptr 0
		.amdhsa_user_sgpr_kernarg_segment_ptr 1
		.amdhsa_user_sgpr_dispatch_id 0
		.amdhsa_user_sgpr_flat_scratch_init 0
		.amdhsa_user_sgpr_kernarg_preload_length 0
		.amdhsa_user_sgpr_kernarg_preload_offset 0
		.amdhsa_user_sgpr_private_segment_size 0
		.amdhsa_uses_dynamic_stack 0
		.amdhsa_system_sgpr_private_segment_wavefront_offset 0
		.amdhsa_system_sgpr_workgroup_id_x 1
		.amdhsa_system_sgpr_workgroup_id_y 0
		.amdhsa_system_sgpr_workgroup_id_z 0
		.amdhsa_system_sgpr_workgroup_info 0
		.amdhsa_system_vgpr_workitem_id 0
		.amdhsa_next_free_vgpr 6
		.amdhsa_next_free_sgpr 10
		.amdhsa_accum_offset 8
		.amdhsa_reserve_vcc 1
		.amdhsa_reserve_flat_scratch 0
		.amdhsa_float_round_mode_32 0
		.amdhsa_float_round_mode_16_64 0
		.amdhsa_float_denorm_mode_32 3
		.amdhsa_float_denorm_mode_16_64 3
		.amdhsa_dx10_clamp 1
		.amdhsa_ieee_mode 1
		.amdhsa_fp16_overflow 0
		.amdhsa_tg_split 0
		.amdhsa_exception_fp_ieee_invalid_op 0
		.amdhsa_exception_fp_denorm_src 0
		.amdhsa_exception_fp_ieee_div_zero 0
		.amdhsa_exception_fp_ieee_overflow 0
		.amdhsa_exception_fp_ieee_underflow 0
		.amdhsa_exception_fp_ieee_inexact 0
		.amdhsa_exception_int_div_zero 0
	.end_amdhsa_kernel
	.section	.text._ZN7rocprim6detail31init_lookback_scan_state_kernelINS0_19lookback_scan_stateIsLb0ELb1EEEEEvT_jjPNS4_10value_typeE,"axG",@progbits,_ZN7rocprim6detail31init_lookback_scan_state_kernelINS0_19lookback_scan_stateIsLb0ELb1EEEEEvT_jjPNS4_10value_typeE,comdat
.Lfunc_end22:
	.size	_ZN7rocprim6detail31init_lookback_scan_state_kernelINS0_19lookback_scan_stateIsLb0ELb1EEEEEvT_jjPNS4_10value_typeE, .Lfunc_end22-_ZN7rocprim6detail31init_lookback_scan_state_kernelINS0_19lookback_scan_stateIsLb0ELb1EEEEEvT_jjPNS4_10value_typeE
                                        ; -- End function
	.section	.AMDGPU.csdata,"",@progbits
; Kernel info:
; codeLenInByte = 296
; NumSgprs: 14
; NumVgprs: 6
; NumAgprs: 0
; TotalNumVgprs: 6
; ScratchSize: 0
; MemoryBound: 0
; FloatMode: 240
; IeeeMode: 1
; LDSByteSize: 0 bytes/workgroup (compile time only)
; SGPRBlocks: 1
; VGPRBlocks: 0
; NumSGPRsForWavesPerEU: 14
; NumVGPRsForWavesPerEU: 6
; AccumOffset: 8
; Occupancy: 8
; WaveLimiterHint : 0
; COMPUTE_PGM_RSRC2:SCRATCH_EN: 0
; COMPUTE_PGM_RSRC2:USER_SGPR: 6
; COMPUTE_PGM_RSRC2:TRAP_HANDLER: 0
; COMPUTE_PGM_RSRC2:TGID_X_EN: 1
; COMPUTE_PGM_RSRC2:TGID_Y_EN: 0
; COMPUTE_PGM_RSRC2:TGID_Z_EN: 0
; COMPUTE_PGM_RSRC2:TIDIG_COMP_CNT: 0
; COMPUTE_PGM_RSRC3_GFX90A:ACCUM_OFFSET: 1
; COMPUTE_PGM_RSRC3_GFX90A:TG_SPLIT: 0
	.section	.text._ZN7rocprim6detail20lookback_scan_kernelILNS0_25lookback_scan_determinismE0ELb0ENS0_19wrapped_scan_configINS_14default_configEsEEN6hipcub22TransformInputIteratorIsNS6_6CastOpIsEEPslEEPfNS6_3MaxEssNS0_19lookback_scan_stateIsLb1ELb1EEEEEvT2_T3_mT5_T4_T7_jPT6_SM_bb,"axG",@progbits,_ZN7rocprim6detail20lookback_scan_kernelILNS0_25lookback_scan_determinismE0ELb0ENS0_19wrapped_scan_configINS_14default_configEsEEN6hipcub22TransformInputIteratorIsNS6_6CastOpIsEEPslEEPfNS6_3MaxEssNS0_19lookback_scan_stateIsLb1ELb1EEEEEvT2_T3_mT5_T4_T7_jPT6_SM_bb,comdat
	.protected	_ZN7rocprim6detail20lookback_scan_kernelILNS0_25lookback_scan_determinismE0ELb0ENS0_19wrapped_scan_configINS_14default_configEsEEN6hipcub22TransformInputIteratorIsNS6_6CastOpIsEEPslEEPfNS6_3MaxEssNS0_19lookback_scan_stateIsLb1ELb1EEEEEvT2_T3_mT5_T4_T7_jPT6_SM_bb ; -- Begin function _ZN7rocprim6detail20lookback_scan_kernelILNS0_25lookback_scan_determinismE0ELb0ENS0_19wrapped_scan_configINS_14default_configEsEEN6hipcub22TransformInputIteratorIsNS6_6CastOpIsEEPslEEPfNS6_3MaxEssNS0_19lookback_scan_stateIsLb1ELb1EEEEEvT2_T3_mT5_T4_T7_jPT6_SM_bb
	.globl	_ZN7rocprim6detail20lookback_scan_kernelILNS0_25lookback_scan_determinismE0ELb0ENS0_19wrapped_scan_configINS_14default_configEsEEN6hipcub22TransformInputIteratorIsNS6_6CastOpIsEEPslEEPfNS6_3MaxEssNS0_19lookback_scan_stateIsLb1ELb1EEEEEvT2_T3_mT5_T4_T7_jPT6_SM_bb
	.p2align	8
	.type	_ZN7rocprim6detail20lookback_scan_kernelILNS0_25lookback_scan_determinismE0ELb0ENS0_19wrapped_scan_configINS_14default_configEsEEN6hipcub22TransformInputIteratorIsNS6_6CastOpIsEEPslEEPfNS6_3MaxEssNS0_19lookback_scan_stateIsLb1ELb1EEEEEvT2_T3_mT5_T4_T7_jPT6_SM_bb,@function
_ZN7rocprim6detail20lookback_scan_kernelILNS0_25lookback_scan_determinismE0ELb0ENS0_19wrapped_scan_configINS_14default_configEsEEN6hipcub22TransformInputIteratorIsNS6_6CastOpIsEEPslEEPfNS6_3MaxEssNS0_19lookback_scan_stateIsLb1ELb1EEEEEvT2_T3_mT5_T4_T7_jPT6_SM_bb: ; @_ZN7rocprim6detail20lookback_scan_kernelILNS0_25lookback_scan_determinismE0ELb0ENS0_19wrapped_scan_configINS_14default_configEsEEN6hipcub22TransformInputIteratorIsNS6_6CastOpIsEEPslEEPfNS6_3MaxEssNS0_19lookback_scan_stateIsLb1ELb1EEEEEvT2_T3_mT5_T4_T7_jPT6_SM_bb
; %bb.0:
	s_endpgm
	.section	.rodata,"a",@progbits
	.p2align	6, 0x0
	.amdhsa_kernel _ZN7rocprim6detail20lookback_scan_kernelILNS0_25lookback_scan_determinismE0ELb0ENS0_19wrapped_scan_configINS_14default_configEsEEN6hipcub22TransformInputIteratorIsNS6_6CastOpIsEEPslEEPfNS6_3MaxEssNS0_19lookback_scan_stateIsLb1ELb1EEEEEvT2_T3_mT5_T4_T7_jPT6_SM_bb
		.amdhsa_group_segment_fixed_size 0
		.amdhsa_private_segment_fixed_size 0
		.amdhsa_kernarg_size 76
		.amdhsa_user_sgpr_count 6
		.amdhsa_user_sgpr_private_segment_buffer 1
		.amdhsa_user_sgpr_dispatch_ptr 0
		.amdhsa_user_sgpr_queue_ptr 0
		.amdhsa_user_sgpr_kernarg_segment_ptr 1
		.amdhsa_user_sgpr_dispatch_id 0
		.amdhsa_user_sgpr_flat_scratch_init 0
		.amdhsa_user_sgpr_kernarg_preload_length 0
		.amdhsa_user_sgpr_kernarg_preload_offset 0
		.amdhsa_user_sgpr_private_segment_size 0
		.amdhsa_uses_dynamic_stack 0
		.amdhsa_system_sgpr_private_segment_wavefront_offset 0
		.amdhsa_system_sgpr_workgroup_id_x 1
		.amdhsa_system_sgpr_workgroup_id_y 0
		.amdhsa_system_sgpr_workgroup_id_z 0
		.amdhsa_system_sgpr_workgroup_info 0
		.amdhsa_system_vgpr_workitem_id 0
		.amdhsa_next_free_vgpr 1
		.amdhsa_next_free_sgpr 0
		.amdhsa_accum_offset 4
		.amdhsa_reserve_vcc 0
		.amdhsa_reserve_flat_scratch 0
		.amdhsa_float_round_mode_32 0
		.amdhsa_float_round_mode_16_64 0
		.amdhsa_float_denorm_mode_32 3
		.amdhsa_float_denorm_mode_16_64 3
		.amdhsa_dx10_clamp 1
		.amdhsa_ieee_mode 1
		.amdhsa_fp16_overflow 0
		.amdhsa_tg_split 0
		.amdhsa_exception_fp_ieee_invalid_op 0
		.amdhsa_exception_fp_denorm_src 0
		.amdhsa_exception_fp_ieee_div_zero 0
		.amdhsa_exception_fp_ieee_overflow 0
		.amdhsa_exception_fp_ieee_underflow 0
		.amdhsa_exception_fp_ieee_inexact 0
		.amdhsa_exception_int_div_zero 0
	.end_amdhsa_kernel
	.section	.text._ZN7rocprim6detail20lookback_scan_kernelILNS0_25lookback_scan_determinismE0ELb0ENS0_19wrapped_scan_configINS_14default_configEsEEN6hipcub22TransformInputIteratorIsNS6_6CastOpIsEEPslEEPfNS6_3MaxEssNS0_19lookback_scan_stateIsLb1ELb1EEEEEvT2_T3_mT5_T4_T7_jPT6_SM_bb,"axG",@progbits,_ZN7rocprim6detail20lookback_scan_kernelILNS0_25lookback_scan_determinismE0ELb0ENS0_19wrapped_scan_configINS_14default_configEsEEN6hipcub22TransformInputIteratorIsNS6_6CastOpIsEEPslEEPfNS6_3MaxEssNS0_19lookback_scan_stateIsLb1ELb1EEEEEvT2_T3_mT5_T4_T7_jPT6_SM_bb,comdat
.Lfunc_end23:
	.size	_ZN7rocprim6detail20lookback_scan_kernelILNS0_25lookback_scan_determinismE0ELb0ENS0_19wrapped_scan_configINS_14default_configEsEEN6hipcub22TransformInputIteratorIsNS6_6CastOpIsEEPslEEPfNS6_3MaxEssNS0_19lookback_scan_stateIsLb1ELb1EEEEEvT2_T3_mT5_T4_T7_jPT6_SM_bb, .Lfunc_end23-_ZN7rocprim6detail20lookback_scan_kernelILNS0_25lookback_scan_determinismE0ELb0ENS0_19wrapped_scan_configINS_14default_configEsEEN6hipcub22TransformInputIteratorIsNS6_6CastOpIsEEPslEEPfNS6_3MaxEssNS0_19lookback_scan_stateIsLb1ELb1EEEEEvT2_T3_mT5_T4_T7_jPT6_SM_bb
                                        ; -- End function
	.section	.AMDGPU.csdata,"",@progbits
; Kernel info:
; codeLenInByte = 4
; NumSgprs: 4
; NumVgprs: 0
; NumAgprs: 0
; TotalNumVgprs: 0
; ScratchSize: 0
; MemoryBound: 0
; FloatMode: 240
; IeeeMode: 1
; LDSByteSize: 0 bytes/workgroup (compile time only)
; SGPRBlocks: 0
; VGPRBlocks: 0
; NumSGPRsForWavesPerEU: 4
; NumVGPRsForWavesPerEU: 1
; AccumOffset: 4
; Occupancy: 8
; WaveLimiterHint : 0
; COMPUTE_PGM_RSRC2:SCRATCH_EN: 0
; COMPUTE_PGM_RSRC2:USER_SGPR: 6
; COMPUTE_PGM_RSRC2:TRAP_HANDLER: 0
; COMPUTE_PGM_RSRC2:TGID_X_EN: 1
; COMPUTE_PGM_RSRC2:TGID_Y_EN: 0
; COMPUTE_PGM_RSRC2:TGID_Z_EN: 0
; COMPUTE_PGM_RSRC2:TIDIG_COMP_CNT: 0
; COMPUTE_PGM_RSRC3_GFX90A:ACCUM_OFFSET: 0
; COMPUTE_PGM_RSRC3_GFX90A:TG_SPLIT: 0
	.section	.text._ZN7rocprim6detail20lookback_scan_kernelILNS0_25lookback_scan_determinismE0ELb0ENS0_19wrapped_scan_configINS_14default_configEsEEN6hipcub22TransformInputIteratorIsNS6_6CastOpIsEEPslEEPfNS6_3MaxEssNS0_19lookback_scan_stateIsLb0ELb1EEEEEvT2_T3_mT5_T4_T7_jPT6_SM_bb,"axG",@progbits,_ZN7rocprim6detail20lookback_scan_kernelILNS0_25lookback_scan_determinismE0ELb0ENS0_19wrapped_scan_configINS_14default_configEsEEN6hipcub22TransformInputIteratorIsNS6_6CastOpIsEEPslEEPfNS6_3MaxEssNS0_19lookback_scan_stateIsLb0ELb1EEEEEvT2_T3_mT5_T4_T7_jPT6_SM_bb,comdat
	.protected	_ZN7rocprim6detail20lookback_scan_kernelILNS0_25lookback_scan_determinismE0ELb0ENS0_19wrapped_scan_configINS_14default_configEsEEN6hipcub22TransformInputIteratorIsNS6_6CastOpIsEEPslEEPfNS6_3MaxEssNS0_19lookback_scan_stateIsLb0ELb1EEEEEvT2_T3_mT5_T4_T7_jPT6_SM_bb ; -- Begin function _ZN7rocprim6detail20lookback_scan_kernelILNS0_25lookback_scan_determinismE0ELb0ENS0_19wrapped_scan_configINS_14default_configEsEEN6hipcub22TransformInputIteratorIsNS6_6CastOpIsEEPslEEPfNS6_3MaxEssNS0_19lookback_scan_stateIsLb0ELb1EEEEEvT2_T3_mT5_T4_T7_jPT6_SM_bb
	.globl	_ZN7rocprim6detail20lookback_scan_kernelILNS0_25lookback_scan_determinismE0ELb0ENS0_19wrapped_scan_configINS_14default_configEsEEN6hipcub22TransformInputIteratorIsNS6_6CastOpIsEEPslEEPfNS6_3MaxEssNS0_19lookback_scan_stateIsLb0ELb1EEEEEvT2_T3_mT5_T4_T7_jPT6_SM_bb
	.p2align	8
	.type	_ZN7rocprim6detail20lookback_scan_kernelILNS0_25lookback_scan_determinismE0ELb0ENS0_19wrapped_scan_configINS_14default_configEsEEN6hipcub22TransformInputIteratorIsNS6_6CastOpIsEEPslEEPfNS6_3MaxEssNS0_19lookback_scan_stateIsLb0ELb1EEEEEvT2_T3_mT5_T4_T7_jPT6_SM_bb,@function
_ZN7rocprim6detail20lookback_scan_kernelILNS0_25lookback_scan_determinismE0ELb0ENS0_19wrapped_scan_configINS_14default_configEsEEN6hipcub22TransformInputIteratorIsNS6_6CastOpIsEEPslEEPfNS6_3MaxEssNS0_19lookback_scan_stateIsLb0ELb1EEEEEvT2_T3_mT5_T4_T7_jPT6_SM_bb: ; @_ZN7rocprim6detail20lookback_scan_kernelILNS0_25lookback_scan_determinismE0ELb0ENS0_19wrapped_scan_configINS_14default_configEsEEN6hipcub22TransformInputIteratorIsNS6_6CastOpIsEEPslEEPfNS6_3MaxEssNS0_19lookback_scan_stateIsLb0ELb1EEEEEvT2_T3_mT5_T4_T7_jPT6_SM_bb
; %bb.0:
	s_load_dword s2, s[4:5], 0x30
	s_load_dwordx2 s[0:1], s[4:5], 0x0
	s_load_dwordx4 s[12:15], s[4:5], 0x10
	s_mul_i32 s16, s6, 0xa00
	s_mov_b32 s17, 0
	s_waitcnt lgkmcnt(0)
	s_add_i32 s2, s2, -1
	s_mul_i32 s3, s2, 0xa00
	s_sub_u32 s22, s14, s3
	s_subb_u32 s23, s15, 0
	s_cmp_lg_u32 s6, s2
	s_cselect_b64 s[14:15], -1, 0
	s_lshl_b64 s[2:3], s[16:17], 1
	s_add_u32 s2, s0, s2
	s_addc_u32 s3, s1, s3
	s_mov_b64 s[0:1], -1
	s_and_b64 vcc, exec, s[14:15]
	v_lshlrev_b32_e32 v1, 1, v0
	s_cbranch_vccz .LBB24_2
; %bb.1:
	v_mov_b32_e32 v2, s3
	v_add_co_u32_e32 v3, vcc, s2, v1
	v_addc_co_u32_e32 v4, vcc, 0, v2, vcc
	v_add_co_u32_e32 v2, vcc, 0x1000, v3
	v_addc_co_u32_e32 v3, vcc, 0, v4, vcc
	global_load_ushort v5, v1, s[2:3]
	global_load_ushort v6, v1, s[2:3] offset:512
	global_load_ushort v7, v1, s[2:3] offset:1024
	;; [unrolled: 1-line block ×7, first 2 shown]
	global_load_ushort v4, v[2:3], off
	global_load_ushort v13, v[2:3], off offset:512
	s_mov_b64 s[0:1], 0
	s_waitcnt vmcnt(9)
	ds_write_b16 v1, v5
	s_waitcnt vmcnt(8)
	ds_write_b16 v1, v6 offset:512
	s_waitcnt vmcnt(7)
	ds_write_b16 v1, v7 offset:1024
	;; [unrolled: 2-line block ×9, first 2 shown]
	s_waitcnt lgkmcnt(0)
	s_barrier
.LBB24_2:
	s_andn2_b64 vcc, exec, s[0:1]
	v_cmp_gt_u32_e64 s[0:1], s22, v0
	s_cbranch_vccnz .LBB24_24
; %bb.3:
	v_mov_b32_e32 v2, 0
	global_load_ushort v12, v2, s[2:3]
	v_mov_b32_e32 v7, s3
	v_add_co_u32_e32 v10, vcc, s2, v1
	v_addc_co_u32_e32 v11, vcc, 0, v7, vcc
	s_waitcnt vmcnt(0)
	v_and_b32_e32 v2, 0xffff, v12
	v_lshl_or_b32 v2, v12, 16, v2
	v_mov_b32_e32 v3, v2
	v_mov_b32_e32 v4, v2
	v_mov_b32_e32 v5, v2
	v_mov_b32_e32 v6, v2
	s_and_saveexec_b64 s[2:3], s[0:1]
	s_cbranch_execz .LBB24_5
; %bb.4:
	global_load_ushort v12, v[10:11], off
	s_mov_b32 s0, 0xffff
	v_mov_b32_e32 v5, v2
	v_mov_b32_e32 v6, v2
	;; [unrolled: 1-line block ×4, first 2 shown]
	s_waitcnt vmcnt(0)
	v_bfi_b32 v4, s0, v12, v2
	v_pk_mov_b32 v[2:3], v[4:5], v[4:5] op_sel:[0,1]
	v_pk_mov_b32 v[4:5], v[6:7], v[6:7] op_sel:[0,1]
	;; [unrolled: 1-line block ×4, first 2 shown]
.LBB24_5:
	s_or_b64 exec, exec, s[2:3]
	v_or_b32_e32 v7, 0x100, v0
	v_cmp_gt_u32_e32 vcc, s22, v7
	s_and_saveexec_b64 s[0:1], vcc
	s_cbranch_execz .LBB24_7
; %bb.6:
	global_load_ushort v7, v[10:11], off offset:512
	s_mov_b32 s2, 0x5040100
	s_waitcnt vmcnt(0)
	v_perm_b32 v2, v7, v2, s2
.LBB24_7:
	s_or_b64 exec, exec, s[0:1]
	v_or_b32_e32 v7, 0x200, v0
	v_cmp_gt_u32_e32 vcc, s22, v7
	s_and_saveexec_b64 s[0:1], vcc
	s_cbranch_execz .LBB24_9
; %bb.8:
	global_load_ushort v7, v[10:11], off offset:1024
	s_mov_b32 s2, 0xffff
	s_waitcnt vmcnt(0)
	v_bfi_b32 v3, s2, v7, v3
.LBB24_9:
	s_or_b64 exec, exec, s[0:1]
	v_or_b32_e32 v7, 0x300, v0
	v_cmp_gt_u32_e32 vcc, s22, v7
	s_and_saveexec_b64 s[0:1], vcc
	s_cbranch_execz .LBB24_11
; %bb.10:
	global_load_ushort v7, v[10:11], off offset:1536
	s_mov_b32 s2, 0x5040100
	s_waitcnt vmcnt(0)
	v_perm_b32 v3, v7, v3, s2
.LBB24_11:
	s_or_b64 exec, exec, s[0:1]
	v_or_b32_e32 v7, 0x400, v0
	v_cmp_gt_u32_e32 vcc, s22, v7
	s_and_saveexec_b64 s[0:1], vcc
	s_cbranch_execz .LBB24_13
; %bb.12:
	global_load_ushort v7, v[10:11], off offset:2048
	s_mov_b32 s2, 0xffff
	s_waitcnt vmcnt(0)
	v_bfi_b32 v4, s2, v7, v4
.LBB24_13:
	;; [unrolled: 22-line block ×3, first 2 shown]
	s_or_b64 exec, exec, s[0:1]
	v_or_b32_e32 v7, 0x700, v0
	v_cmp_gt_u32_e32 vcc, s22, v7
	s_and_saveexec_b64 s[0:1], vcc
	s_cbranch_execz .LBB24_19
; %bb.18:
	global_load_ushort v7, v[10:11], off offset:3584
	s_mov_b32 s2, 0x5040100
	s_waitcnt vmcnt(0)
	v_perm_b32 v5, v7, v5, s2
.LBB24_19:
	s_or_b64 exec, exec, s[0:1]
	v_or_b32_e32 v7, 0x800, v0
	v_cmp_gt_u32_e32 vcc, s22, v7
	s_and_saveexec_b64 s[0:1], vcc
	s_cbranch_execz .LBB24_21
; %bb.20:
	v_add_co_u32_e32 v8, vcc, 0x1000, v10
	v_addc_co_u32_e32 v9, vcc, 0, v11, vcc
	global_load_ushort v7, v[8:9], off
	s_mov_b32 s2, 0xffff
	s_waitcnt vmcnt(0)
	v_bfi_b32 v6, s2, v7, v6
.LBB24_21:
	s_or_b64 exec, exec, s[0:1]
	v_or_b32_e32 v7, 0x900, v0
	v_cmp_gt_u32_e32 vcc, s22, v7
	s_and_saveexec_b64 s[0:1], vcc
	s_cbranch_execz .LBB24_23
; %bb.22:
	v_add_co_u32_e32 v8, vcc, 0x1000, v10
	v_addc_co_u32_e32 v9, vcc, 0, v11, vcc
	global_load_ushort v7, v[8:9], off offset:512
	s_mov_b32 s2, 0x5040100
	s_waitcnt vmcnt(0)
	v_perm_b32 v6, v7, v6, s2
.LBB24_23:
	s_or_b64 exec, exec, s[0:1]
	ds_write_b16 v1, v12
	ds_write_b16_d16_hi v1, v2 offset:512
	ds_write_b16 v1, v3 offset:1024
	ds_write_b16_d16_hi v1, v3 offset:1536
	ds_write_b16 v1, v4 offset:2048
	;; [unrolled: 2-line block ×4, first 2 shown]
	ds_write_b16_d16_hi v1, v6 offset:4608
	s_waitcnt lgkmcnt(0)
	s_barrier
.LBB24_24:
	v_mul_u32_u24_e32 v12, 10, v0
	v_lshlrev_b32_e32 v13, 1, v12
	ds_read2_b32 v[4:5], v13 offset1:1
	ds_read2_b32 v[2:3], v13 offset0:2 offset1:3
	ds_read_b32 v14, v13 offset:16
	s_load_dwordx2 s[18:19], s[4:5], 0x28
	s_cmp_lg_u32 s6, 0
	v_lshrrev_b32_e32 v15, 5, v0
	v_cmp_gt_u32_e32 vcc, 64, v0
	s_waitcnt lgkmcnt(0)
	s_barrier
	s_cbranch_scc0 .LBB24_49
; %bb.25:
	v_max_i16_sdwa v6, v4, v4 dst_sel:DWORD dst_unused:UNUSED_PAD src0_sel:DWORD src1_sel:WORD_1
	v_lshrrev_b32_e32 v16, 16, v5
	v_max3_i16 v6, v6, v5, v16
	v_lshrrev_b32_e32 v17, 16, v2
	v_max3_i16 v6, v6, v2, v17
	v_lshrrev_b32_e32 v18, 16, v3
	v_max3_i16 v6, v6, v3, v18
	v_lshrrev_b32_e32 v19, 16, v14
	v_max3_i16 v20, v6, v14, v19
	v_add_lshl_u32 v6, v15, v0, 1
	ds_write_b16 v6, v20
	s_waitcnt lgkmcnt(0)
	s_barrier
	s_and_saveexec_b64 s[2:3], vcc
	s_cbranch_execz .LBB24_27
; %bb.26:
	v_lshlrev_b32_e32 v6, 2, v0
	v_lshrrev_b32_e32 v7, 3, v0
	v_add_lshl_u32 v8, v7, v6, 1
	ds_read_b64 v[6:7], v8
	v_mbcnt_lo_u32_b32 v9, -1, 0
	v_mbcnt_hi_u32_b32 v9, -1, v9
	v_and_b32_e32 v21, 15, v9
	v_cmp_eq_u32_e64 s[0:1], 0, v21
	s_waitcnt lgkmcnt(0)
	v_lshrrev_b32_e32 v10, 16, v7
	v_max_i16_sdwa v11, v6, v6 dst_sel:DWORD dst_unused:UNUSED_PAD src0_sel:DWORD src1_sel:WORD_1
	v_max3_i16 v11, v11, v7, v10
	v_and_b32_e32 v22, 0xffff, v11
	s_nop 1
	v_mov_b32_dpp v22, v22 row_shr:1 row_mask:0xf bank_mask:0xf
	v_max_i16_e32 v22, v22, v11
	v_cndmask_b32_e64 v11, v22, v11, s[0:1]
	v_and_b32_e32 v22, 0xffff, v11
	v_cmp_lt_u32_e64 s[0:1], 1, v21
	s_nop 0
	v_mov_b32_dpp v22, v22 row_shr:2 row_mask:0xf bank_mask:0xf
	v_max_i16_e32 v22, v22, v11
	v_cndmask_b32_e64 v11, v11, v22, s[0:1]
	v_and_b32_e32 v22, 0xffff, v11
	v_cmp_lt_u32_e64 s[0:1], 3, v21
	;; [unrolled: 6-line block ×3, first 2 shown]
	s_nop 0
	v_mov_b32_dpp v22, v22 row_shr:8 row_mask:0xf bank_mask:0xf
	v_max_i16_e32 v22, v22, v11
	v_cndmask_b32_e64 v11, v11, v22, s[0:1]
	v_and_b32_e32 v21, 0xffff, v11
	v_and_b32_e32 v22, 16, v9
	v_cmp_eq_u32_e64 s[0:1], 0, v22
	v_mov_b32_dpp v21, v21 row_bcast:15 row_mask:0xf bank_mask:0xf
	v_max_i16_e32 v21, v21, v11
	v_cndmask_b32_e64 v11, v21, v11, s[0:1]
	v_and_b32_e32 v21, 0xffff, v11
	v_cmp_lt_u32_e64 s[0:1], 31, v9
	v_and_b32_e32 v22, 64, v9
	v_mov_b32_dpp v21, v21 row_bcast:31 row_mask:0xf bank_mask:0xf
	v_max_i16_e32 v21, v21, v11
	v_cndmask_b32_e64 v11, v11, v21, s[0:1]
	v_add_u32_e32 v21, -1, v9
	v_cmp_lt_i32_e64 s[0:1], v21, v22
	v_cndmask_b32_e64 v9, v21, v9, s[0:1]
	v_and_b32_e32 v11, 0xffff, v11
	v_lshlrev_b32_e32 v9, 2, v9
	ds_bpermute_b32 v9, v9, v11
	v_cmp_eq_u32_e64 s[0:1], 0, v0
	s_waitcnt lgkmcnt(0)
	v_max_i16_e32 v9, v9, v6
	v_cndmask_b32_e64 v9, v9, v20, s[0:1]
	v_max_i16_sdwa v6, v9, v6 dst_sel:DWORD dst_unused:UNUSED_PAD src0_sel:DWORD src1_sel:WORD_1
	v_max_i16_e32 v7, v6, v7
	v_max_i16_e32 v10, v7, v10
	s_mov_b32 s0, 0x5040100
	v_perm_b32 v6, v6, v9, s0
	v_perm_b32 v7, v10, v7, s0
	ds_write_b64 v8, v[6:7]
.LBB24_27:
	s_or_b64 exec, exec, s[2:3]
	v_cmp_eq_u32_e64 s[0:1], 0, v0
	v_cmp_ne_u32_e64 s[2:3], 0, v0
	s_waitcnt lgkmcnt(0)
	s_barrier
	s_and_saveexec_b64 s[8:9], s[2:3]
	s_cbranch_execz .LBB24_29
; %bb.28:
	v_add_u32_e32 v6, -1, v0
	v_lshrrev_b32_e32 v7, 5, v6
	v_add_lshl_u32 v6, v7, v6, 1
	ds_read_u16 v20, v6
.LBB24_29:
	s_or_b64 exec, exec, s[8:9]
	s_and_saveexec_b64 s[10:11], vcc
	s_cbranch_execz .LBB24_48
; %bb.30:
	v_mov_b32_e32 v9, 0
	ds_read_u16 v21, v9 offset:524
	v_mbcnt_lo_u32_b32 v6, -1, 0
	v_mbcnt_hi_u32_b32 v7, -1, v6
	s_mov_b32 s21, 0
	v_cmp_eq_u32_e64 s[2:3], 0, v7
	s_and_saveexec_b64 s[8:9], s[2:3]
	s_cbranch_execz .LBB24_32
; %bb.31:
	s_add_i32 s20, s6, 64
	s_lshl_b64 s[20:21], s[20:21], 2
	s_add_u32 s20, s18, s20
	s_addc_u32 s21, s19, s21
	s_waitcnt lgkmcnt(0)
	v_or_b32_e32 v6, 0x10000, v21
	global_store_dword v9, v6, s[20:21]
.LBB24_32:
	s_or_b64 exec, exec, s[8:9]
	v_xad_u32 v6, v7, -1, s6
	v_add_u32_e32 v8, 64, v6
	v_lshlrev_b64 v[10:11], 2, v[8:9]
	v_mov_b32_e32 v8, s19
	v_add_co_u32_e32 v10, vcc, s18, v10
	v_addc_co_u32_e32 v11, vcc, v8, v11, vcc
	global_load_dword v27, v[10:11], off glc
	s_waitcnt vmcnt(0)
	v_lshrrev_b32_e32 v23, 16, v27
	v_cmp_eq_u16_sdwa s[20:21], v23, v9 src0_sel:BYTE_0 src1_sel:DWORD
	s_and_saveexec_b64 s[8:9], s[20:21]
	s_cbranch_execz .LBB24_36
; %bb.33:
	s_mov_b64 s[20:21], 0
	v_mov_b32_e32 v8, 0
.LBB24_34:                              ; =>This Inner Loop Header: Depth=1
	global_load_dword v27, v[10:11], off glc
	s_waitcnt vmcnt(0)
	v_lshrrev_b32_e32 v23, 16, v27
	v_cmp_ne_u16_sdwa s[24:25], v23, v8 src0_sel:BYTE_0 src1_sel:DWORD
	s_or_b64 s[20:21], s[24:25], s[20:21]
	s_andn2_b64 exec, exec, s[20:21]
	s_cbranch_execnz .LBB24_34
; %bb.35:
	s_or_b64 exec, exec, s[20:21]
.LBB24_36:
	s_or_b64 exec, exec, s[8:9]
	v_and_b32_e32 v34, 63, v7
	v_cmp_ne_u32_e32 vcc, 63, v34
	v_mov_b32_e32 v22, 2
	v_addc_co_u32_e32 v24, vcc, 0, v7, vcc
	v_cmp_eq_u16_sdwa s[8:9], v23, v22 src0_sel:BYTE_0 src1_sel:DWORD
	v_lshlrev_b64 v[8:9], v7, -1
	v_and_b32_e32 v26, 0xffff, v27
	v_lshlrev_b32_e32 v24, 2, v24
	v_and_b32_e32 v10, s9, v9
	ds_bpermute_b32 v28, v24, v26
	v_or_b32_e32 v10, 0x80000000, v10
	v_and_b32_e32 v11, s8, v8
	v_ffbl_b32_e32 v10, v10
	v_add_u32_e32 v10, 32, v10
	v_ffbl_b32_e32 v11, v11
	v_min_u32_e32 v10, v11, v10
	v_add_u32_e32 v25, 1, v7
	s_waitcnt lgkmcnt(0)
	v_max_i16_e32 v11, v28, v27
	v_cmp_gt_u32_e32 vcc, v25, v10
	v_cmp_gt_u32_e64 s[8:9], 62, v34
	v_cndmask_b32_e32 v28, v11, v26, vcc
	v_cndmask_b32_e64 v26, 0, 1, s[8:9]
	v_lshlrev_b32_e32 v26, 1, v26
	v_add_lshl_u32 v26, v26, v7, 2
	ds_bpermute_b32 v29, v26, v28
	v_cndmask_b32_e32 v11, v11, v27, vcc
	v_add_u32_e32 v27, 2, v7
	v_cmp_gt_u32_e32 vcc, v27, v10
	v_cmp_gt_u32_e64 s[8:9], 60, v34
	s_waitcnt lgkmcnt(0)
	v_max_i16_e32 v29, v29, v11
	v_cndmask_b32_e32 v30, v29, v28, vcc
	v_cndmask_b32_e64 v28, 0, 1, s[8:9]
	v_lshlrev_b32_e32 v28, 2, v28
	v_add_lshl_u32 v28, v28, v7, 2
	ds_bpermute_b32 v31, v28, v30
	v_cndmask_b32_e32 v11, v29, v11, vcc
	v_add_u32_e32 v29, 4, v7
	v_cmp_gt_u32_e32 vcc, v29, v10
	v_cmp_gt_u32_e64 s[8:9], 56, v34
	s_waitcnt lgkmcnt(0)
	v_max_i16_e32 v31, v31, v11
	;; [unrolled: 11-line block ×3, first 2 shown]
	v_cndmask_b32_e32 v35, v33, v32, vcc
	v_cndmask_b32_e64 v32, 0, 1, s[8:9]
	v_lshlrev_b32_e32 v32, 4, v32
	v_add_lshl_u32 v32, v32, v7, 2
	ds_bpermute_b32 v36, v32, v35
	v_cmp_gt_u32_e64 s[8:9], 32, v34
	v_cndmask_b32_e32 v11, v33, v11, vcc
	v_add_u32_e32 v33, 16, v7
	v_cndmask_b32_e64 v34, 0, 1, s[8:9]
	s_waitcnt lgkmcnt(0)
	v_max_i16_e32 v37, v36, v11
	v_cmp_gt_u32_e32 vcc, v33, v10
	v_lshlrev_b32_e32 v34, 5, v34
	v_cndmask_b32_e32 v36, v37, v35, vcc
	v_add_lshl_u32 v35, v34, v7, 2
	ds_bpermute_b32 v34, v35, v36
	v_add_u32_e32 v36, 32, v7
	v_cndmask_b32_e32 v7, v37, v11, vcc
	v_cmp_gt_u32_e32 vcc, v36, v10
	s_waitcnt lgkmcnt(0)
	v_max_i16_e32 v11, v34, v7
	v_cndmask_b32_e32 v10, v11, v7, vcc
	v_mov_b32_e32 v7, 0
	s_branch .LBB24_38
.LBB24_37:                              ;   in Loop: Header=BB24_38 Depth=1
	s_or_b64 exec, exec, s[8:9]
	v_cmp_eq_u16_sdwa s[8:9], v23, v22 src0_sel:BYTE_0 src1_sel:DWORD
	v_and_b32_e32 v38, 0xffff, v37
	v_and_b32_e32 v10, s9, v9
	ds_bpermute_b32 v39, v24, v38
	v_or_b32_e32 v10, 0x80000000, v10
	v_and_b32_e32 v11, s8, v8
	v_ffbl_b32_e32 v10, v10
	v_add_u32_e32 v10, 32, v10
	v_ffbl_b32_e32 v11, v11
	v_min_u32_e32 v10, v11, v10
	s_waitcnt lgkmcnt(0)
	v_max_i16_e32 v11, v39, v37
	v_cmp_gt_u32_e32 vcc, v25, v10
	v_cndmask_b32_e32 v38, v11, v38, vcc
	ds_bpermute_b32 v39, v26, v38
	v_cndmask_b32_e32 v11, v11, v37, vcc
	v_cmp_gt_u32_e32 vcc, v27, v10
	v_subrev_u32_e32 v6, 64, v6
	s_waitcnt lgkmcnt(0)
	v_max_i16_e32 v37, v39, v11
	v_cndmask_b32_e32 v38, v37, v38, vcc
	ds_bpermute_b32 v39, v28, v38
	v_cndmask_b32_e32 v11, v37, v11, vcc
	v_cmp_gt_u32_e32 vcc, v29, v10
	s_waitcnt lgkmcnt(0)
	v_max_i16_e32 v37, v39, v11
	v_cndmask_b32_e32 v38, v37, v38, vcc
	ds_bpermute_b32 v39, v30, v38
	v_cndmask_b32_e32 v11, v37, v11, vcc
	v_cmp_gt_u32_e32 vcc, v31, v10
	s_waitcnt lgkmcnt(0)
	v_max_i16_e32 v37, v39, v11
	v_cndmask_b32_e32 v38, v37, v38, vcc
	ds_bpermute_b32 v39, v32, v38
	v_cndmask_b32_e32 v11, v37, v11, vcc
	v_cmp_gt_u32_e32 vcc, v33, v10
	s_waitcnt lgkmcnt(0)
	v_max_i16_e32 v37, v39, v11
	v_cndmask_b32_e32 v38, v37, v38, vcc
	ds_bpermute_b32 v38, v35, v38
	v_cndmask_b32_e32 v11, v37, v11, vcc
	v_cmp_gt_u32_e32 vcc, v36, v10
	s_waitcnt lgkmcnt(0)
	v_max_i16_e32 v37, v38, v11
	v_cndmask_b32_e32 v10, v37, v11, vcc
	v_max_i16_e32 v10, v10, v34
.LBB24_38:                              ; =>This Loop Header: Depth=1
                                        ;     Child Loop BB24_41 Depth 2
	v_cmp_ne_u16_sdwa s[8:9], v23, v22 src0_sel:BYTE_0 src1_sel:DWORD
	v_cndmask_b32_e64 v11, 0, 1, s[8:9]
	;;#ASMSTART
	;;#ASMEND
	v_cmp_ne_u32_e32 vcc, 0, v11
	s_cmp_lg_u64 vcc, exec
	v_mov_b32_e32 v34, v10
	s_cbranch_scc1 .LBB24_43
; %bb.39:                               ;   in Loop: Header=BB24_38 Depth=1
	v_lshlrev_b64 v[10:11], 2, v[6:7]
	v_mov_b32_e32 v23, s19
	v_add_co_u32_e32 v10, vcc, s18, v10
	v_addc_co_u32_e32 v11, vcc, v23, v11, vcc
	global_load_dword v37, v[10:11], off glc
	s_waitcnt vmcnt(0)
	v_lshrrev_b32_e32 v23, 16, v37
	v_cmp_eq_u16_sdwa s[20:21], v23, v7 src0_sel:BYTE_0 src1_sel:DWORD
	s_and_saveexec_b64 s[8:9], s[20:21]
	s_cbranch_execz .LBB24_37
; %bb.40:                               ;   in Loop: Header=BB24_38 Depth=1
	s_mov_b64 s[20:21], 0
.LBB24_41:                              ;   Parent Loop BB24_38 Depth=1
                                        ; =>  This Inner Loop Header: Depth=2
	global_load_dword v37, v[10:11], off glc
	s_waitcnt vmcnt(0)
	v_lshrrev_b32_e32 v23, 16, v37
	v_cmp_ne_u16_sdwa s[24:25], v23, v7 src0_sel:BYTE_0 src1_sel:DWORD
	s_or_b64 s[20:21], s[24:25], s[20:21]
	s_andn2_b64 exec, exec, s[20:21]
	s_cbranch_execnz .LBB24_41
; %bb.42:                               ;   in Loop: Header=BB24_38 Depth=1
	s_or_b64 exec, exec, s[20:21]
	s_branch .LBB24_37
.LBB24_43:                              ;   in Loop: Header=BB24_38 Depth=1
                                        ; implicit-def: $vgpr10
                                        ; implicit-def: $vgpr23
	s_cbranch_execz .LBB24_38
; %bb.44:
	s_and_saveexec_b64 s[8:9], s[2:3]
	s_cbranch_execz .LBB24_46
; %bb.45:
	s_add_i32 s2, s6, 64
	s_mov_b32 s3, 0
	s_lshl_b64 s[2:3], s[2:3], 2
	s_add_u32 s2, s18, s2
	v_max_i16_e32 v7, v34, v21
	s_addc_u32 s3, s19, s3
	v_mov_b32_e32 v6, 0
	v_or_b32_e32 v7, 0x20000, v7
	global_store_dword v6, v7, s[2:3]
.LBB24_46:
	s_or_b64 exec, exec, s[8:9]
	s_and_b64 exec, exec, s[0:1]
	s_cbranch_execz .LBB24_48
; %bb.47:
	v_mov_b32_e32 v6, 0
	ds_write_b16 v6, v34
.LBB24_48:
	s_or_b64 exec, exec, s[10:11]
	v_mov_b32_e32 v6, 0
	s_waitcnt lgkmcnt(0)
	s_barrier
	ds_read_u16 v6, v6
	v_max_i16_e32 v7, v20, v4
	v_cndmask_b32_e64 v7, v7, v4, s[0:1]
	s_mov_b32 s0, 0x5040100
	s_waitcnt lgkmcnt(0)
	v_max_i16_e32 v6, v6, v7
	v_max_i16_sdwa v7, v6, v4 dst_sel:DWORD dst_unused:UNUSED_PAD src0_sel:DWORD src1_sel:WORD_1
	v_max_i16_e32 v8, v7, v5
	v_max_i16_e32 v9, v8, v16
	;; [unrolled: 1-line block ×8, first 2 shown]
	v_perm_b32 v6, v7, v6, s0
	v_perm_b32 v8, v9, v8, s0
	;; [unrolled: 1-line block ×5, first 2 shown]
	s_load_dwordx4 s[8:11], s[4:5], 0x38
	s_branch .LBB24_59
.LBB24_49:
                                        ; implicit-def: $vgpr9
                                        ; implicit-def: $vgpr10
                                        ; implicit-def: $vgpr7
                                        ; implicit-def: $vgpr8
                                        ; implicit-def: $vgpr6
	s_load_dwordx4 s[8:11], s[4:5], 0x38
	s_cbranch_execz .LBB24_59
; %bb.50:
	s_load_dword s2, s[4:5], 0x48
	v_cmp_eq_u32_e32 vcc, 0, v0
	v_cmp_ne_u32_e64 s[0:1], 0, v0
	s_waitcnt lgkmcnt(0)
	s_bitcmp1_b32 s2, 0
	s_cselect_b64 s[2:3], -1, 0
	s_and_b64 s[6:7], vcc, s[2:3]
	s_and_saveexec_b64 s[2:3], s[6:7]
	s_cbranch_execz .LBB24_52
; %bb.51:
	v_mov_b32_e32 v6, 0
	global_load_ushort v6, v6, s[8:9]
	s_mov_b32 s6, 0xffff
	s_waitcnt vmcnt(0)
	v_max_i16_e32 v6, v6, v4
	v_bfi_b32 v4, s6, v6, v4
.LBB24_52:
	s_or_b64 exec, exec, s[2:3]
	v_max_i16_sdwa v7, v4, v4 dst_sel:DWORD dst_unused:UNUSED_PAD src0_sel:DWORD src1_sel:WORD_1
	v_lshrrev_b32_e32 v6, 16, v5
	v_max3_i16 v8, v7, v5, v6
	v_lshrrev_b32_e32 v7, 16, v2
	v_max3_i16 v9, v8, v2, v7
	v_lshrrev_b32_e32 v8, 16, v3
	v_max3_i16 v10, v9, v3, v8
	v_lshrrev_b32_e32 v9, 16, v14
	v_max3_i16 v10, v10, v14, v9
	v_add_lshl_u32 v11, v15, v0, 1
	v_cmp_gt_u32_e64 s[2:3], 64, v0
	ds_write_b16 v11, v10
	s_waitcnt lgkmcnt(0)
	s_barrier
	s_and_saveexec_b64 s[6:7], s[2:3]
	s_cbranch_execz .LBB24_54
; %bb.53:
	v_lshlrev_b32_e32 v11, 2, v0
	v_lshrrev_b32_e32 v15, 3, v0
	v_add_lshl_u32 v11, v15, v11, 1
	ds_read_b64 v[16:17], v11
	v_mbcnt_lo_u32_b32 v15, -1, 0
	v_mbcnt_hi_u32_b32 v15, -1, v15
	v_and_b32_e32 v20, 15, v15
	v_cmp_eq_u32_e64 s[2:3], 0, v20
	s_waitcnt lgkmcnt(0)
	v_lshrrev_b32_e32 v18, 16, v17
	v_max_i16_sdwa v19, v16, v16 dst_sel:DWORD dst_unused:UNUSED_PAD src0_sel:DWORD src1_sel:WORD_1
	v_max3_i16 v19, v19, v17, v18
	v_and_b32_e32 v21, 0xffff, v19
	s_nop 1
	v_mov_b32_dpp v21, v21 row_shr:1 row_mask:0xf bank_mask:0xf
	v_max_i16_e32 v21, v21, v19
	v_cndmask_b32_e64 v19, v21, v19, s[2:3]
	v_and_b32_e32 v21, 0xffff, v19
	v_cmp_lt_u32_e64 s[2:3], 1, v20
	s_nop 0
	v_mov_b32_dpp v21, v21 row_shr:2 row_mask:0xf bank_mask:0xf
	v_max_i16_e32 v21, v21, v19
	v_cndmask_b32_e64 v19, v19, v21, s[2:3]
	v_and_b32_e32 v21, 0xffff, v19
	v_cmp_lt_u32_e64 s[2:3], 3, v20
	;; [unrolled: 6-line block ×3, first 2 shown]
	s_nop 0
	v_mov_b32_dpp v21, v21 row_shr:8 row_mask:0xf bank_mask:0xf
	v_max_i16_e32 v21, v21, v19
	v_cndmask_b32_e64 v19, v19, v21, s[2:3]
	v_and_b32_e32 v20, 0xffff, v19
	v_and_b32_e32 v21, 16, v15
	v_cmp_eq_u32_e64 s[2:3], 0, v21
	v_mov_b32_dpp v20, v20 row_bcast:15 row_mask:0xf bank_mask:0xf
	v_max_i16_e32 v20, v20, v19
	v_cndmask_b32_e64 v19, v20, v19, s[2:3]
	v_and_b32_e32 v20, 0xffff, v19
	v_cmp_lt_u32_e64 s[2:3], 31, v15
	v_and_b32_e32 v21, 64, v15
	v_mov_b32_dpp v20, v20 row_bcast:31 row_mask:0xf bank_mask:0xf
	v_max_i16_e32 v20, v20, v19
	v_cndmask_b32_e64 v19, v19, v20, s[2:3]
	v_add_u32_e32 v20, -1, v15
	v_cmp_lt_i32_e64 s[2:3], v20, v21
	v_cndmask_b32_e64 v15, v20, v15, s[2:3]
	v_and_b32_e32 v19, 0xffff, v19
	v_lshlrev_b32_e32 v15, 2, v15
	ds_bpermute_b32 v15, v15, v19
	s_mov_b32 s2, 0x5040100
	s_waitcnt lgkmcnt(0)
	v_max_i16_e32 v15, v15, v16
	v_cndmask_b32_e32 v15, v15, v10, vcc
	v_max_i16_sdwa v16, v15, v16 dst_sel:DWORD dst_unused:UNUSED_PAD src0_sel:DWORD src1_sel:WORD_1
	v_max_i16_e32 v17, v16, v17
	v_max_i16_e32 v18, v17, v18
	v_perm_b32 v16, v16, v15, s2
	v_perm_b32 v17, v18, v17, s2
	ds_write_b64 v11, v[16:17]
.LBB24_54:
	s_or_b64 exec, exec, s[6:7]
	s_waitcnt lgkmcnt(0)
	s_barrier
	s_and_saveexec_b64 s[2:3], s[0:1]
	s_cbranch_execz .LBB24_56
; %bb.55:
	v_add_u32_e32 v10, -1, v0
	v_lshrrev_b32_e32 v11, 5, v10
	v_add_lshl_u32 v10, v11, v10, 1
	ds_read_u16 v10, v10
.LBB24_56:
	s_or_b64 exec, exec, s[2:3]
	s_waitcnt lgkmcnt(0)
	v_max_i16_e32 v10, v10, v4
	v_cndmask_b32_e32 v10, v10, v4, vcc
	v_max_i16_sdwa v4, v10, v4 dst_sel:DWORD dst_unused:UNUSED_PAD src0_sel:DWORD src1_sel:WORD_1
	v_max_i16_e32 v5, v4, v5
	v_max_i16_e32 v11, v5, v6
	;; [unrolled: 1-line block ×8, first 2 shown]
	s_mov_b32 s2, 0x5040100
	s_and_saveexec_b64 s[0:1], vcc
	s_cbranch_execz .LBB24_58
; %bb.57:
	v_mov_b32_e32 v6, 0
	ds_read_u16 v8, v6 offset:524
	s_waitcnt lgkmcnt(0)
	v_or_b32_e32 v8, 0x20000, v8
	global_store_dword v6, v8, s[18:19] offset:256
.LBB24_58:
	s_or_b64 exec, exec, s[0:1]
	v_perm_b32 v6, v4, v10, s2
	v_perm_b32 v8, v11, v5, s2
	;; [unrolled: 1-line block ×5, first 2 shown]
.LBB24_59:
	s_lshl_b64 s[0:1], s[16:17], 2
	s_add_u32 s0, s12, s0
	s_addc_u32 s1, s13, s1
	s_mov_b64 s[2:3], -1
	s_and_b64 vcc, exec, s[14:15]
	v_lshlrev_b32_e32 v2, 2, v0
	s_waitcnt lgkmcnt(0)
	s_barrier
	s_cbranch_vccz .LBB24_61
; %bb.60:
	ds_write2_b32 v13, v6, v8 offset1:1
	ds_write2_b32 v13, v7, v10 offset0:2 offset1:3
	ds_write_b32 v13, v9 offset:16
	s_waitcnt lgkmcnt(0)
	s_barrier
	ds_read_i16 v3, v1
	ds_read_i16 v4, v1 offset:512
	ds_read_i16 v5, v1 offset:1024
	;; [unrolled: 1-line block ×9, first 2 shown]
	s_waitcnt lgkmcnt(9)
	v_cvt_f32_i32_e32 v3, v3
	s_waitcnt lgkmcnt(8)
	v_cvt_f32_i32_e32 v4, v4
	;; [unrolled: 2-line block ×4, first 2 shown]
	v_mov_b32_e32 v19, s1
	v_add_co_u32_e32 v20, vcc, s0, v2
	global_store_dword v2, v3, s[0:1]
	global_store_dword v2, v4, s[0:1] offset:1024
	global_store_dword v2, v5, s[0:1] offset:2048
	;; [unrolled: 1-line block ×3, first 2 shown]
	s_waitcnt lgkmcnt(5)
	v_cvt_f32_i32_e32 v3, v14
	v_addc_co_u32_e32 v19, vcc, 0, v19, vcc
	s_movk_i32 s2, 0x1000
	s_waitcnt lgkmcnt(4)
	v_cvt_f32_i32_e32 v11, v15
	v_add_co_u32_e32 v4, vcc, s2, v20
	s_waitcnt lgkmcnt(3)
	v_cvt_f32_i32_e32 v14, v16
	v_addc_co_u32_e32 v5, vcc, 0, v19, vcc
	s_waitcnt lgkmcnt(2)
	v_cvt_f32_i32_e32 v15, v17
	global_store_dword v[4:5], v3, off
	global_store_dword v[4:5], v11, off offset:1024
	global_store_dword v[4:5], v14, off offset:2048
	;; [unrolled: 1-line block ×3, first 2 shown]
	s_waitcnt lgkmcnt(1)
	v_cvt_f32_i32_e32 v3, v18
	s_waitcnt lgkmcnt(0)
	v_cvt_f32_i32_e32 v1, v1
	v_add_co_u32_e32 v4, vcc, 0x2000, v20
	v_addc_co_u32_e32 v5, vcc, 0, v19, vcc
	global_store_dword v[4:5], v3, off
	global_store_dword v[4:5], v1, off offset:1024
	s_mov_b64 s[2:3], 0
.LBB24_61:
	s_andn2_b64 vcc, exec, s[2:3]
	s_cbranch_vccnz .LBB24_117
; %bb.62:
	s_movk_i32 s2, 0xffee
	v_mad_i32_i24 v3, v0, s2, v13
	ds_write2_b32 v13, v6, v8 offset1:1
	ds_write2_b32 v13, v7, v10 offset0:2 offset1:3
	ds_write_b32 v13, v9 offset:16
	s_waitcnt lgkmcnt(0)
	s_barrier
	ds_read_u16 v5, v3
	ds_read_u16 v4, v3 offset:512
	ds_read_u16 v6, v3 offset:1024
	;; [unrolled: 1-line block ×9, first 2 shown]
	v_mov_b32_e32 v3, s1
	v_add_co_u32_e32 v2, vcc, s0, v2
	v_addc_co_u32_e32 v3, vcc, 0, v3, vcc
	v_mov_b32_e32 v1, 0
	v_cmp_gt_u32_e32 vcc, s22, v0
	s_and_saveexec_b64 s[0:1], vcc
	s_cbranch_execz .LBB24_64
; %bb.63:
	s_waitcnt lgkmcnt(9)
	v_cvt_f32_i32_sdwa v15, sext(v5) dst_sel:DWORD dst_unused:UNUSED_PAD src0_sel:WORD_0
	global_store_dword v[2:3], v15, off
.LBB24_64:
	s_or_b64 exec, exec, s[0:1]
	v_or_b32_e32 v15, 0x100, v0
	v_cmp_gt_u32_e32 vcc, s22, v15
	s_and_saveexec_b64 s[0:1], vcc
	s_cbranch_execz .LBB24_66
; %bb.65:
	s_waitcnt lgkmcnt(8)
	v_cvt_f32_i32_sdwa v15, sext(v4) dst_sel:DWORD dst_unused:UNUSED_PAD src0_sel:WORD_0
	global_store_dword v[2:3], v15, off offset:1024
.LBB24_66:
	s_or_b64 exec, exec, s[0:1]
	v_or_b32_e32 v15, 0x200, v0
	v_cmp_gt_u32_e32 vcc, s22, v15
	s_and_saveexec_b64 s[0:1], vcc
	s_cbranch_execz .LBB24_68
; %bb.67:
	s_waitcnt lgkmcnt(7)
	v_cvt_f32_i32_sdwa v15, sext(v6) dst_sel:DWORD dst_unused:UNUSED_PAD src0_sel:WORD_0
	global_store_dword v[2:3], v15, off offset:2048
.LBB24_68:
	;; [unrolled: 10-line block ×3, first 2 shown]
	s_or_b64 exec, exec, s[0:1]
	v_or_b32_e32 v15, 0x400, v0
	v_cmp_gt_u32_e32 vcc, s22, v15
	s_and_saveexec_b64 s[0:1], vcc
	s_cbranch_execz .LBB24_72
; %bb.71:
	s_waitcnt lgkmcnt(5)
	v_cvt_f32_i32_sdwa v15, sext(v9) dst_sel:DWORD dst_unused:UNUSED_PAD src0_sel:WORD_0
	v_add_co_u32_e32 v16, vcc, 0x1000, v2
	v_addc_co_u32_e32 v17, vcc, 0, v3, vcc
	global_store_dword v[16:17], v15, off
.LBB24_72:
	s_or_b64 exec, exec, s[0:1]
	v_or_b32_e32 v15, 0x500, v0
	v_cmp_gt_u32_e32 vcc, s22, v15
	s_and_saveexec_b64 s[0:1], vcc
	s_cbranch_execz .LBB24_74
; %bb.73:
	s_waitcnt lgkmcnt(4)
	v_cvt_f32_i32_sdwa v15, sext(v8) dst_sel:DWORD dst_unused:UNUSED_PAD src0_sel:WORD_0
	v_add_co_u32_e32 v16, vcc, 0x1000, v2
	v_addc_co_u32_e32 v17, vcc, 0, v3, vcc
	global_store_dword v[16:17], v15, off offset:1024
.LBB24_74:
	s_or_b64 exec, exec, s[0:1]
	v_or_b32_e32 v15, 0x600, v0
	v_cmp_gt_u32_e32 vcc, s22, v15
	s_and_saveexec_b64 s[0:1], vcc
	s_cbranch_execz .LBB24_76
; %bb.75:
	s_waitcnt lgkmcnt(3)
	v_cvt_f32_i32_sdwa v15, sext(v11) dst_sel:DWORD dst_unused:UNUSED_PAD src0_sel:WORD_0
	v_add_co_u32_e32 v16, vcc, 0x1000, v2
	v_addc_co_u32_e32 v17, vcc, 0, v3, vcc
	global_store_dword v[16:17], v15, off offset:2048
.LBB24_76:
	;; [unrolled: 12-line block ×3, first 2 shown]
	s_or_b64 exec, exec, s[0:1]
	v_or_b32_e32 v15, 0x800, v0
	v_cmp_gt_u32_e32 vcc, s22, v15
	s_and_saveexec_b64 s[0:1], vcc
	s_cbranch_execz .LBB24_80
; %bb.79:
	s_waitcnt lgkmcnt(1)
	v_cvt_f32_i32_sdwa v15, sext(v10) dst_sel:DWORD dst_unused:UNUSED_PAD src0_sel:WORD_0
	v_add_co_u32_e32 v16, vcc, 0x2000, v2
	v_addc_co_u32_e32 v17, vcc, 0, v3, vcc
	global_store_dword v[16:17], v15, off
.LBB24_80:
	s_or_b64 exec, exec, s[0:1]
	v_or_b32_e32 v15, 0x900, v0
	v_cmp_gt_u32_e32 vcc, s22, v15
	s_and_saveexec_b64 s[0:1], vcc
	s_cbranch_execz .LBB24_82
; %bb.81:
	s_waitcnt lgkmcnt(0)
	v_cvt_f32_i32_sdwa v15, sext(v14) dst_sel:DWORD dst_unused:UNUSED_PAD src0_sel:WORD_0
	v_add_co_u32_e32 v2, vcc, 0x2000, v2
	v_addc_co_u32_e32 v3, vcc, 0, v3, vcc
	global_store_dword v[2:3], v15, off offset:1024
.LBB24_82:
	s_or_b64 exec, exec, s[0:1]
	s_load_dword s0, s[4:5], 0x48
	s_waitcnt lgkmcnt(0)
	s_bfe_u32 s0, s0, 0x10008
	s_cmp_eq_u32 s0, 0
	s_cbranch_scc1 .LBB24_117
; %bb.83:
	s_add_u32 s0, s22, -1
	s_addc_u32 s1, s23, -1
	s_add_u32 s2, 0, 0x99986000
	s_addc_u32 s3, 0, 0x59
	s_add_i32 s3, s3, 0x19999940
	s_mul_hi_u32 s7, s2, -10
	s_sub_i32 s7, s7, s2
	s_mul_i32 s8, s3, -10
	s_mul_i32 s4, s2, -10
	s_add_i32 s7, s7, s8
	s_mul_hi_u32 s5, s3, s4
	s_mul_i32 s6, s3, s4
	s_mul_i32 s9, s2, s7
	s_mul_hi_u32 s4, s2, s4
	s_mul_hi_u32 s8, s2, s7
	s_add_u32 s4, s4, s9
	s_addc_u32 s8, 0, s8
	s_add_u32 s4, s4, s6
	s_mul_hi_u32 s9, s3, s7
	s_addc_u32 s4, s8, s5
	s_addc_u32 s5, s9, 0
	s_mul_i32 s6, s3, s7
	s_add_u32 s4, s4, s6
	v_mov_b32_e32 v2, s4
	s_addc_u32 s5, 0, s5
	v_add_co_u32_e32 v2, vcc, s2, v2
	s_cmp_lg_u64 vcc, 0
	s_addc_u32 s2, s3, s5
	v_readfirstlane_b32 s5, v2
	s_mul_i32 s4, s0, s2
	s_mul_hi_u32 s6, s0, s5
	s_mul_hi_u32 s3, s0, s2
	s_add_u32 s4, s6, s4
	s_addc_u32 s3, 0, s3
	s_mul_hi_u32 s7, s1, s5
	s_mul_i32 s5, s1, s5
	s_add_u32 s4, s4, s5
	s_mul_hi_u32 s6, s1, s2
	s_addc_u32 s3, s3, s7
	s_addc_u32 s4, s6, 0
	s_mul_i32 s2, s1, s2
	s_add_u32 s2, s3, s2
	s_addc_u32 s3, 0, s4
	s_add_u32 s4, s2, 1
	s_addc_u32 s5, s3, 0
	s_add_u32 s6, s2, 2
	s_mul_i32 s8, s3, 10
	s_mul_hi_u32 s9, s2, 10
	s_addc_u32 s7, s3, 0
	s_add_i32 s9, s9, s8
	s_mul_i32 s8, s2, 10
	v_mov_b32_e32 v2, s8
	v_sub_co_u32_e32 v2, vcc, s0, v2
	s_cmp_lg_u64 vcc, 0
	s_subb_u32 s8, s1, s9
	v_subrev_co_u32_e32 v3, vcc, 10, v2
	s_cmp_lg_u64 vcc, 0
	s_subb_u32 s9, s8, 0
	v_readfirstlane_b32 s12, v3
	s_cmp_gt_u32 s12, 9
	s_cselect_b32 s12, -1, 0
	s_cmp_eq_u32 s9, 0
	s_cselect_b32 s9, s12, -1
	s_cmp_lg_u32 s9, 0
	s_cselect_b32 s4, s6, s4
	v_readfirstlane_b32 s6, v2
	s_cselect_b32 s5, s7, s5
	s_cmp_gt_u32 s6, 9
	s_cselect_b32 s6, -1, 0
	s_cmp_eq_u32 s8, 0
	s_cselect_b32 s6, s6, -1
	s_cmp_lg_u32 s6, 0
	s_cselect_b32 s3, s5, s3
	s_cselect_b32 s2, s4, s2
	v_cmp_eq_u64_e32 vcc, s[2:3], v[0:1]
	s_and_saveexec_b64 s[2:3], vcc
	s_cbranch_execz .LBB24_117
; %bb.84:
	v_mul_hi_u32_u24_e32 v1, 10, v0
	v_mov_b32_e32 v2, s1
	v_sub_co_u32_e32 v0, vcc, s0, v12
	v_subb_co_u32_e32 v1, vcc, v2, v1, vcc
	v_cmp_lt_i64_e32 vcc, 4, v[0:1]
	s_and_saveexec_b64 s[0:1], vcc
	s_xor_b64 s[0:1], exec, s[0:1]
	s_cbranch_execz .LBB24_102
; %bb.85:
	v_cmp_lt_i64_e32 vcc, 6, v[0:1]
	s_and_saveexec_b64 s[2:3], vcc
	s_xor_b64 s[2:3], exec, s[2:3]
	s_cbranch_execz .LBB24_95
; %bb.86:
	v_cmp_lt_i64_e32 vcc, 7, v[0:1]
	s_and_saveexec_b64 s[4:5], vcc
	s_xor_b64 s[4:5], exec, s[4:5]
	s_cbranch_execz .LBB24_92
; %bb.87:
	v_cmp_lt_i64_e32 vcc, 8, v[0:1]
	s_and_saveexec_b64 s[6:7], vcc
	s_xor_b64 s[6:7], exec, s[6:7]
	s_cbranch_execz .LBB24_89
; %bb.88:
	v_mov_b32_e32 v0, 0
	global_store_short v0, v14, s[10:11]
                                        ; implicit-def: $vgpr10
.LBB24_89:
	s_andn2_saveexec_b64 s[6:7], s[6:7]
	s_cbranch_execz .LBB24_91
; %bb.90:
	v_mov_b32_e32 v0, 0
	global_store_short v0, v10, s[10:11]
.LBB24_91:
	s_or_b64 exec, exec, s[6:7]
                                        ; implicit-def: $vgpr13
.LBB24_92:
	s_andn2_saveexec_b64 s[4:5], s[4:5]
	s_cbranch_execz .LBB24_94
; %bb.93:
	v_mov_b32_e32 v0, 0
	global_store_short v0, v13, s[10:11]
.LBB24_94:
	s_or_b64 exec, exec, s[4:5]
                                        ; implicit-def: $vgpr8
                                        ; implicit-def: $vgpr0_vgpr1
                                        ; implicit-def: $vgpr11
.LBB24_95:
	s_andn2_saveexec_b64 s[2:3], s[2:3]
	s_cbranch_execz .LBB24_101
; %bb.96:
	v_cmp_lt_i64_e32 vcc, 5, v[0:1]
	s_and_saveexec_b64 s[4:5], vcc
	s_xor_b64 s[4:5], exec, s[4:5]
	s_cbranch_execz .LBB24_98
; %bb.97:
	v_mov_b32_e32 v0, 0
	global_store_short v0, v11, s[10:11]
                                        ; implicit-def: $vgpr8
.LBB24_98:
	s_andn2_saveexec_b64 s[4:5], s[4:5]
	s_cbranch_execz .LBB24_100
; %bb.99:
	v_mov_b32_e32 v0, 0
	global_store_short v0, v8, s[10:11]
.LBB24_100:
	s_or_b64 exec, exec, s[4:5]
.LBB24_101:
	s_or_b64 exec, exec, s[2:3]
                                        ; implicit-def: $vgpr0_vgpr1
                                        ; implicit-def: $vgpr7
                                        ; implicit-def: $vgpr6
                                        ; implicit-def: $vgpr4
                                        ; implicit-def: $vgpr9
                                        ; implicit-def: $vgpr5
.LBB24_102:
	s_andn2_saveexec_b64 s[0:1], s[0:1]
	s_cbranch_execz .LBB24_117
; %bb.103:
	v_cmp_lt_i64_e32 vcc, 2, v[0:1]
	s_and_saveexec_b64 s[0:1], vcc
	s_xor_b64 s[0:1], exec, s[0:1]
	s_cbranch_execz .LBB24_109
; %bb.104:
	v_cmp_lt_i64_e32 vcc, 3, v[0:1]
	s_and_saveexec_b64 s[2:3], vcc
	s_xor_b64 s[2:3], exec, s[2:3]
	s_cbranch_execz .LBB24_106
; %bb.105:
	v_mov_b32_e32 v0, 0
	global_store_short v0, v9, s[10:11]
                                        ; implicit-def: $vgpr7
.LBB24_106:
	s_andn2_saveexec_b64 s[2:3], s[2:3]
	s_cbranch_execz .LBB24_108
; %bb.107:
	v_mov_b32_e32 v0, 0
	global_store_short v0, v7, s[10:11]
.LBB24_108:
	s_or_b64 exec, exec, s[2:3]
                                        ; implicit-def: $vgpr0_vgpr1
                                        ; implicit-def: $vgpr6
                                        ; implicit-def: $vgpr4
                                        ; implicit-def: $vgpr5
.LBB24_109:
	s_andn2_saveexec_b64 s[0:1], s[0:1]
	s_cbranch_execz .LBB24_117
; %bb.110:
	v_cmp_lt_i64_e32 vcc, 1, v[0:1]
	s_and_saveexec_b64 s[0:1], vcc
	s_xor_b64 s[0:1], exec, s[0:1]
	s_cbranch_execz .LBB24_112
; %bb.111:
	v_mov_b32_e32 v0, 0
	global_store_short v0, v6, s[10:11]
                                        ; implicit-def: $vgpr4
                                        ; implicit-def: $vgpr0_vgpr1
                                        ; implicit-def: $vgpr5
.LBB24_112:
	s_andn2_saveexec_b64 s[0:1], s[0:1]
	s_cbranch_execz .LBB24_117
; %bb.113:
	v_cmp_ne_u64_e32 vcc, 1, v[0:1]
	s_and_saveexec_b64 s[0:1], vcc
	s_xor_b64 s[0:1], exec, s[0:1]
	s_cbranch_execz .LBB24_115
; %bb.114:
	v_mov_b32_e32 v0, 0
	global_store_short v0, v5, s[10:11]
                                        ; implicit-def: $vgpr4
.LBB24_115:
	s_andn2_saveexec_b64 s[0:1], s[0:1]
	s_cbranch_execz .LBB24_117
; %bb.116:
	v_mov_b32_e32 v0, 0
	global_store_short v0, v4, s[10:11]
.LBB24_117:
	s_endpgm
	.section	.rodata,"a",@progbits
	.p2align	6, 0x0
	.amdhsa_kernel _ZN7rocprim6detail20lookback_scan_kernelILNS0_25lookback_scan_determinismE0ELb0ENS0_19wrapped_scan_configINS_14default_configEsEEN6hipcub22TransformInputIteratorIsNS6_6CastOpIsEEPslEEPfNS6_3MaxEssNS0_19lookback_scan_stateIsLb0ELb1EEEEEvT2_T3_mT5_T4_T7_jPT6_SM_bb
		.amdhsa_group_segment_fixed_size 5120
		.amdhsa_private_segment_fixed_size 0
		.amdhsa_kernarg_size 76
		.amdhsa_user_sgpr_count 6
		.amdhsa_user_sgpr_private_segment_buffer 1
		.amdhsa_user_sgpr_dispatch_ptr 0
		.amdhsa_user_sgpr_queue_ptr 0
		.amdhsa_user_sgpr_kernarg_segment_ptr 1
		.amdhsa_user_sgpr_dispatch_id 0
		.amdhsa_user_sgpr_flat_scratch_init 0
		.amdhsa_user_sgpr_kernarg_preload_length 0
		.amdhsa_user_sgpr_kernarg_preload_offset 0
		.amdhsa_user_sgpr_private_segment_size 0
		.amdhsa_uses_dynamic_stack 0
		.amdhsa_system_sgpr_private_segment_wavefront_offset 0
		.amdhsa_system_sgpr_workgroup_id_x 1
		.amdhsa_system_sgpr_workgroup_id_y 0
		.amdhsa_system_sgpr_workgroup_id_z 0
		.amdhsa_system_sgpr_workgroup_info 0
		.amdhsa_system_vgpr_workitem_id 0
		.amdhsa_next_free_vgpr 40
		.amdhsa_next_free_sgpr 26
		.amdhsa_accum_offset 40
		.amdhsa_reserve_vcc 1
		.amdhsa_reserve_flat_scratch 0
		.amdhsa_float_round_mode_32 0
		.amdhsa_float_round_mode_16_64 0
		.amdhsa_float_denorm_mode_32 3
		.amdhsa_float_denorm_mode_16_64 3
		.amdhsa_dx10_clamp 1
		.amdhsa_ieee_mode 1
		.amdhsa_fp16_overflow 0
		.amdhsa_tg_split 0
		.amdhsa_exception_fp_ieee_invalid_op 0
		.amdhsa_exception_fp_denorm_src 0
		.amdhsa_exception_fp_ieee_div_zero 0
		.amdhsa_exception_fp_ieee_overflow 0
		.amdhsa_exception_fp_ieee_underflow 0
		.amdhsa_exception_fp_ieee_inexact 0
		.amdhsa_exception_int_div_zero 0
	.end_amdhsa_kernel
	.section	.text._ZN7rocprim6detail20lookback_scan_kernelILNS0_25lookback_scan_determinismE0ELb0ENS0_19wrapped_scan_configINS_14default_configEsEEN6hipcub22TransformInputIteratorIsNS6_6CastOpIsEEPslEEPfNS6_3MaxEssNS0_19lookback_scan_stateIsLb0ELb1EEEEEvT2_T3_mT5_T4_T7_jPT6_SM_bb,"axG",@progbits,_ZN7rocprim6detail20lookback_scan_kernelILNS0_25lookback_scan_determinismE0ELb0ENS0_19wrapped_scan_configINS_14default_configEsEEN6hipcub22TransformInputIteratorIsNS6_6CastOpIsEEPslEEPfNS6_3MaxEssNS0_19lookback_scan_stateIsLb0ELb1EEEEEvT2_T3_mT5_T4_T7_jPT6_SM_bb,comdat
.Lfunc_end24:
	.size	_ZN7rocprim6detail20lookback_scan_kernelILNS0_25lookback_scan_determinismE0ELb0ENS0_19wrapped_scan_configINS_14default_configEsEEN6hipcub22TransformInputIteratorIsNS6_6CastOpIsEEPslEEPfNS6_3MaxEssNS0_19lookback_scan_stateIsLb0ELb1EEEEEvT2_T3_mT5_T4_T7_jPT6_SM_bb, .Lfunc_end24-_ZN7rocprim6detail20lookback_scan_kernelILNS0_25lookback_scan_determinismE0ELb0ENS0_19wrapped_scan_configINS_14default_configEsEEN6hipcub22TransformInputIteratorIsNS6_6CastOpIsEEPslEEPfNS6_3MaxEssNS0_19lookback_scan_stateIsLb0ELb1EEEEEvT2_T3_mT5_T4_T7_jPT6_SM_bb
                                        ; -- End function
	.section	.AMDGPU.csdata,"",@progbits
; Kernel info:
; codeLenInByte = 5432
; NumSgprs: 30
; NumVgprs: 40
; NumAgprs: 0
; TotalNumVgprs: 40
; ScratchSize: 0
; MemoryBound: 0
; FloatMode: 240
; IeeeMode: 1
; LDSByteSize: 5120 bytes/workgroup (compile time only)
; SGPRBlocks: 3
; VGPRBlocks: 4
; NumSGPRsForWavesPerEU: 30
; NumVGPRsForWavesPerEU: 40
; AccumOffset: 40
; Occupancy: 8
; WaveLimiterHint : 1
; COMPUTE_PGM_RSRC2:SCRATCH_EN: 0
; COMPUTE_PGM_RSRC2:USER_SGPR: 6
; COMPUTE_PGM_RSRC2:TRAP_HANDLER: 0
; COMPUTE_PGM_RSRC2:TGID_X_EN: 1
; COMPUTE_PGM_RSRC2:TGID_Y_EN: 0
; COMPUTE_PGM_RSRC2:TGID_Z_EN: 0
; COMPUTE_PGM_RSRC2:TIDIG_COMP_CNT: 0
; COMPUTE_PGM_RSRC3_GFX90A:ACCUM_OFFSET: 9
; COMPUTE_PGM_RSRC3_GFX90A:TG_SPLIT: 0
	.section	.text._ZN7rocprim6detail16transform_kernelINS0_24wrapped_transform_configINS_14default_configEsEEsPsS5_NS_8identityIsEEEEvT1_mT2_T3_,"axG",@progbits,_ZN7rocprim6detail16transform_kernelINS0_24wrapped_transform_configINS_14default_configEsEEsPsS5_NS_8identityIsEEEEvT1_mT2_T3_,comdat
	.protected	_ZN7rocprim6detail16transform_kernelINS0_24wrapped_transform_configINS_14default_configEsEEsPsS5_NS_8identityIsEEEEvT1_mT2_T3_ ; -- Begin function _ZN7rocprim6detail16transform_kernelINS0_24wrapped_transform_configINS_14default_configEsEEsPsS5_NS_8identityIsEEEEvT1_mT2_T3_
	.globl	_ZN7rocprim6detail16transform_kernelINS0_24wrapped_transform_configINS_14default_configEsEEsPsS5_NS_8identityIsEEEEvT1_mT2_T3_
	.p2align	8
	.type	_ZN7rocprim6detail16transform_kernelINS0_24wrapped_transform_configINS_14default_configEsEEsPsS5_NS_8identityIsEEEEvT1_mT2_T3_,@function
_ZN7rocprim6detail16transform_kernelINS0_24wrapped_transform_configINS_14default_configEsEEsPsS5_NS_8identityIsEEEEvT1_mT2_T3_: ; @_ZN7rocprim6detail16transform_kernelINS0_24wrapped_transform_configINS_14default_configEsEEsPsS5_NS_8identityIsEEEEvT1_mT2_T3_
; %bb.0:
	s_load_dword s7, s[4:5], 0x20
	s_load_dwordx4 s[0:3], s[4:5], 0x0
	s_load_dwordx2 s[16:17], s[4:5], 0x10
	s_lshl_b32 s4, s6, 9
	s_mov_b32 s5, 0
	s_waitcnt lgkmcnt(0)
	s_add_i32 s7, s7, -1
	s_lshl_b64 s[18:19], s[4:5], 1
	s_add_u32 s0, s0, s18
	s_addc_u32 s1, s1, s19
	v_lshlrev_b32_e32 v8, 1, v0
	v_mov_b32_e32 v1, s1
	v_add_co_u32_e32 v6, vcc, s0, v8
	s_cmp_lg_u32 s6, s7
	v_addc_co_u32_e32 v7, vcc, 0, v1, vcc
	s_cbranch_scc0 .LBB25_2
; %bb.1:
	global_load_ushort v2, v[6:7], off
	global_load_ushort v3, v[6:7], off offset:128
	global_load_ushort v4, v[6:7], off offset:256
	;; [unrolled: 1-line block ×7, first 2 shown]
	s_add_u32 s6, s16, s18
	s_addc_u32 s7, s17, s19
	s_mov_b64 s[20:21], -1
	s_waitcnt vmcnt(7)
	global_store_short v8, v2, s[6:7]
	s_waitcnt vmcnt(7)
	global_store_short v8, v3, s[6:7] offset:128
	s_waitcnt vmcnt(7)
	global_store_short v8, v4, s[6:7] offset:256
	;; [unrolled: 2-line block ×6, first 2 shown]
	s_cbranch_execz .LBB25_3
	s_branch .LBB25_32
.LBB25_2:
	s_mov_b64 s[20:21], 0
                                        ; implicit-def: $vgpr1
.LBB25_3:
	s_sub_i32 s14, s2, s4
	v_cmp_gt_u32_e32 vcc, s14, v0
                                        ; implicit-def: $vgpr2_vgpr3_vgpr4_vgpr5
	s_and_saveexec_b64 s[0:1], vcc
	s_cbranch_execz .LBB25_5
; %bb.4:
	global_load_ushort v2, v[6:7], off
.LBB25_5:
	s_or_b64 exec, exec, s[0:1]
	s_waitcnt vmcnt(7)
	v_or_b32_e32 v1, 64, v0
	v_cmp_gt_u32_e64 s[0:1], s14, v1
	s_and_saveexec_b64 s[2:3], s[0:1]
	s_cbranch_execz .LBB25_7
; %bb.6:
	global_load_ushort v1, v[6:7], off offset:128
	s_mov_b32 s4, 0x5040100
	s_waitcnt vmcnt(0)
	v_perm_b32 v2, v1, v2, s4
.LBB25_7:
	s_or_b64 exec, exec, s[2:3]
	v_or_b32_e32 v1, 0x80, v0
	v_cmp_gt_u32_e64 s[2:3], s14, v1
	s_and_saveexec_b64 s[4:5], s[2:3]
	s_cbranch_execz .LBB25_9
; %bb.8:
	global_load_ushort v1, v[6:7], off offset:256
	s_mov_b32 s6, 0xffff
	s_waitcnt vmcnt(0)
	v_bfi_b32 v3, s6, v1, v3
.LBB25_9:
	s_or_b64 exec, exec, s[4:5]
	v_or_b32_e32 v1, 0xc0, v0
	v_cmp_gt_u32_e64 s[4:5], s14, v1
	s_and_saveexec_b64 s[6:7], s[4:5]
	s_cbranch_execz .LBB25_11
; %bb.10:
	global_load_ushort v1, v[6:7], off offset:384
	s_mov_b32 s8, 0x5040100
	s_waitcnt vmcnt(0)
	v_perm_b32 v3, v1, v3, s8
.LBB25_11:
	s_or_b64 exec, exec, s[6:7]
	v_or_b32_e32 v1, 0x100, v0
	v_cmp_gt_u32_e64 s[6:7], s14, v1
	s_and_saveexec_b64 s[8:9], s[6:7]
	s_cbranch_execz .LBB25_13
; %bb.12:
	global_load_ushort v1, v[6:7], off offset:512
	s_mov_b32 s10, 0xffff
	s_waitcnt vmcnt(0)
	v_bfi_b32 v4, s10, v1, v4
.LBB25_13:
	s_or_b64 exec, exec, s[8:9]
	;; [unrolled: 22-line block ×3, first 2 shown]
	v_or_b32_e32 v0, 0x1c0, v0
	v_cmp_gt_u32_e64 s[12:13], s14, v0
	s_and_saveexec_b64 s[14:15], s[12:13]
	s_cbranch_execz .LBB25_19
; %bb.18:
	global_load_ushort v0, v[6:7], off offset:896
	s_mov_b32 s22, 0x5040100
	s_waitcnt vmcnt(0)
	v_perm_b32 v5, v0, v5, s22
.LBB25_19:
	s_or_b64 exec, exec, s[14:15]
	s_add_u32 s14, s16, s18
	s_addc_u32 s15, s17, s19
	v_mov_b32_e32 v1, s15
	v_add_co_u32_e64 v0, s[14:15], s14, v8
	v_addc_co_u32_e64 v1, s[14:15], 0, v1, s[14:15]
	s_and_saveexec_b64 s[14:15], vcc
	s_cbranch_execnz .LBB25_35
; %bb.20:
	s_or_b64 exec, exec, s[14:15]
	s_and_saveexec_b64 s[14:15], s[0:1]
	s_cbranch_execnz .LBB25_36
.LBB25_21:
	s_or_b64 exec, exec, s[14:15]
	s_mov_b32 s14, 0xffff
	s_and_saveexec_b64 s[0:1], s[2:3]
	s_cbranch_execz .LBB25_23
.LBB25_22:
	global_store_short v[0:1], v3, off offset:256
.LBB25_23:
	s_or_b64 exec, exec, s[0:1]
	s_waitcnt vmcnt(0)
	v_bfi_b32 v2, s14, v3, v3
	v_cndmask_b32_e64 v2, v2, v3, s[4:5]
	s_and_saveexec_b64 s[0:1], s[4:5]
	s_cbranch_execz .LBB25_25
; %bb.24:
	global_store_short_d16_hi v[0:1], v2, off offset:384
.LBB25_25:
	s_or_b64 exec, exec, s[0:1]
	s_mov_b32 s2, 0xffff
	v_cndmask_b32_e64 v2, v4, v4, s[6:7]
	s_and_saveexec_b64 s[0:1], s[6:7]
	s_cbranch_execz .LBB25_27
; %bb.26:
	global_store_short v[0:1], v2, off offset:512
.LBB25_27:
	s_or_b64 exec, exec, s[0:1]
	v_bfi_b32 v2, s2, v2, v4
	v_cndmask_b32_e64 v2, v2, v4, s[8:9]
	s_and_saveexec_b64 s[0:1], s[8:9]
	s_cbranch_execnz .LBB25_37
; %bb.28:
	s_or_b64 exec, exec, s[0:1]
	s_and_saveexec_b64 s[0:1], s[10:11]
	s_cbranch_execnz .LBB25_38
.LBB25_29:
	s_or_b64 exec, exec, s[0:1]
                                        ; implicit-def: $vgpr1
	s_and_saveexec_b64 s[0:1], s[12:13]
.LBB25_30:
	v_cndmask_b32_e64 v0, v5, v5, s[12:13]
	v_lshrrev_b32_e32 v1, 16, v0
	s_or_b64 s[20:21], s[20:21], exec
.LBB25_31:
	s_or_b64 exec, exec, s[0:1]
.LBB25_32:
	s_and_saveexec_b64 s[0:1], s[20:21]
	s_cbranch_execnz .LBB25_34
; %bb.33:
	s_endpgm
.LBB25_34:
	s_add_u32 s0, s16, s18
	s_addc_u32 s1, s17, s19
	s_waitcnt vmcnt(7)
	global_store_short v8, v1, s[0:1] offset:896
	s_endpgm
.LBB25_35:
	s_waitcnt vmcnt(0)
	global_store_short v[0:1], v2, off
	s_or_b64 exec, exec, s[14:15]
	s_and_saveexec_b64 s[14:15], s[0:1]
	s_cbranch_execz .LBB25_21
.LBB25_36:
	s_waitcnt vmcnt(0)
	global_store_short_d16_hi v[0:1], v2, off offset:128
	s_or_b64 exec, exec, s[14:15]
	s_mov_b32 s14, 0xffff
	s_and_saveexec_b64 s[0:1], s[2:3]
	s_cbranch_execnz .LBB25_22
	s_branch .LBB25_23
.LBB25_37:
	global_store_short_d16_hi v[0:1], v2, off offset:640
	s_or_b64 exec, exec, s[0:1]
	s_and_saveexec_b64 s[0:1], s[10:11]
	s_cbranch_execz .LBB25_29
.LBB25_38:
	v_cndmask_b32_e64 v2, v5, v5, s[10:11]
	global_store_short v[0:1], v2, off offset:768
	s_or_b64 exec, exec, s[0:1]
                                        ; implicit-def: $vgpr1
	s_and_saveexec_b64 s[0:1], s[12:13]
	s_cbranch_execnz .LBB25_30
	s_branch .LBB25_31
	.section	.rodata,"a",@progbits
	.p2align	6, 0x0
	.amdhsa_kernel _ZN7rocprim6detail16transform_kernelINS0_24wrapped_transform_configINS_14default_configEsEEsPsS5_NS_8identityIsEEEEvT1_mT2_T3_
		.amdhsa_group_segment_fixed_size 0
		.amdhsa_private_segment_fixed_size 0
		.amdhsa_kernarg_size 288
		.amdhsa_user_sgpr_count 6
		.amdhsa_user_sgpr_private_segment_buffer 1
		.amdhsa_user_sgpr_dispatch_ptr 0
		.amdhsa_user_sgpr_queue_ptr 0
		.amdhsa_user_sgpr_kernarg_segment_ptr 1
		.amdhsa_user_sgpr_dispatch_id 0
		.amdhsa_user_sgpr_flat_scratch_init 0
		.amdhsa_user_sgpr_kernarg_preload_length 0
		.amdhsa_user_sgpr_kernarg_preload_offset 0
		.amdhsa_user_sgpr_private_segment_size 0
		.amdhsa_uses_dynamic_stack 0
		.amdhsa_system_sgpr_private_segment_wavefront_offset 0
		.amdhsa_system_sgpr_workgroup_id_x 1
		.amdhsa_system_sgpr_workgroup_id_y 0
		.amdhsa_system_sgpr_workgroup_id_z 0
		.amdhsa_system_sgpr_workgroup_info 0
		.amdhsa_system_vgpr_workitem_id 0
		.amdhsa_next_free_vgpr 12
		.amdhsa_next_free_sgpr 23
		.amdhsa_accum_offset 12
		.amdhsa_reserve_vcc 1
		.amdhsa_reserve_flat_scratch 0
		.amdhsa_float_round_mode_32 0
		.amdhsa_float_round_mode_16_64 0
		.amdhsa_float_denorm_mode_32 3
		.amdhsa_float_denorm_mode_16_64 3
		.amdhsa_dx10_clamp 1
		.amdhsa_ieee_mode 1
		.amdhsa_fp16_overflow 0
		.amdhsa_tg_split 0
		.amdhsa_exception_fp_ieee_invalid_op 0
		.amdhsa_exception_fp_denorm_src 0
		.amdhsa_exception_fp_ieee_div_zero 0
		.amdhsa_exception_fp_ieee_overflow 0
		.amdhsa_exception_fp_ieee_underflow 0
		.amdhsa_exception_fp_ieee_inexact 0
		.amdhsa_exception_int_div_zero 0
	.end_amdhsa_kernel
	.section	.text._ZN7rocprim6detail16transform_kernelINS0_24wrapped_transform_configINS_14default_configEsEEsPsS5_NS_8identityIsEEEEvT1_mT2_T3_,"axG",@progbits,_ZN7rocprim6detail16transform_kernelINS0_24wrapped_transform_configINS_14default_configEsEEsPsS5_NS_8identityIsEEEEvT1_mT2_T3_,comdat
.Lfunc_end25:
	.size	_ZN7rocprim6detail16transform_kernelINS0_24wrapped_transform_configINS_14default_configEsEEsPsS5_NS_8identityIsEEEEvT1_mT2_T3_, .Lfunc_end25-_ZN7rocprim6detail16transform_kernelINS0_24wrapped_transform_configINS_14default_configEsEEsPsS5_NS_8identityIsEEEEvT1_mT2_T3_
                                        ; -- End function
	.section	.AMDGPU.csdata,"",@progbits
; Kernel info:
; codeLenInByte = 1036
; NumSgprs: 27
; NumVgprs: 12
; NumAgprs: 0
; TotalNumVgprs: 12
; ScratchSize: 0
; MemoryBound: 0
; FloatMode: 240
; IeeeMode: 1
; LDSByteSize: 0 bytes/workgroup (compile time only)
; SGPRBlocks: 3
; VGPRBlocks: 1
; NumSGPRsForWavesPerEU: 27
; NumVGPRsForWavesPerEU: 12
; AccumOffset: 12
; Occupancy: 8
; WaveLimiterHint : 1
; COMPUTE_PGM_RSRC2:SCRATCH_EN: 0
; COMPUTE_PGM_RSRC2:USER_SGPR: 6
; COMPUTE_PGM_RSRC2:TRAP_HANDLER: 0
; COMPUTE_PGM_RSRC2:TGID_X_EN: 1
; COMPUTE_PGM_RSRC2:TGID_Y_EN: 0
; COMPUTE_PGM_RSRC2:TGID_Z_EN: 0
; COMPUTE_PGM_RSRC2:TIDIG_COMP_CNT: 0
; COMPUTE_PGM_RSRC3_GFX90A:ACCUM_OFFSET: 2
; COMPUTE_PGM_RSRC3_GFX90A:TG_SPLIT: 0
	.section	.text._ZN7rocprim6detail18single_scan_kernelILb0ENS0_19wrapped_scan_configINS_14default_configEsEEN6hipcub22TransformInputIteratorIsNS5_6CastOpIsEEPslEEPfNS5_3MaxEssEEvT1_mT4_T2_T3_,"axG",@progbits,_ZN7rocprim6detail18single_scan_kernelILb0ENS0_19wrapped_scan_configINS_14default_configEsEEN6hipcub22TransformInputIteratorIsNS5_6CastOpIsEEPslEEPfNS5_3MaxEssEEvT1_mT4_T2_T3_,comdat
	.protected	_ZN7rocprim6detail18single_scan_kernelILb0ENS0_19wrapped_scan_configINS_14default_configEsEEN6hipcub22TransformInputIteratorIsNS5_6CastOpIsEEPslEEPfNS5_3MaxEssEEvT1_mT4_T2_T3_ ; -- Begin function _ZN7rocprim6detail18single_scan_kernelILb0ENS0_19wrapped_scan_configINS_14default_configEsEEN6hipcub22TransformInputIteratorIsNS5_6CastOpIsEEPslEEPfNS5_3MaxEssEEvT1_mT4_T2_T3_
	.globl	_ZN7rocprim6detail18single_scan_kernelILb0ENS0_19wrapped_scan_configINS_14default_configEsEEN6hipcub22TransformInputIteratorIsNS5_6CastOpIsEEPslEEPfNS5_3MaxEssEEvT1_mT4_T2_T3_
	.p2align	8
	.type	_ZN7rocprim6detail18single_scan_kernelILb0ENS0_19wrapped_scan_configINS_14default_configEsEEN6hipcub22TransformInputIteratorIsNS5_6CastOpIsEEPslEEPfNS5_3MaxEssEEvT1_mT4_T2_T3_,@function
_ZN7rocprim6detail18single_scan_kernelILb0ENS0_19wrapped_scan_configINS_14default_configEsEEN6hipcub22TransformInputIteratorIsNS5_6CastOpIsEEPslEEPfNS5_3MaxEssEEvT1_mT4_T2_T3_: ; @_ZN7rocprim6detail18single_scan_kernelILb0ENS0_19wrapped_scan_configINS_14default_configEsEEN6hipcub22TransformInputIteratorIsNS5_6CastOpIsEEPslEEPfNS5_3MaxEssEEvT1_mT4_T2_T3_
; %bb.0:
	s_load_dwordx2 s[0:1], s[4:5], 0x0
	s_load_dword s22, s[4:5], 0x10
	v_mov_b32_e32 v1, 0
	v_lshlrev_b32_e32 v12, 1, v0
	s_waitcnt lgkmcnt(0)
	global_load_ushort v1, v1, s[0:1]
	v_mov_b32_e32 v2, s1
	v_add_co_u32_e32 v10, vcc, s0, v12
	v_addc_co_u32_e32 v11, vcc, 0, v2, vcc
	v_cmp_gt_u32_e64 s[0:1], s22, v0
	s_waitcnt vmcnt(0)
	v_and_b32_e32 v2, 0xffff, v1
	v_lshl_or_b32 v2, v1, 16, v2
	v_mov_b32_e32 v3, v2
	v_mov_b32_e32 v4, v2
	;; [unrolled: 1-line block ×4, first 2 shown]
	s_and_saveexec_b64 s[2:3], s[0:1]
	s_cbranch_execz .LBB26_2
; %bb.1:
	global_load_ushort v1, v[10:11], off
	s_mov_b32 s6, 0xffff
	v_mov_b32_e32 v5, v2
	v_mov_b32_e32 v6, v2
	;; [unrolled: 1-line block ×4, first 2 shown]
	s_waitcnt vmcnt(0)
	v_bfi_b32 v4, s6, v1, v2
	v_pk_mov_b32 v[2:3], v[4:5], v[4:5] op_sel:[0,1]
	v_pk_mov_b32 v[4:5], v[6:7], v[6:7] op_sel:[0,1]
	;; [unrolled: 1-line block ×4, first 2 shown]
.LBB26_2:
	s_or_b64 exec, exec, s[2:3]
	v_or_b32_e32 v7, 0x100, v0
	v_cmp_gt_u32_e64 s[2:3], s22, v7
	s_and_saveexec_b64 s[6:7], s[2:3]
	s_cbranch_execz .LBB26_4
; %bb.3:
	global_load_ushort v7, v[10:11], off offset:512
	s_mov_b32 s8, 0x5040100
	s_waitcnt vmcnt(0)
	v_perm_b32 v2, v7, v2, s8
.LBB26_4:
	s_or_b64 exec, exec, s[6:7]
	v_or_b32_e32 v7, 0x200, v0
	v_cmp_gt_u32_e64 s[6:7], s22, v7
	s_and_saveexec_b64 s[8:9], s[6:7]
	s_cbranch_execz .LBB26_6
; %bb.5:
	global_load_ushort v7, v[10:11], off offset:1024
	s_mov_b32 s10, 0xffff
	s_waitcnt vmcnt(0)
	v_bfi_b32 v3, s10, v7, v3
.LBB26_6:
	s_or_b64 exec, exec, s[8:9]
	v_or_b32_e32 v7, 0x300, v0
	v_cmp_gt_u32_e64 s[8:9], s22, v7
	s_and_saveexec_b64 s[10:11], s[8:9]
	s_cbranch_execz .LBB26_8
; %bb.7:
	global_load_ushort v7, v[10:11], off offset:1536
	s_mov_b32 s12, 0x5040100
	s_waitcnt vmcnt(0)
	v_perm_b32 v3, v7, v3, s12
.LBB26_8:
	s_or_b64 exec, exec, s[10:11]
	v_or_b32_e32 v7, 0x400, v0
	v_cmp_gt_u32_e64 s[10:11], s22, v7
	s_and_saveexec_b64 s[12:13], s[10:11]
	s_cbranch_execz .LBB26_10
; %bb.9:
	global_load_ushort v7, v[10:11], off offset:2048
	s_mov_b32 s14, 0xffff
	s_waitcnt vmcnt(0)
	v_bfi_b32 v4, s14, v7, v4
.LBB26_10:
	;; [unrolled: 22-line block ×3, first 2 shown]
	s_or_b64 exec, exec, s[16:17]
	v_or_b32_e32 v7, 0x700, v0
	v_cmp_gt_u32_e64 s[16:17], s22, v7
	s_and_saveexec_b64 s[18:19], s[16:17]
	s_cbranch_execz .LBB26_16
; %bb.15:
	global_load_ushort v7, v[10:11], off offset:3584
	s_mov_b32 s20, 0x5040100
	s_waitcnt vmcnt(0)
	v_perm_b32 v5, v7, v5, s20
.LBB26_16:
	s_or_b64 exec, exec, s[18:19]
	v_or_b32_e32 v7, 0x800, v0
	v_cmp_gt_u32_e64 s[18:19], s22, v7
	s_and_saveexec_b64 s[20:21], s[18:19]
	s_cbranch_execz .LBB26_18
; %bb.17:
	v_add_co_u32_e32 v8, vcc, 0x1000, v10
	v_addc_co_u32_e32 v9, vcc, 0, v11, vcc
	global_load_ushort v7, v[8:9], off
	s_mov_b32 s23, 0xffff
	s_waitcnt vmcnt(0)
	v_bfi_b32 v6, s23, v7, v6
.LBB26_18:
	s_or_b64 exec, exec, s[20:21]
	v_or_b32_e32 v7, 0x900, v0
	v_cmp_gt_u32_e64 s[20:21], s22, v7
	s_and_saveexec_b64 s[22:23], s[20:21]
	s_cbranch_execz .LBB26_20
; %bb.19:
	v_add_co_u32_e32 v8, vcc, 0x1000, v10
	v_addc_co_u32_e32 v9, vcc, 0, v11, vcc
	global_load_ushort v7, v[8:9], off offset:512
	s_mov_b32 s24, 0x5040100
	s_waitcnt vmcnt(0)
	v_perm_b32 v6, v7, v6, s24
.LBB26_20:
	s_or_b64 exec, exec, s[22:23]
	ds_write_b16 v12, v1
	ds_write_b16_d16_hi v12, v2 offset:512
	ds_write_b16 v12, v3 offset:1024
	ds_write_b16_d16_hi v12, v3 offset:1536
	ds_write_b16 v12, v4 offset:2048
	;; [unrolled: 2-line block ×4, first 2 shown]
	ds_write_b16_d16_hi v12, v6 offset:4608
	v_mad_u32_u24 v1, v0, 18, v12
	s_waitcnt lgkmcnt(0)
	s_barrier
	ds_read2_b32 v[4:5], v1 offset1:1
	ds_read2_b32 v[2:3], v1 offset0:2 offset1:3
	ds_read_b32 v7, v1 offset:16
	s_waitcnt lgkmcnt(0)
	s_barrier
	v_lshrrev_b32_e32 v11, 16, v5
	v_max_i16_sdwa v6, v4, v4 dst_sel:DWORD dst_unused:UNUSED_PAD src0_sel:DWORD src1_sel:WORD_1
	v_lshrrev_b32_e32 v10, 16, v2
	v_max3_i16 v6, v6, v5, v11
	v_lshrrev_b32_e32 v9, 16, v3
	v_max3_i16 v6, v6, v2, v10
	;; [unrolled: 2-line block ×3, first 2 shown]
	v_max3_i16 v13, v6, v7, v8
	v_lshrrev_b32_e32 v6, 4, v0
	v_and_b32_e32 v6, 14, v6
	v_add_u32_e32 v6, v12, v6
	ds_write_b16 v6, v13
	v_cmp_gt_u32_e32 vcc, 64, v0
	v_lshlrev_b32_e32 v6, 2, v0
	s_waitcnt lgkmcnt(0)
	s_barrier
	s_and_saveexec_b64 s[22:23], vcc
	s_cbranch_execz .LBB26_22
; %bb.21:
	v_lshrrev_b32_e32 v14, 3, v0
	v_add_lshl_u32 v16, v14, v6, 1
	ds_read_b64 v[14:15], v16
	v_mbcnt_lo_u32_b32 v17, -1, 0
	v_mbcnt_hi_u32_b32 v17, -1, v17
	v_and_b32_e32 v18, 15, v17
	v_cmp_eq_u32_e32 vcc, 0, v18
	s_waitcnt lgkmcnt(0)
	v_lshrrev_b32_e32 v19, 16, v15
	v_max_i16_sdwa v20, v14, v14 dst_sel:DWORD dst_unused:UNUSED_PAD src0_sel:DWORD src1_sel:WORD_1
	v_max3_i16 v20, v20, v15, v19
	v_and_b32_e32 v21, 0xffff, v20
	s_mov_b32 s24, 0x5040100
	s_nop 0
	v_mov_b32_dpp v21, v21 row_shr:1 row_mask:0xf bank_mask:0xf
	v_max_i16_e32 v21, v21, v20
	v_cndmask_b32_e32 v20, v21, v20, vcc
	v_and_b32_e32 v21, 0xffff, v20
	v_cmp_lt_u32_e32 vcc, 1, v18
	s_nop 0
	v_mov_b32_dpp v21, v21 row_shr:2 row_mask:0xf bank_mask:0xf
	v_max_i16_e32 v21, v21, v20
	v_cndmask_b32_e32 v20, v20, v21, vcc
	v_and_b32_e32 v21, 0xffff, v20
	v_cmp_lt_u32_e32 vcc, 3, v18
	;; [unrolled: 6-line block ×3, first 2 shown]
	s_nop 0
	v_mov_b32_dpp v21, v21 row_shr:8 row_mask:0xf bank_mask:0xf
	v_max_i16_e32 v21, v21, v20
	v_cndmask_b32_e32 v18, v20, v21, vcc
	v_and_b32_e32 v20, 0xffff, v18
	v_and_b32_e32 v21, 16, v17
	v_cmp_eq_u32_e32 vcc, 0, v21
	v_mov_b32_dpp v20, v20 row_bcast:15 row_mask:0xf bank_mask:0xf
	v_max_i16_e32 v20, v20, v18
	v_cndmask_b32_e32 v18, v20, v18, vcc
	v_and_b32_e32 v20, 0xffff, v18
	v_cmp_lt_u32_e32 vcc, 31, v17
	v_and_b32_e32 v21, 64, v17
	v_mov_b32_dpp v20, v20 row_bcast:31 row_mask:0xf bank_mask:0xf
	v_max_i16_e32 v20, v20, v18
	v_cndmask_b32_e32 v18, v18, v20, vcc
	v_add_u32_e32 v20, -1, v17
	v_cmp_lt_i32_e32 vcc, v20, v21
	v_cndmask_b32_e32 v17, v20, v17, vcc
	v_and_b32_e32 v18, 0xffff, v18
	v_lshlrev_b32_e32 v17, 2, v17
	ds_bpermute_b32 v17, v17, v18
	v_cmp_eq_u32_e32 vcc, 0, v0
	s_waitcnt lgkmcnt(0)
	v_max_i16_e32 v17, v17, v14
	v_cndmask_b32_e32 v17, v17, v13, vcc
	v_max_i16_sdwa v14, v17, v14 dst_sel:DWORD dst_unused:UNUSED_PAD src0_sel:DWORD src1_sel:WORD_1
	v_max_i16_e32 v15, v14, v15
	v_max_i16_e32 v18, v15, v19
	v_perm_b32 v14, v14, v17, s24
	v_perm_b32 v15, v18, v15, s24
	ds_write_b64 v16, v[14:15]
.LBB26_22:
	s_or_b64 exec, exec, s[22:23]
	v_cmp_eq_u32_e32 vcc, 0, v0
	v_cmp_ne_u32_e64 s[22:23], 0, v0
	s_waitcnt lgkmcnt(0)
	s_barrier
	s_and_saveexec_b64 s[24:25], s[22:23]
	s_cbranch_execz .LBB26_24
; %bb.23:
	v_add_u32_e32 v13, -1, v0
	v_lshrrev_b32_e32 v14, 5, v13
	v_add_lshl_u32 v13, v14, v13, 1
	ds_read_u16 v13, v13
.LBB26_24:
	s_or_b64 exec, exec, s[24:25]
	s_waitcnt lgkmcnt(0)
	v_max_i16_e32 v13, v13, v4
	v_cndmask_b32_e32 v13, v13, v4, vcc
	v_max_i16_sdwa v4, v13, v4 dst_sel:DWORD dst_unused:UNUSED_PAD src0_sel:DWORD src1_sel:WORD_1
	v_max_i16_e32 v5, v4, v5
	v_max_i16_e32 v11, v5, v11
	;; [unrolled: 1-line block ×7, first 2 shown]
	s_mov_b32 s22, 0x5040100
	v_max_i16_e32 v8, v7, v8
	v_perm_b32 v2, v10, v2, s22
	v_perm_b32 v3, v9, v3, s22
	s_barrier
	v_perm_b32 v4, v4, v13, s22
	v_perm_b32 v5, v11, v5, s22
	ds_write2_b32 v1, v2, v3 offset0:2 offset1:3
	v_perm_b32 v2, v8, v7, s22
	s_movk_i32 s22, 0xffee
	ds_write2_b32 v1, v4, v5 offset1:1
	ds_write_b32 v1, v2 offset:16
	s_waitcnt lgkmcnt(0)
	s_barrier
	v_mad_i32_i24 v0, v0, s22, v1
	ds_read_u16 v8, v12 offset:2048
	ds_read_u16 v10, v0 offset:1024
	;; [unrolled: 1-line block ×9, first 2 shown]
	s_load_dwordx2 s[4:5], s[4:5], 0x20
	s_waitcnt lgkmcnt(0)
	v_mov_b32_e32 v1, s5
	v_add_co_u32_e32 v0, vcc, s4, v6
	v_addc_co_u32_e32 v1, vcc, 0, v1, vcc
	s_and_saveexec_b64 s[4:5], s[0:1]
	s_cbranch_execnz .LBB26_35
; %bb.25:
	s_or_b64 exec, exec, s[4:5]
	s_and_saveexec_b64 s[0:1], s[2:3]
	s_cbranch_execnz .LBB26_36
.LBB26_26:
	s_or_b64 exec, exec, s[0:1]
	s_and_saveexec_b64 s[0:1], s[6:7]
	s_cbranch_execnz .LBB26_37
.LBB26_27:
	s_or_b64 exec, exec, s[0:1]
	s_and_saveexec_b64 s[0:1], s[8:9]
	s_cbranch_execnz .LBB26_38
.LBB26_28:
	s_or_b64 exec, exec, s[0:1]
	s_and_saveexec_b64 s[0:1], s[10:11]
	s_cbranch_execnz .LBB26_39
.LBB26_29:
	s_or_b64 exec, exec, s[0:1]
	s_and_saveexec_b64 s[0:1], s[12:13]
	s_cbranch_execnz .LBB26_40
.LBB26_30:
	s_or_b64 exec, exec, s[0:1]
	s_and_saveexec_b64 s[0:1], s[14:15]
	s_cbranch_execnz .LBB26_41
.LBB26_31:
	s_or_b64 exec, exec, s[0:1]
	s_and_saveexec_b64 s[0:1], s[16:17]
	s_cbranch_execnz .LBB26_42
.LBB26_32:
	s_or_b64 exec, exec, s[0:1]
	s_and_saveexec_b64 s[0:1], s[18:19]
	s_cbranch_execnz .LBB26_43
.LBB26_33:
	s_or_b64 exec, exec, s[0:1]
	s_and_saveexec_b64 s[0:1], s[20:21]
	s_cbranch_execnz .LBB26_44
.LBB26_34:
	s_endpgm
.LBB26_35:
	ds_read_i16 v6, v12
	s_waitcnt lgkmcnt(0)
	v_cvt_f32_i32_e32 v6, v6
	global_store_dword v[0:1], v6, off
	s_or_b64 exec, exec, s[4:5]
	s_and_saveexec_b64 s[0:1], s[2:3]
	s_cbranch_execz .LBB26_26
.LBB26_36:
	v_cvt_f32_i32_sdwa v6, sext(v11) dst_sel:DWORD dst_unused:UNUSED_PAD src0_sel:WORD_0
	global_store_dword v[0:1], v6, off offset:1024
	s_or_b64 exec, exec, s[0:1]
	s_and_saveexec_b64 s[0:1], s[6:7]
	s_cbranch_execz .LBB26_27
.LBB26_37:
	v_cvt_f32_i32_sdwa v6, sext(v10) dst_sel:DWORD dst_unused:UNUSED_PAD src0_sel:WORD_0
	global_store_dword v[0:1], v6, off offset:2048
	s_or_b64 exec, exec, s[0:1]
	s_and_saveexec_b64 s[0:1], s[8:9]
	s_cbranch_execz .LBB26_28
.LBB26_38:
	v_cvt_f32_i32_sdwa v6, sext(v9) dst_sel:DWORD dst_unused:UNUSED_PAD src0_sel:WORD_0
	global_store_dword v[0:1], v6, off offset:3072
	s_or_b64 exec, exec, s[0:1]
	s_and_saveexec_b64 s[0:1], s[10:11]
	s_cbranch_execz .LBB26_29
.LBB26_39:
	v_cvt_f32_i32_sdwa v6, sext(v8) dst_sel:DWORD dst_unused:UNUSED_PAD src0_sel:WORD_0
	v_add_co_u32_e32 v8, vcc, 0x1000, v0
	v_addc_co_u32_e32 v9, vcc, 0, v1, vcc
	global_store_dword v[8:9], v6, off
	s_or_b64 exec, exec, s[0:1]
	s_and_saveexec_b64 s[0:1], s[12:13]
	s_cbranch_execz .LBB26_30
.LBB26_40:
	v_cvt_f32_i32_sdwa v8, sext(v7) dst_sel:DWORD dst_unused:UNUSED_PAD src0_sel:WORD_0
	v_add_co_u32_e32 v6, vcc, 0x1000, v0
	v_addc_co_u32_e32 v7, vcc, 0, v1, vcc
	global_store_dword v[6:7], v8, off offset:1024
	s_or_b64 exec, exec, s[0:1]
	s_and_saveexec_b64 s[0:1], s[14:15]
	s_cbranch_execz .LBB26_31
.LBB26_41:
	v_cvt_f32_i32_sdwa v5, sext(v5) dst_sel:DWORD dst_unused:UNUSED_PAD src0_sel:WORD_0
	v_add_co_u32_e32 v6, vcc, 0x1000, v0
	v_addc_co_u32_e32 v7, vcc, 0, v1, vcc
	global_store_dword v[6:7], v5, off offset:2048
	s_or_b64 exec, exec, s[0:1]
	s_and_saveexec_b64 s[0:1], s[16:17]
	s_cbranch_execz .LBB26_32
.LBB26_42:
	v_cvt_f32_i32_sdwa v6, sext(v4) dst_sel:DWORD dst_unused:UNUSED_PAD src0_sel:WORD_0
	v_add_co_u32_e32 v4, vcc, 0x1000, v0
	v_addc_co_u32_e32 v5, vcc, 0, v1, vcc
	global_store_dword v[4:5], v6, off offset:3072
	s_or_b64 exec, exec, s[0:1]
	s_and_saveexec_b64 s[0:1], s[18:19]
	s_cbranch_execz .LBB26_33
.LBB26_43:
	v_cvt_f32_i32_sdwa v3, sext(v3) dst_sel:DWORD dst_unused:UNUSED_PAD src0_sel:WORD_0
	v_add_co_u32_e32 v4, vcc, 0x2000, v0
	v_addc_co_u32_e32 v5, vcc, 0, v1, vcc
	global_store_dword v[4:5], v3, off
	s_or_b64 exec, exec, s[0:1]
	s_and_saveexec_b64 s[0:1], s[20:21]
	s_cbranch_execz .LBB26_34
.LBB26_44:
	v_cvt_f32_i32_sdwa v2, sext(v2) dst_sel:DWORD dst_unused:UNUSED_PAD src0_sel:WORD_0
	v_add_co_u32_e32 v0, vcc, 0x2000, v0
	v_addc_co_u32_e32 v1, vcc, 0, v1, vcc
	global_store_dword v[0:1], v2, off offset:1024
	s_endpgm
	.section	.rodata,"a",@progbits
	.p2align	6, 0x0
	.amdhsa_kernel _ZN7rocprim6detail18single_scan_kernelILb0ENS0_19wrapped_scan_configINS_14default_configEsEEN6hipcub22TransformInputIteratorIsNS5_6CastOpIsEEPslEEPfNS5_3MaxEssEEvT1_mT4_T2_T3_
		.amdhsa_group_segment_fixed_size 5120
		.amdhsa_private_segment_fixed_size 0
		.amdhsa_kernarg_size 44
		.amdhsa_user_sgpr_count 6
		.amdhsa_user_sgpr_private_segment_buffer 1
		.amdhsa_user_sgpr_dispatch_ptr 0
		.amdhsa_user_sgpr_queue_ptr 0
		.amdhsa_user_sgpr_kernarg_segment_ptr 1
		.amdhsa_user_sgpr_dispatch_id 0
		.amdhsa_user_sgpr_flat_scratch_init 0
		.amdhsa_user_sgpr_kernarg_preload_length 0
		.amdhsa_user_sgpr_kernarg_preload_offset 0
		.amdhsa_user_sgpr_private_segment_size 0
		.amdhsa_uses_dynamic_stack 0
		.amdhsa_system_sgpr_private_segment_wavefront_offset 0
		.amdhsa_system_sgpr_workgroup_id_x 1
		.amdhsa_system_sgpr_workgroup_id_y 0
		.amdhsa_system_sgpr_workgroup_id_z 0
		.amdhsa_system_sgpr_workgroup_info 0
		.amdhsa_system_vgpr_workitem_id 0
		.amdhsa_next_free_vgpr 22
		.amdhsa_next_free_sgpr 26
		.amdhsa_accum_offset 24
		.amdhsa_reserve_vcc 1
		.amdhsa_reserve_flat_scratch 0
		.amdhsa_float_round_mode_32 0
		.amdhsa_float_round_mode_16_64 0
		.amdhsa_float_denorm_mode_32 3
		.amdhsa_float_denorm_mode_16_64 3
		.amdhsa_dx10_clamp 1
		.amdhsa_ieee_mode 1
		.amdhsa_fp16_overflow 0
		.amdhsa_tg_split 0
		.amdhsa_exception_fp_ieee_invalid_op 0
		.amdhsa_exception_fp_denorm_src 0
		.amdhsa_exception_fp_ieee_div_zero 0
		.amdhsa_exception_fp_ieee_overflow 0
		.amdhsa_exception_fp_ieee_underflow 0
		.amdhsa_exception_fp_ieee_inexact 0
		.amdhsa_exception_int_div_zero 0
	.end_amdhsa_kernel
	.section	.text._ZN7rocprim6detail18single_scan_kernelILb0ENS0_19wrapped_scan_configINS_14default_configEsEEN6hipcub22TransformInputIteratorIsNS5_6CastOpIsEEPslEEPfNS5_3MaxEssEEvT1_mT4_T2_T3_,"axG",@progbits,_ZN7rocprim6detail18single_scan_kernelILb0ENS0_19wrapped_scan_configINS_14default_configEsEEN6hipcub22TransformInputIteratorIsNS5_6CastOpIsEEPslEEPfNS5_3MaxEssEEvT1_mT4_T2_T3_,comdat
.Lfunc_end26:
	.size	_ZN7rocprim6detail18single_scan_kernelILb0ENS0_19wrapped_scan_configINS_14default_configEsEEN6hipcub22TransformInputIteratorIsNS5_6CastOpIsEEPslEEPfNS5_3MaxEssEEvT1_mT4_T2_T3_, .Lfunc_end26-_ZN7rocprim6detail18single_scan_kernelILb0ENS0_19wrapped_scan_configINS_14default_configEsEEN6hipcub22TransformInputIteratorIsNS5_6CastOpIsEEPslEEPfNS5_3MaxEssEEvT1_mT4_T2_T3_
                                        ; -- End function
	.section	.AMDGPU.csdata,"",@progbits
; Kernel info:
; codeLenInByte = 2064
; NumSgprs: 30
; NumVgprs: 22
; NumAgprs: 0
; TotalNumVgprs: 22
; ScratchSize: 0
; MemoryBound: 0
; FloatMode: 240
; IeeeMode: 1
; LDSByteSize: 5120 bytes/workgroup (compile time only)
; SGPRBlocks: 3
; VGPRBlocks: 2
; NumSGPRsForWavesPerEU: 30
; NumVGPRsForWavesPerEU: 22
; AccumOffset: 24
; Occupancy: 8
; WaveLimiterHint : 0
; COMPUTE_PGM_RSRC2:SCRATCH_EN: 0
; COMPUTE_PGM_RSRC2:USER_SGPR: 6
; COMPUTE_PGM_RSRC2:TRAP_HANDLER: 0
; COMPUTE_PGM_RSRC2:TGID_X_EN: 1
; COMPUTE_PGM_RSRC2:TGID_Y_EN: 0
; COMPUTE_PGM_RSRC2:TGID_Z_EN: 0
; COMPUTE_PGM_RSRC2:TIDIG_COMP_CNT: 0
; COMPUTE_PGM_RSRC3_GFX90A:ACCUM_OFFSET: 5
; COMPUTE_PGM_RSRC3_GFX90A:TG_SPLIT: 0
	.section	.text._ZN7rocprim6detail31init_lookback_scan_state_kernelINS0_19lookback_scan_stateImLb1ELb1EEEEEvT_jjPNS4_10value_typeE,"axG",@progbits,_ZN7rocprim6detail31init_lookback_scan_state_kernelINS0_19lookback_scan_stateImLb1ELb1EEEEEvT_jjPNS4_10value_typeE,comdat
	.protected	_ZN7rocprim6detail31init_lookback_scan_state_kernelINS0_19lookback_scan_stateImLb1ELb1EEEEEvT_jjPNS4_10value_typeE ; -- Begin function _ZN7rocprim6detail31init_lookback_scan_state_kernelINS0_19lookback_scan_stateImLb1ELb1EEEEEvT_jjPNS4_10value_typeE
	.globl	_ZN7rocprim6detail31init_lookback_scan_state_kernelINS0_19lookback_scan_stateImLb1ELb1EEEEEvT_jjPNS4_10value_typeE
	.p2align	8
	.type	_ZN7rocprim6detail31init_lookback_scan_state_kernelINS0_19lookback_scan_stateImLb1ELb1EEEEEvT_jjPNS4_10value_typeE,@function
_ZN7rocprim6detail31init_lookback_scan_state_kernelINS0_19lookback_scan_stateImLb1ELb1EEEEEvT_jjPNS4_10value_typeE: ; @_ZN7rocprim6detail31init_lookback_scan_state_kernelINS0_19lookback_scan_stateImLb1ELb1EEEEEvT_jjPNS4_10value_typeE
; %bb.0:
	s_load_dword s7, s[4:5], 0x24
	s_load_dwordx2 s[8:9], s[4:5], 0x10
	s_load_dwordx4 s[0:3], s[4:5], 0x0
	s_waitcnt lgkmcnt(0)
	s_and_b32 s4, s7, 0xffff
	s_mul_i32 s6, s6, s4
	s_cmp_eq_u64 s[8:9], 0
	v_add_u32_e32 v0, s6, v0
	s_cbranch_scc1 .LBB27_10
; %bb.1:
	s_cmp_lt_u32 s3, s2
	s_cselect_b32 s4, s3, 0
	s_mov_b32 s7, 0
	v_cmp_eq_u32_e32 vcc, s4, v0
	s_and_saveexec_b64 s[4:5], vcc
	s_cbranch_execz .LBB27_9
; %bb.2:
	s_add_i32 s6, s3, 64
	s_lshl_b64 s[6:7], s[6:7], 4
	s_add_u32 s12, s0, s6
	s_addc_u32 s13, s1, s7
	v_pk_mov_b32 v[2:3], s[12:13], s[12:13] op_sel:[0,1]
	;;#ASMSTART
	global_load_dwordx4 v[2:5], v[2:3] off glc	
s_waitcnt vmcnt(0)
	;;#ASMEND
	v_mov_b32_e32 v7, 0
	v_and_b32_e32 v6, 0xff, v4
	s_mov_b64 s[10:11], 0
	v_cmp_eq_u64_e32 vcc, 0, v[6:7]
	s_and_saveexec_b64 s[6:7], vcc
	s_cbranch_execz .LBB27_8
; %bb.3:
	s_mov_b32 s3, 1
	v_pk_mov_b32 v[8:9], s[12:13], s[12:13] op_sel:[0,1]
.LBB27_4:                               ; =>This Loop Header: Depth=1
                                        ;     Child Loop BB27_5 Depth 2
	s_max_u32 s12, s3, 1
.LBB27_5:                               ;   Parent Loop BB27_4 Depth=1
                                        ; =>  This Inner Loop Header: Depth=2
	s_add_i32 s12, s12, -1
	s_cmp_eq_u32 s12, 0
	s_sleep 1
	s_cbranch_scc0 .LBB27_5
; %bb.6:                                ;   in Loop: Header=BB27_4 Depth=1
	s_cmp_lt_u32 s3, 32
	s_cselect_b64 s[12:13], -1, 0
	s_cmp_lg_u64 s[12:13], 0
	;;#ASMSTART
	global_load_dwordx4 v[2:5], v[8:9] off glc	
s_waitcnt vmcnt(0)
	;;#ASMEND
	v_and_b32_e32 v6, 0xff, v4
	s_addc_u32 s3, s3, 0
	v_cmp_ne_u64_e32 vcc, 0, v[6:7]
	s_or_b64 s[10:11], vcc, s[10:11]
	s_andn2_b64 exec, exec, s[10:11]
	s_cbranch_execnz .LBB27_4
; %bb.7:
	s_or_b64 exec, exec, s[10:11]
.LBB27_8:
	s_or_b64 exec, exec, s[6:7]
	v_mov_b32_e32 v1, 0
	global_store_dwordx2 v1, v[2:3], s[8:9]
.LBB27_9:
	s_or_b64 exec, exec, s[4:5]
.LBB27_10:
	v_cmp_gt_u32_e32 vcc, s2, v0
	s_and_saveexec_b64 s[2:3], vcc
	s_cbranch_execnz .LBB27_13
; %bb.11:
	s_or_b64 exec, exec, s[2:3]
	v_cmp_gt_u32_e32 vcc, 64, v0
	s_and_saveexec_b64 s[2:3], vcc
	s_cbranch_execnz .LBB27_14
.LBB27_12:
	s_endpgm
.LBB27_13:
	v_add_u32_e32 v2, 64, v0
	v_mov_b32_e32 v3, 0
	v_lshlrev_b64 v[4:5], 4, v[2:3]
	v_mov_b32_e32 v1, s1
	v_add_co_u32_e32 v6, vcc, s0, v4
	v_addc_co_u32_e32 v7, vcc, v1, v5, vcc
	v_mov_b32_e32 v2, v3
	v_mov_b32_e32 v4, v3
	;; [unrolled: 1-line block ×3, first 2 shown]
	global_store_dwordx4 v[6:7], v[2:5], off
	s_or_b64 exec, exec, s[2:3]
	v_cmp_gt_u32_e32 vcc, 64, v0
	s_and_saveexec_b64 s[2:3], vcc
	s_cbranch_execz .LBB27_12
.LBB27_14:
	v_mov_b32_e32 v1, 0
	v_lshlrev_b64 v[2:3], 4, v[0:1]
	v_mov_b32_e32 v0, s1
	v_add_co_u32_e32 v4, vcc, s0, v2
	v_addc_co_u32_e32 v5, vcc, v0, v3, vcc
	v_mov_b32_e32 v2, 0xff
	v_mov_b32_e32 v0, v1
	;; [unrolled: 1-line block ×3, first 2 shown]
	global_store_dwordx4 v[4:5], v[0:3], off
	s_endpgm
	.section	.rodata,"a",@progbits
	.p2align	6, 0x0
	.amdhsa_kernel _ZN7rocprim6detail31init_lookback_scan_state_kernelINS0_19lookback_scan_stateImLb1ELb1EEEEEvT_jjPNS4_10value_typeE
		.amdhsa_group_segment_fixed_size 0
		.amdhsa_private_segment_fixed_size 0
		.amdhsa_kernarg_size 280
		.amdhsa_user_sgpr_count 6
		.amdhsa_user_sgpr_private_segment_buffer 1
		.amdhsa_user_sgpr_dispatch_ptr 0
		.amdhsa_user_sgpr_queue_ptr 0
		.amdhsa_user_sgpr_kernarg_segment_ptr 1
		.amdhsa_user_sgpr_dispatch_id 0
		.amdhsa_user_sgpr_flat_scratch_init 0
		.amdhsa_user_sgpr_kernarg_preload_length 0
		.amdhsa_user_sgpr_kernarg_preload_offset 0
		.amdhsa_user_sgpr_private_segment_size 0
		.amdhsa_uses_dynamic_stack 0
		.amdhsa_system_sgpr_private_segment_wavefront_offset 0
		.amdhsa_system_sgpr_workgroup_id_x 1
		.amdhsa_system_sgpr_workgroup_id_y 0
		.amdhsa_system_sgpr_workgroup_id_z 0
		.amdhsa_system_sgpr_workgroup_info 0
		.amdhsa_system_vgpr_workitem_id 0
		.amdhsa_next_free_vgpr 10
		.amdhsa_next_free_sgpr 14
		.amdhsa_accum_offset 12
		.amdhsa_reserve_vcc 1
		.amdhsa_reserve_flat_scratch 0
		.amdhsa_float_round_mode_32 0
		.amdhsa_float_round_mode_16_64 0
		.amdhsa_float_denorm_mode_32 3
		.amdhsa_float_denorm_mode_16_64 3
		.amdhsa_dx10_clamp 1
		.amdhsa_ieee_mode 1
		.amdhsa_fp16_overflow 0
		.amdhsa_tg_split 0
		.amdhsa_exception_fp_ieee_invalid_op 0
		.amdhsa_exception_fp_denorm_src 0
		.amdhsa_exception_fp_ieee_div_zero 0
		.amdhsa_exception_fp_ieee_overflow 0
		.amdhsa_exception_fp_ieee_underflow 0
		.amdhsa_exception_fp_ieee_inexact 0
		.amdhsa_exception_int_div_zero 0
	.end_amdhsa_kernel
	.section	.text._ZN7rocprim6detail31init_lookback_scan_state_kernelINS0_19lookback_scan_stateImLb1ELb1EEEEEvT_jjPNS4_10value_typeE,"axG",@progbits,_ZN7rocprim6detail31init_lookback_scan_state_kernelINS0_19lookback_scan_stateImLb1ELb1EEEEEvT_jjPNS4_10value_typeE,comdat
.Lfunc_end27:
	.size	_ZN7rocprim6detail31init_lookback_scan_state_kernelINS0_19lookback_scan_stateImLb1ELb1EEEEEvT_jjPNS4_10value_typeE, .Lfunc_end27-_ZN7rocprim6detail31init_lookback_scan_state_kernelINS0_19lookback_scan_stateImLb1ELb1EEEEEvT_jjPNS4_10value_typeE
                                        ; -- End function
	.section	.AMDGPU.csdata,"",@progbits
; Kernel info:
; codeLenInByte = 404
; NumSgprs: 18
; NumVgprs: 10
; NumAgprs: 0
; TotalNumVgprs: 10
; ScratchSize: 0
; MemoryBound: 0
; FloatMode: 240
; IeeeMode: 1
; LDSByteSize: 0 bytes/workgroup (compile time only)
; SGPRBlocks: 2
; VGPRBlocks: 1
; NumSGPRsForWavesPerEU: 18
; NumVGPRsForWavesPerEU: 10
; AccumOffset: 12
; Occupancy: 8
; WaveLimiterHint : 0
; COMPUTE_PGM_RSRC2:SCRATCH_EN: 0
; COMPUTE_PGM_RSRC2:USER_SGPR: 6
; COMPUTE_PGM_RSRC2:TRAP_HANDLER: 0
; COMPUTE_PGM_RSRC2:TGID_X_EN: 1
; COMPUTE_PGM_RSRC2:TGID_Y_EN: 0
; COMPUTE_PGM_RSRC2:TGID_Z_EN: 0
; COMPUTE_PGM_RSRC2:TIDIG_COMP_CNT: 0
; COMPUTE_PGM_RSRC3_GFX90A:ACCUM_OFFSET: 2
; COMPUTE_PGM_RSRC3_GFX90A:TG_SPLIT: 0
	.section	.text._ZN7rocprim6detail31init_lookback_scan_state_kernelINS0_19lookback_scan_stateImLb0ELb1EEEEEvT_jjPNS4_10value_typeE,"axG",@progbits,_ZN7rocprim6detail31init_lookback_scan_state_kernelINS0_19lookback_scan_stateImLb0ELb1EEEEEvT_jjPNS4_10value_typeE,comdat
	.protected	_ZN7rocprim6detail31init_lookback_scan_state_kernelINS0_19lookback_scan_stateImLb0ELb1EEEEEvT_jjPNS4_10value_typeE ; -- Begin function _ZN7rocprim6detail31init_lookback_scan_state_kernelINS0_19lookback_scan_stateImLb0ELb1EEEEEvT_jjPNS4_10value_typeE
	.globl	_ZN7rocprim6detail31init_lookback_scan_state_kernelINS0_19lookback_scan_stateImLb0ELb1EEEEEvT_jjPNS4_10value_typeE
	.p2align	8
	.type	_ZN7rocprim6detail31init_lookback_scan_state_kernelINS0_19lookback_scan_stateImLb0ELb1EEEEEvT_jjPNS4_10value_typeE,@function
_ZN7rocprim6detail31init_lookback_scan_state_kernelINS0_19lookback_scan_stateImLb0ELb1EEEEEvT_jjPNS4_10value_typeE: ; @_ZN7rocprim6detail31init_lookback_scan_state_kernelINS0_19lookback_scan_stateImLb0ELb1EEEEEvT_jjPNS4_10value_typeE
; %bb.0:
	s_load_dword s7, s[4:5], 0x24
	s_load_dwordx2 s[8:9], s[4:5], 0x10
	s_load_dwordx4 s[0:3], s[4:5], 0x0
	s_waitcnt lgkmcnt(0)
	s_and_b32 s4, s7, 0xffff
	s_mul_i32 s6, s6, s4
	s_cmp_eq_u64 s[8:9], 0
	v_add_u32_e32 v0, s6, v0
	s_cbranch_scc1 .LBB28_8
; %bb.1:
	s_cmp_lt_u32 s3, s2
	s_cselect_b32 s4, s3, 0
	s_mov_b32 s7, 0
	v_cmp_eq_u32_e32 vcc, s4, v0
	s_and_saveexec_b64 s[4:5], vcc
	s_cbranch_execz .LBB28_7
; %bb.2:
	s_add_i32 s6, s3, 64
	s_lshl_b64 s[6:7], s[6:7], 4
	s_add_u32 s12, s0, s6
	s_addc_u32 s13, s1, s7
	v_pk_mov_b32 v[2:3], s[12:13], s[12:13] op_sel:[0,1]
	;;#ASMSTART
	global_load_dwordx4 v[2:5], v[2:3] off glc	
s_waitcnt vmcnt(0)
	;;#ASMEND
	v_mov_b32_e32 v7, 0
	v_and_b32_e32 v6, 0xff, v4
	s_mov_b64 s[10:11], 0
	v_cmp_eq_u64_e32 vcc, 0, v[6:7]
	s_and_saveexec_b64 s[6:7], vcc
	s_cbranch_execz .LBB28_6
; %bb.3:
	v_pk_mov_b32 v[8:9], s[12:13], s[12:13] op_sel:[0,1]
.LBB28_4:                               ; =>This Inner Loop Header: Depth=1
	;;#ASMSTART
	global_load_dwordx4 v[2:5], v[8:9] off glc	
s_waitcnt vmcnt(0)
	;;#ASMEND
	v_and_b32_e32 v6, 0xff, v4
	v_cmp_ne_u64_e32 vcc, 0, v[6:7]
	s_or_b64 s[10:11], vcc, s[10:11]
	s_andn2_b64 exec, exec, s[10:11]
	s_cbranch_execnz .LBB28_4
; %bb.5:
	s_or_b64 exec, exec, s[10:11]
.LBB28_6:
	s_or_b64 exec, exec, s[6:7]
	v_mov_b32_e32 v1, 0
	global_store_dwordx2 v1, v[2:3], s[8:9]
.LBB28_7:
	s_or_b64 exec, exec, s[4:5]
.LBB28_8:
	v_cmp_gt_u32_e32 vcc, s2, v0
	s_and_saveexec_b64 s[2:3], vcc
	s_cbranch_execnz .LBB28_11
; %bb.9:
	s_or_b64 exec, exec, s[2:3]
	v_cmp_gt_u32_e32 vcc, 64, v0
	s_and_saveexec_b64 s[2:3], vcc
	s_cbranch_execnz .LBB28_12
.LBB28_10:
	s_endpgm
.LBB28_11:
	v_add_u32_e32 v2, 64, v0
	v_mov_b32_e32 v3, 0
	v_lshlrev_b64 v[4:5], 4, v[2:3]
	v_mov_b32_e32 v1, s1
	v_add_co_u32_e32 v6, vcc, s0, v4
	v_addc_co_u32_e32 v7, vcc, v1, v5, vcc
	v_mov_b32_e32 v2, v3
	v_mov_b32_e32 v4, v3
	v_mov_b32_e32 v5, v3
	global_store_dwordx4 v[6:7], v[2:5], off
	s_or_b64 exec, exec, s[2:3]
	v_cmp_gt_u32_e32 vcc, 64, v0
	s_and_saveexec_b64 s[2:3], vcc
	s_cbranch_execz .LBB28_10
.LBB28_12:
	v_mov_b32_e32 v1, 0
	v_lshlrev_b64 v[2:3], 4, v[0:1]
	v_mov_b32_e32 v0, s1
	v_add_co_u32_e32 v4, vcc, s0, v2
	v_addc_co_u32_e32 v5, vcc, v0, v3, vcc
	v_mov_b32_e32 v2, 0xff
	v_mov_b32_e32 v0, v1
	;; [unrolled: 1-line block ×3, first 2 shown]
	global_store_dwordx4 v[4:5], v[0:3], off
	s_endpgm
	.section	.rodata,"a",@progbits
	.p2align	6, 0x0
	.amdhsa_kernel _ZN7rocprim6detail31init_lookback_scan_state_kernelINS0_19lookback_scan_stateImLb0ELb1EEEEEvT_jjPNS4_10value_typeE
		.amdhsa_group_segment_fixed_size 0
		.amdhsa_private_segment_fixed_size 0
		.amdhsa_kernarg_size 280
		.amdhsa_user_sgpr_count 6
		.amdhsa_user_sgpr_private_segment_buffer 1
		.amdhsa_user_sgpr_dispatch_ptr 0
		.amdhsa_user_sgpr_queue_ptr 0
		.amdhsa_user_sgpr_kernarg_segment_ptr 1
		.amdhsa_user_sgpr_dispatch_id 0
		.amdhsa_user_sgpr_flat_scratch_init 0
		.amdhsa_user_sgpr_kernarg_preload_length 0
		.amdhsa_user_sgpr_kernarg_preload_offset 0
		.amdhsa_user_sgpr_private_segment_size 0
		.amdhsa_uses_dynamic_stack 0
		.amdhsa_system_sgpr_private_segment_wavefront_offset 0
		.amdhsa_system_sgpr_workgroup_id_x 1
		.amdhsa_system_sgpr_workgroup_id_y 0
		.amdhsa_system_sgpr_workgroup_id_z 0
		.amdhsa_system_sgpr_workgroup_info 0
		.amdhsa_system_vgpr_workitem_id 0
		.amdhsa_next_free_vgpr 10
		.amdhsa_next_free_sgpr 14
		.amdhsa_accum_offset 12
		.amdhsa_reserve_vcc 1
		.amdhsa_reserve_flat_scratch 0
		.amdhsa_float_round_mode_32 0
		.amdhsa_float_round_mode_16_64 0
		.amdhsa_float_denorm_mode_32 3
		.amdhsa_float_denorm_mode_16_64 3
		.amdhsa_dx10_clamp 1
		.amdhsa_ieee_mode 1
		.amdhsa_fp16_overflow 0
		.amdhsa_tg_split 0
		.amdhsa_exception_fp_ieee_invalid_op 0
		.amdhsa_exception_fp_denorm_src 0
		.amdhsa_exception_fp_ieee_div_zero 0
		.amdhsa_exception_fp_ieee_overflow 0
		.amdhsa_exception_fp_ieee_underflow 0
		.amdhsa_exception_fp_ieee_inexact 0
		.amdhsa_exception_int_div_zero 0
	.end_amdhsa_kernel
	.section	.text._ZN7rocprim6detail31init_lookback_scan_state_kernelINS0_19lookback_scan_stateImLb0ELb1EEEEEvT_jjPNS4_10value_typeE,"axG",@progbits,_ZN7rocprim6detail31init_lookback_scan_state_kernelINS0_19lookback_scan_stateImLb0ELb1EEEEEvT_jjPNS4_10value_typeE,comdat
.Lfunc_end28:
	.size	_ZN7rocprim6detail31init_lookback_scan_state_kernelINS0_19lookback_scan_stateImLb0ELb1EEEEEvT_jjPNS4_10value_typeE, .Lfunc_end28-_ZN7rocprim6detail31init_lookback_scan_state_kernelINS0_19lookback_scan_stateImLb0ELb1EEEEEvT_jjPNS4_10value_typeE
                                        ; -- End function
	.section	.AMDGPU.csdata,"",@progbits
; Kernel info:
; codeLenInByte = 364
; NumSgprs: 18
; NumVgprs: 10
; NumAgprs: 0
; TotalNumVgprs: 10
; ScratchSize: 0
; MemoryBound: 0
; FloatMode: 240
; IeeeMode: 1
; LDSByteSize: 0 bytes/workgroup (compile time only)
; SGPRBlocks: 2
; VGPRBlocks: 1
; NumSGPRsForWavesPerEU: 18
; NumVGPRsForWavesPerEU: 10
; AccumOffset: 12
; Occupancy: 8
; WaveLimiterHint : 0
; COMPUTE_PGM_RSRC2:SCRATCH_EN: 0
; COMPUTE_PGM_RSRC2:USER_SGPR: 6
; COMPUTE_PGM_RSRC2:TRAP_HANDLER: 0
; COMPUTE_PGM_RSRC2:TGID_X_EN: 1
; COMPUTE_PGM_RSRC2:TGID_Y_EN: 0
; COMPUTE_PGM_RSRC2:TGID_Z_EN: 0
; COMPUTE_PGM_RSRC2:TIDIG_COMP_CNT: 0
; COMPUTE_PGM_RSRC3_GFX90A:ACCUM_OFFSET: 2
; COMPUTE_PGM_RSRC3_GFX90A:TG_SPLIT: 0
	.section	.text._ZN7rocprim6detail20lookback_scan_kernelILNS0_25lookback_scan_determinismE0ELb0ENS0_19wrapped_scan_configINS_14default_configEmEEPmS6_N6hipcub3SumEmmNS0_19lookback_scan_stateImLb1ELb1EEEEEvT2_T3_mT5_T4_T7_jPT6_SH_bb,"axG",@progbits,_ZN7rocprim6detail20lookback_scan_kernelILNS0_25lookback_scan_determinismE0ELb0ENS0_19wrapped_scan_configINS_14default_configEmEEPmS6_N6hipcub3SumEmmNS0_19lookback_scan_stateImLb1ELb1EEEEEvT2_T3_mT5_T4_T7_jPT6_SH_bb,comdat
	.protected	_ZN7rocprim6detail20lookback_scan_kernelILNS0_25lookback_scan_determinismE0ELb0ENS0_19wrapped_scan_configINS_14default_configEmEEPmS6_N6hipcub3SumEmmNS0_19lookback_scan_stateImLb1ELb1EEEEEvT2_T3_mT5_T4_T7_jPT6_SH_bb ; -- Begin function _ZN7rocprim6detail20lookback_scan_kernelILNS0_25lookback_scan_determinismE0ELb0ENS0_19wrapped_scan_configINS_14default_configEmEEPmS6_N6hipcub3SumEmmNS0_19lookback_scan_stateImLb1ELb1EEEEEvT2_T3_mT5_T4_T7_jPT6_SH_bb
	.globl	_ZN7rocprim6detail20lookback_scan_kernelILNS0_25lookback_scan_determinismE0ELb0ENS0_19wrapped_scan_configINS_14default_configEmEEPmS6_N6hipcub3SumEmmNS0_19lookback_scan_stateImLb1ELb1EEEEEvT2_T3_mT5_T4_T7_jPT6_SH_bb
	.p2align	8
	.type	_ZN7rocprim6detail20lookback_scan_kernelILNS0_25lookback_scan_determinismE0ELb0ENS0_19wrapped_scan_configINS_14default_configEmEEPmS6_N6hipcub3SumEmmNS0_19lookback_scan_stateImLb1ELb1EEEEEvT2_T3_mT5_T4_T7_jPT6_SH_bb,@function
_ZN7rocprim6detail20lookback_scan_kernelILNS0_25lookback_scan_determinismE0ELb0ENS0_19wrapped_scan_configINS_14default_configEmEEPmS6_N6hipcub3SumEmmNS0_19lookback_scan_stateImLb1ELb1EEEEEvT2_T3_mT5_T4_T7_jPT6_SH_bb: ; @_ZN7rocprim6detail20lookback_scan_kernelILNS0_25lookback_scan_determinismE0ELb0ENS0_19wrapped_scan_configINS_14default_configEmEEPmS6_N6hipcub3SumEmmNS0_19lookback_scan_stateImLb1ELb1EEEEEvT2_T3_mT5_T4_T7_jPT6_SH_bb
; %bb.0:
	s_endpgm
	.section	.rodata,"a",@progbits
	.p2align	6, 0x0
	.amdhsa_kernel _ZN7rocprim6detail20lookback_scan_kernelILNS0_25lookback_scan_determinismE0ELb0ENS0_19wrapped_scan_configINS_14default_configEmEEPmS6_N6hipcub3SumEmmNS0_19lookback_scan_stateImLb1ELb1EEEEEvT2_T3_mT5_T4_T7_jPT6_SH_bb
		.amdhsa_group_segment_fixed_size 0
		.amdhsa_private_segment_fixed_size 0
		.amdhsa_kernarg_size 76
		.amdhsa_user_sgpr_count 6
		.amdhsa_user_sgpr_private_segment_buffer 1
		.amdhsa_user_sgpr_dispatch_ptr 0
		.amdhsa_user_sgpr_queue_ptr 0
		.amdhsa_user_sgpr_kernarg_segment_ptr 1
		.amdhsa_user_sgpr_dispatch_id 0
		.amdhsa_user_sgpr_flat_scratch_init 0
		.amdhsa_user_sgpr_kernarg_preload_length 0
		.amdhsa_user_sgpr_kernarg_preload_offset 0
		.amdhsa_user_sgpr_private_segment_size 0
		.amdhsa_uses_dynamic_stack 0
		.amdhsa_system_sgpr_private_segment_wavefront_offset 0
		.amdhsa_system_sgpr_workgroup_id_x 1
		.amdhsa_system_sgpr_workgroup_id_y 0
		.amdhsa_system_sgpr_workgroup_id_z 0
		.amdhsa_system_sgpr_workgroup_info 0
		.amdhsa_system_vgpr_workitem_id 0
		.amdhsa_next_free_vgpr 1
		.amdhsa_next_free_sgpr 0
		.amdhsa_accum_offset 4
		.amdhsa_reserve_vcc 0
		.amdhsa_reserve_flat_scratch 0
		.amdhsa_float_round_mode_32 0
		.amdhsa_float_round_mode_16_64 0
		.amdhsa_float_denorm_mode_32 3
		.amdhsa_float_denorm_mode_16_64 3
		.amdhsa_dx10_clamp 1
		.amdhsa_ieee_mode 1
		.amdhsa_fp16_overflow 0
		.amdhsa_tg_split 0
		.amdhsa_exception_fp_ieee_invalid_op 0
		.amdhsa_exception_fp_denorm_src 0
		.amdhsa_exception_fp_ieee_div_zero 0
		.amdhsa_exception_fp_ieee_overflow 0
		.amdhsa_exception_fp_ieee_underflow 0
		.amdhsa_exception_fp_ieee_inexact 0
		.amdhsa_exception_int_div_zero 0
	.end_amdhsa_kernel
	.section	.text._ZN7rocprim6detail20lookback_scan_kernelILNS0_25lookback_scan_determinismE0ELb0ENS0_19wrapped_scan_configINS_14default_configEmEEPmS6_N6hipcub3SumEmmNS0_19lookback_scan_stateImLb1ELb1EEEEEvT2_T3_mT5_T4_T7_jPT6_SH_bb,"axG",@progbits,_ZN7rocprim6detail20lookback_scan_kernelILNS0_25lookback_scan_determinismE0ELb0ENS0_19wrapped_scan_configINS_14default_configEmEEPmS6_N6hipcub3SumEmmNS0_19lookback_scan_stateImLb1ELb1EEEEEvT2_T3_mT5_T4_T7_jPT6_SH_bb,comdat
.Lfunc_end29:
	.size	_ZN7rocprim6detail20lookback_scan_kernelILNS0_25lookback_scan_determinismE0ELb0ENS0_19wrapped_scan_configINS_14default_configEmEEPmS6_N6hipcub3SumEmmNS0_19lookback_scan_stateImLb1ELb1EEEEEvT2_T3_mT5_T4_T7_jPT6_SH_bb, .Lfunc_end29-_ZN7rocprim6detail20lookback_scan_kernelILNS0_25lookback_scan_determinismE0ELb0ENS0_19wrapped_scan_configINS_14default_configEmEEPmS6_N6hipcub3SumEmmNS0_19lookback_scan_stateImLb1ELb1EEEEEvT2_T3_mT5_T4_T7_jPT6_SH_bb
                                        ; -- End function
	.section	.AMDGPU.csdata,"",@progbits
; Kernel info:
; codeLenInByte = 4
; NumSgprs: 4
; NumVgprs: 0
; NumAgprs: 0
; TotalNumVgprs: 0
; ScratchSize: 0
; MemoryBound: 0
; FloatMode: 240
; IeeeMode: 1
; LDSByteSize: 0 bytes/workgroup (compile time only)
; SGPRBlocks: 0
; VGPRBlocks: 0
; NumSGPRsForWavesPerEU: 4
; NumVGPRsForWavesPerEU: 1
; AccumOffset: 4
; Occupancy: 8
; WaveLimiterHint : 0
; COMPUTE_PGM_RSRC2:SCRATCH_EN: 0
; COMPUTE_PGM_RSRC2:USER_SGPR: 6
; COMPUTE_PGM_RSRC2:TRAP_HANDLER: 0
; COMPUTE_PGM_RSRC2:TGID_X_EN: 1
; COMPUTE_PGM_RSRC2:TGID_Y_EN: 0
; COMPUTE_PGM_RSRC2:TGID_Z_EN: 0
; COMPUTE_PGM_RSRC2:TIDIG_COMP_CNT: 0
; COMPUTE_PGM_RSRC3_GFX90A:ACCUM_OFFSET: 0
; COMPUTE_PGM_RSRC3_GFX90A:TG_SPLIT: 0
	.section	.text._ZN7rocprim6detail20lookback_scan_kernelILNS0_25lookback_scan_determinismE0ELb0ENS0_19wrapped_scan_configINS_14default_configEmEEPmS6_N6hipcub3SumEmmNS0_19lookback_scan_stateImLb0ELb1EEEEEvT2_T3_mT5_T4_T7_jPT6_SH_bb,"axG",@progbits,_ZN7rocprim6detail20lookback_scan_kernelILNS0_25lookback_scan_determinismE0ELb0ENS0_19wrapped_scan_configINS_14default_configEmEEPmS6_N6hipcub3SumEmmNS0_19lookback_scan_stateImLb0ELb1EEEEEvT2_T3_mT5_T4_T7_jPT6_SH_bb,comdat
	.protected	_ZN7rocprim6detail20lookback_scan_kernelILNS0_25lookback_scan_determinismE0ELb0ENS0_19wrapped_scan_configINS_14default_configEmEEPmS6_N6hipcub3SumEmmNS0_19lookback_scan_stateImLb0ELb1EEEEEvT2_T3_mT5_T4_T7_jPT6_SH_bb ; -- Begin function _ZN7rocprim6detail20lookback_scan_kernelILNS0_25lookback_scan_determinismE0ELb0ENS0_19wrapped_scan_configINS_14default_configEmEEPmS6_N6hipcub3SumEmmNS0_19lookback_scan_stateImLb0ELb1EEEEEvT2_T3_mT5_T4_T7_jPT6_SH_bb
	.globl	_ZN7rocprim6detail20lookback_scan_kernelILNS0_25lookback_scan_determinismE0ELb0ENS0_19wrapped_scan_configINS_14default_configEmEEPmS6_N6hipcub3SumEmmNS0_19lookback_scan_stateImLb0ELb1EEEEEvT2_T3_mT5_T4_T7_jPT6_SH_bb
	.p2align	8
	.type	_ZN7rocprim6detail20lookback_scan_kernelILNS0_25lookback_scan_determinismE0ELb0ENS0_19wrapped_scan_configINS_14default_configEmEEPmS6_N6hipcub3SumEmmNS0_19lookback_scan_stateImLb0ELb1EEEEEvT2_T3_mT5_T4_T7_jPT6_SH_bb,@function
_ZN7rocprim6detail20lookback_scan_kernelILNS0_25lookback_scan_determinismE0ELb0ENS0_19wrapped_scan_configINS_14default_configEmEEPmS6_N6hipcub3SumEmmNS0_19lookback_scan_stateImLb0ELb1EEEEEvT2_T3_mT5_T4_T7_jPT6_SH_bb: ; @_ZN7rocprim6detail20lookback_scan_kernelILNS0_25lookback_scan_determinismE0ELb0ENS0_19wrapped_scan_configINS_14default_configEmEEPmS6_N6hipcub3SumEmmNS0_19lookback_scan_stateImLb0ELb1EEEEEvT2_T3_mT5_T4_T7_jPT6_SH_bb
; %bb.0:
	s_load_dword s3, s[4:5], 0x30
	s_load_dwordx4 s[8:11], s[4:5], 0x0
	s_load_dwordx2 s[0:1], s[4:5], 0x10
	s_mul_i32 s2, s6, 0x540
	v_lshlrev_b32_e32 v58, 3, v0
	s_waitcnt lgkmcnt(0)
	s_add_i32 s7, s3, -1
	s_mul_i32 s12, s7, 0x540
	s_sub_u32 s22, s0, s12
	s_subb_u32 s23, s1, 0
	s_mov_b32 s3, 0
	s_cmp_lg_u32 s6, s7
	s_cselect_b64 s[16:17], -1, 0
	s_lshl_b64 s[18:19], s[2:3], 3
	s_add_u32 s8, s8, s18
	s_addc_u32 s9, s9, s19
	s_mov_b64 s[0:1], -1
	s_and_b64 vcc, exec, s[16:17]
	s_cbranch_vccz .LBB30_2
; %bb.1:
	v_mov_b32_e32 v1, s9
	v_add_co_u32_e32 v36, vcc, s8, v58
	v_addc_co_u32_e32 v1, vcc, 0, v1, vcc
	v_add_co_u32_e32 v18, vcc, 0x1000, v36
	v_addc_co_u32_e32 v19, vcc, 0, v1, vcc
	global_load_dwordx2 v[2:3], v58, s[8:9]
	global_load_dwordx2 v[4:5], v58, s[8:9] offset:512
	global_load_dwordx2 v[6:7], v58, s[8:9] offset:1024
	;; [unrolled: 1-line block ×7, first 2 shown]
	global_load_dwordx2 v[20:21], v[18:19], off
	global_load_dwordx2 v[22:23], v[18:19], off offset:512
	global_load_dwordx2 v[24:25], v[18:19], off offset:1024
	;; [unrolled: 1-line block ×7, first 2 shown]
	v_add_co_u32_e32 v18, vcc, 0x2000, v36
	v_addc_co_u32_e32 v19, vcc, 0, v1, vcc
	global_load_dwordx2 v[36:37], v[18:19], off
	global_load_dwordx2 v[38:39], v[18:19], off offset:512
	global_load_dwordx2 v[40:41], v[18:19], off offset:1024
	;; [unrolled: 1-line block ×4, first 2 shown]
	s_mov_b64 s[0:1], 0
	s_waitcnt vmcnt(19)
	ds_write2st64_b64 v58, v[2:3], v[4:5] offset1:1
	s_waitcnt vmcnt(17)
	ds_write2st64_b64 v58, v[6:7], v[8:9] offset0:2 offset1:3
	s_waitcnt vmcnt(15)
	ds_write2st64_b64 v58, v[10:11], v[12:13] offset0:4 offset1:5
	;; [unrolled: 2-line block ×9, first 2 shown]
	s_waitcnt vmcnt(0)
	ds_write_b64 v58, v[44:45] offset:10240
	s_waitcnt lgkmcnt(0)
	; wave barrier
.LBB30_2:
	s_andn2_b64 vcc, exec, s[0:1]
	v_cmp_gt_u32_e64 s[0:1], s22, v0
	s_cbranch_vccnz .LBB30_46
; %bb.3:
	s_load_dwordx2 s[2:3], s[8:9], 0x0
	v_mov_b32_e32 v1, s9
	v_add_co_u32_e32 v4, vcc, s8, v58
	v_addc_co_u32_e32 v5, vcc, 0, v1, vcc
	s_waitcnt lgkmcnt(0)
	v_pk_mov_b32 v[2:3], s[2:3], s[2:3] op_sel:[0,1]
	s_and_saveexec_b64 s[8:9], s[0:1]
	s_cbranch_execz .LBB30_5
; %bb.4:
	global_load_dwordx2 v[2:3], v[4:5], off
.LBB30_5:
	s_or_b64 exec, exec, s[8:9]
	v_or_b32_e32 v1, 64, v0
	v_cmp_gt_u32_e32 vcc, s22, v1
	v_pk_mov_b32 v[6:7], s[2:3], s[2:3] op_sel:[0,1]
	s_and_saveexec_b64 s[0:1], vcc
	s_cbranch_execz .LBB30_7
; %bb.6:
	global_load_dwordx2 v[6:7], v[4:5], off offset:512
.LBB30_7:
	s_or_b64 exec, exec, s[0:1]
	v_or_b32_e32 v1, 0x80, v0
	v_cmp_gt_u32_e32 vcc, s22, v1
	v_pk_mov_b32 v[8:9], s[2:3], s[2:3] op_sel:[0,1]
	s_and_saveexec_b64 s[0:1], vcc
	s_cbranch_execz .LBB30_9
; %bb.8:
	global_load_dwordx2 v[8:9], v[4:5], off offset:1024
.LBB30_9:
	;; [unrolled: 9-line block ×7, first 2 shown]
	s_or_b64 exec, exec, s[0:1]
	v_or_b32_e32 v1, 0x200, v0
	v_cmp_gt_u32_e32 vcc, s22, v1
	v_pk_mov_b32 v[20:21], s[2:3], s[2:3] op_sel:[0,1]
	s_and_saveexec_b64 s[0:1], vcc
	s_cbranch_execz .LBB30_21
; %bb.20:
	v_add_co_u32_e32 v20, vcc, 0x1000, v4
	v_addc_co_u32_e32 v21, vcc, 0, v5, vcc
	global_load_dwordx2 v[20:21], v[20:21], off
.LBB30_21:
	s_or_b64 exec, exec, s[0:1]
	v_or_b32_e32 v1, 0x240, v0
	v_cmp_gt_u32_e32 vcc, s22, v1
	v_pk_mov_b32 v[22:23], s[2:3], s[2:3] op_sel:[0,1]
	s_and_saveexec_b64 s[0:1], vcc
	s_cbranch_execz .LBB30_23
; %bb.22:
	v_add_co_u32_e32 v22, vcc, 0x1000, v4
	v_addc_co_u32_e32 v23, vcc, 0, v5, vcc
	global_load_dwordx2 v[22:23], v[22:23], off offset:512
.LBB30_23:
	s_or_b64 exec, exec, s[0:1]
	v_or_b32_e32 v1, 0x280, v0
	v_cmp_gt_u32_e32 vcc, s22, v1
	v_pk_mov_b32 v[24:25], s[2:3], s[2:3] op_sel:[0,1]
	s_and_saveexec_b64 s[0:1], vcc
	s_cbranch_execz .LBB30_25
; %bb.24:
	v_add_co_u32_e32 v24, vcc, 0x1000, v4
	v_addc_co_u32_e32 v25, vcc, 0, v5, vcc
	global_load_dwordx2 v[24:25], v[24:25], off offset:1024
.LBB30_25:
	;; [unrolled: 11-line block ×7, first 2 shown]
	s_or_b64 exec, exec, s[0:1]
	v_or_b32_e32 v1, 0x400, v0
	v_cmp_gt_u32_e32 vcc, s22, v1
	v_pk_mov_b32 v[36:37], s[2:3], s[2:3] op_sel:[0,1]
	s_and_saveexec_b64 s[0:1], vcc
	s_cbranch_execz .LBB30_37
; %bb.36:
	v_add_co_u32_e32 v36, vcc, 0x2000, v4
	v_addc_co_u32_e32 v37, vcc, 0, v5, vcc
	global_load_dwordx2 v[36:37], v[36:37], off
.LBB30_37:
	s_or_b64 exec, exec, s[0:1]
	v_or_b32_e32 v1, 0x440, v0
	v_cmp_gt_u32_e32 vcc, s22, v1
	v_pk_mov_b32 v[38:39], s[2:3], s[2:3] op_sel:[0,1]
	s_and_saveexec_b64 s[0:1], vcc
	s_cbranch_execz .LBB30_39
; %bb.38:
	v_add_co_u32_e32 v38, vcc, 0x2000, v4
	v_addc_co_u32_e32 v39, vcc, 0, v5, vcc
	global_load_dwordx2 v[38:39], v[38:39], off offset:512
.LBB30_39:
	s_or_b64 exec, exec, s[0:1]
	v_or_b32_e32 v1, 0x480, v0
	v_cmp_gt_u32_e32 vcc, s22, v1
	v_pk_mov_b32 v[40:41], s[2:3], s[2:3] op_sel:[0,1]
	s_and_saveexec_b64 s[0:1], vcc
	s_cbranch_execz .LBB30_41
; %bb.40:
	v_add_co_u32_e32 v40, vcc, 0x2000, v4
	v_addc_co_u32_e32 v41, vcc, 0, v5, vcc
	global_load_dwordx2 v[40:41], v[40:41], off offset:1024
.LBB30_41:
	;; [unrolled: 11-line block ×4, first 2 shown]
	s_or_b64 exec, exec, s[0:1]
	s_waitcnt vmcnt(0)
	ds_write2st64_b64 v58, v[2:3], v[6:7] offset1:1
	ds_write2st64_b64 v58, v[8:9], v[10:11] offset0:2 offset1:3
	ds_write2st64_b64 v58, v[12:13], v[14:15] offset0:4 offset1:5
	;; [unrolled: 1-line block ×9, first 2 shown]
	ds_write_b64 v58, v[44:45] offset:10240
	s_waitcnt lgkmcnt(0)
	; wave barrier
.LBB30_46:
	v_mul_u32_u24_e32 v59, 21, v0
	v_lshlrev_b32_e32 v1, 3, v59
	s_waitcnt lgkmcnt(0)
	ds_read2_b64 v[34:37], v1 offset1:1
	ds_read2_b64 v[38:41], v1 offset0:2 offset1:3
	ds_read2_b64 v[30:33], v1 offset0:4 offset1:5
	;; [unrolled: 1-line block ×9, first 2 shown]
	ds_read_b64 v[50:51], v1 offset:160
	s_load_dwordx2 s[20:21], s[4:5], 0x28
	s_cmp_lg_u32 s6, 0
	v_mbcnt_lo_u32_b32 v60, -1, 0
	s_waitcnt lgkmcnt(0)
	; wave barrier
	s_waitcnt lgkmcnt(0)
	s_cbranch_scc0 .LBB30_71
; %bb.47:
	v_add_co_u32_e32 v1, vcc, v36, v34
	v_addc_co_u32_e32 v42, vcc, v37, v35, vcc
	v_add_co_u32_e32 v1, vcc, v1, v38
	v_addc_co_u32_e32 v42, vcc, v42, v39, vcc
	;; [unrolled: 2-line block ×20, first 2 shown]
	s_nop 0
	v_mov_b32_dpp v44, v42 row_shr:1 row_mask:0xf bank_mask:0xf
	v_add_co_u32_e32 v44, vcc, v42, v44
	v_addc_co_u32_e32 v46, vcc, 0, v43, vcc
	v_mbcnt_hi_u32_b32 v56, -1, v60
	v_mov_b32_dpp v45, v43 row_shr:1 row_mask:0xf bank_mask:0xf
	v_add_co_u32_e32 v47, vcc, 0, v44
	v_and_b32_e32 v1, 15, v56
	v_addc_co_u32_e32 v45, vcc, v45, v46, vcc
	v_cmp_eq_u32_e32 vcc, 0, v1
	v_cndmask_b32_e32 v44, v44, v42, vcc
	v_cndmask_b32_e32 v45, v45, v43, vcc
	v_cndmask_b32_e32 v46, v47, v42, vcc
	v_mov_b32_dpp v47, v44 row_shr:2 row_mask:0xf bank_mask:0xf
	v_mov_b32_dpp v48, v45 row_shr:2 row_mask:0xf bank_mask:0xf
	v_add_co_u32_e32 v47, vcc, v47, v46
	v_addc_co_u32_e32 v48, vcc, v48, v45, vcc
	v_cmp_lt_u32_e32 vcc, 1, v1
	v_cndmask_b32_e32 v44, v44, v47, vcc
	v_cndmask_b32_e32 v45, v45, v48, vcc
	v_cndmask_b32_e32 v46, v46, v47, vcc
	v_mov_b32_dpp v47, v44 row_shr:4 row_mask:0xf bank_mask:0xf
	v_mov_b32_dpp v48, v45 row_shr:4 row_mask:0xf bank_mask:0xf
	v_add_co_u32_e32 v47, vcc, v47, v46
	v_addc_co_u32_e32 v48, vcc, v48, v45, vcc
	v_cmp_lt_u32_e32 vcc, 3, v1
	v_cndmask_b32_e32 v44, v44, v47, vcc
	v_cndmask_b32_e32 v45, v45, v48, vcc
	v_cndmask_b32_e32 v46, v46, v47, vcc
	v_mov_b32_dpp v47, v44 row_shr:8 row_mask:0xf bank_mask:0xf
	v_mov_b32_dpp v48, v45 row_shr:8 row_mask:0xf bank_mask:0xf
	v_add_co_u32_e32 v47, vcc, v47, v46
	v_addc_co_u32_e32 v48, vcc, v48, v45, vcc
	v_cmp_lt_u32_e32 vcc, 7, v1
	v_cndmask_b32_e32 v49, v44, v47, vcc
	v_cndmask_b32_e32 v1, v45, v48, vcc
	v_cndmask_b32_e32 v44, v46, v47, vcc
	v_mov_b32_dpp v45, v49 row_bcast:15 row_mask:0xf bank_mask:0xf
	v_mov_b32_dpp v46, v1 row_bcast:15 row_mask:0xf bank_mask:0xf
	v_add_co_u32_e32 v45, vcc, v45, v44
	v_and_b32_e32 v48, 16, v56
	v_addc_co_u32_e32 v47, vcc, v46, v1, vcc
	v_cmp_eq_u32_e32 vcc, 0, v48
	v_cndmask_b32_e32 v48, v47, v1, vcc
	v_cndmask_b32_e32 v46, v45, v49, vcc
	v_cmp_eq_u32_e64 s[0:1], 0, v56
	v_mov_b32_dpp v48, v48 row_bcast:31 row_mask:0xf bank_mask:0xf
	v_mov_b32_dpp v46, v46 row_bcast:31 row_mask:0xf bank_mask:0xf
	v_cmp_ne_u32_e64 s[2:3], 0, v56
	s_and_saveexec_b64 s[8:9], s[2:3]
; %bb.48:
	v_cndmask_b32_e32 v1, v47, v1, vcc
	v_cndmask_b32_e32 v42, v45, v44, vcc
	v_cmp_lt_u32_e32 vcc, 31, v56
	v_cndmask_b32_e32 v44, 0, v46, vcc
	v_cndmask_b32_e32 v43, 0, v48, vcc
	v_add_co_u32_e32 v42, vcc, v44, v42
	v_addc_co_u32_e32 v43, vcc, v43, v1, vcc
; %bb.49:
	s_or_b64 exec, exec, s[8:9]
	v_cmp_eq_u32_e32 vcc, 63, v0
	s_and_saveexec_b64 s[2:3], vcc
	s_cbranch_execz .LBB30_51
; %bb.50:
	v_mov_b32_e32 v1, 0
	ds_write_b64 v1, v[42:43]
.LBB30_51:
	s_or_b64 exec, exec, s[2:3]
	v_add_u32_e32 v1, -1, v56
	v_and_b32_e32 v44, 64, v56
	v_cmp_lt_i32_e32 vcc, v1, v44
	v_cndmask_b32_e32 v1, v1, v56, vcc
	v_lshlrev_b32_e32 v44, 2, v1
	ds_bpermute_b32 v1, v44, v42
	ds_bpermute_b32 v61, v44, v43
	v_cmp_gt_u32_e32 vcc, 64, v0
	s_waitcnt lgkmcnt(0)
	; wave barrier
	s_waitcnt lgkmcnt(0)
	s_and_saveexec_b64 s[12:13], vcc
	s_cbranch_execz .LBB30_70
; %bb.52:
	v_mov_b32_e32 v45, 0
	ds_read_b64 v[42:43], v45
	s_and_saveexec_b64 s[2:3], s[0:1]
	s_cbranch_execz .LBB30_54
; %bb.53:
	s_add_i32 s8, s6, 64
	s_mov_b32 s9, 0
	s_lshl_b64 s[8:9], s[8:9], 4
	s_add_u32 s8, s20, s8
	s_addc_u32 s9, s21, s9
	v_mov_b32_e32 v44, 1
	v_pk_mov_b32 v[46:47], s[8:9], s[8:9] op_sel:[0,1]
	s_waitcnt lgkmcnt(0)
	;;#ASMSTART
	global_store_dwordx4 v[46:47], v[42:45] off	
s_waitcnt vmcnt(0)
	;;#ASMEND
.LBB30_54:
	s_or_b64 exec, exec, s[2:3]
	v_xad_u32 v52, v56, -1, s6
	v_add_u32_e32 v44, 64, v52
	v_lshlrev_b64 v[46:47], 4, v[44:45]
	v_mov_b32_e32 v44, s21
	v_add_co_u32_e32 v54, vcc, s20, v46
	v_addc_co_u32_e32 v55, vcc, v44, v47, vcc
	;;#ASMSTART
	global_load_dwordx4 v[46:49], v[54:55] off glc	
s_waitcnt vmcnt(0)
	;;#ASMEND
	v_cmp_eq_u16_sdwa s[8:9], v48, v45 src0_sel:BYTE_0 src1_sel:DWORD
	s_and_saveexec_b64 s[2:3], s[8:9]
	s_cbranch_execz .LBB30_58
; %bb.55:
	s_mov_b64 s[8:9], 0
	v_mov_b32_e32 v44, 0
.LBB30_56:                              ; =>This Inner Loop Header: Depth=1
	;;#ASMSTART
	global_load_dwordx4 v[46:49], v[54:55] off glc	
s_waitcnt vmcnt(0)
	;;#ASMEND
	v_cmp_ne_u16_sdwa s[14:15], v48, v44 src0_sel:BYTE_0 src1_sel:DWORD
	s_or_b64 s[8:9], s[14:15], s[8:9]
	s_andn2_b64 exec, exec, s[8:9]
	s_cbranch_execnz .LBB30_56
; %bb.57:
	s_or_b64 exec, exec, s[8:9]
.LBB30_58:
	s_or_b64 exec, exec, s[2:3]
	v_mov_b32_e32 v62, 2
	v_cmp_eq_u16_sdwa s[2:3], v48, v62 src0_sel:BYTE_0 src1_sel:DWORD
	v_lshlrev_b64 v[44:45], v56, -1
	v_and_b32_e32 v49, s3, v45
	v_or_b32_e32 v49, 0x80000000, v49
	v_and_b32_e32 v53, s2, v44
	v_ffbl_b32_e32 v49, v49
	v_and_b32_e32 v54, 63, v56
	v_add_u32_e32 v49, 32, v49
	v_ffbl_b32_e32 v53, v53
	v_cmp_ne_u32_e32 vcc, 63, v54
	v_min_u32_e32 v49, v53, v49
	v_addc_co_u32_e32 v53, vcc, 0, v56, vcc
	v_lshlrev_b32_e32 v63, 2, v53
	ds_bpermute_b32 v55, v63, v46
	ds_bpermute_b32 v57, v63, v47
	v_cmp_gt_u32_e64 s[2:3], 62, v54
	v_add_u32_e32 v64, 1, v56
	v_cmp_gt_u32_e64 s[8:9], 60, v54
	s_waitcnt lgkmcnt(1)
	v_add_co_u32_e32 v55, vcc, v46, v55
	v_addc_co_u32_e32 v65, vcc, 0, v47, vcc
	v_add_co_u32_e32 v66, vcc, 0, v55
	s_waitcnt lgkmcnt(0)
	v_addc_co_u32_e32 v57, vcc, v57, v65, vcc
	v_cndmask_b32_e64 v65, 0, 1, s[2:3]
	v_cmp_le_u32_e32 vcc, v64, v49
	v_lshlrev_b32_e32 v65, 1, v65
	v_cndmask_b32_e32 v55, v46, v55, vcc
	v_add_lshl_u32 v65, v65, v56, 2
	v_cndmask_b32_e32 v57, v47, v57, vcc
	ds_bpermute_b32 v67, v65, v55
	ds_bpermute_b32 v69, v65, v57
	v_cndmask_b32_e32 v68, v46, v66, vcc
	v_add_u32_e32 v66, 2, v56
	v_mov_b32_e32 v53, 0
	s_waitcnt lgkmcnt(1)
	v_add_co_u32_e64 v67, s[2:3], v67, v68
	s_waitcnt lgkmcnt(0)
	v_addc_co_u32_e64 v69, s[2:3], v69, v57, s[2:3]
	v_cmp_le_u32_e64 s[2:3], v66, v49
	v_cndmask_b32_e64 v55, v55, v67, s[2:3]
	v_cndmask_b32_e64 v57, v57, v69, s[2:3]
	;; [unrolled: 1-line block ×4, first 2 shown]
	v_lshlrev_b32_e32 v67, 2, v67
	v_add_lshl_u32 v67, v67, v56, 2
	ds_bpermute_b32 v70, v67, v55
	ds_bpermute_b32 v71, v67, v57
	s_or_b64 s[8:9], vcc, s[2:3]
	v_add_u32_e32 v68, 4, v56
	v_cmp_gt_u32_e64 s[2:3], 56, v54
	s_waitcnt lgkmcnt(1)
	v_add_co_u32_e32 v70, vcc, v70, v69
	s_waitcnt lgkmcnt(0)
	v_addc_co_u32_e32 v71, vcc, v71, v57, vcc
	v_cmp_le_u32_e32 vcc, v68, v49
	v_cndmask_b32_e32 v57, v57, v71, vcc
	v_cndmask_b32_e32 v71, v69, v70, vcc
	v_cndmask_b32_e64 v69, 0, 1, s[2:3]
	v_lshlrev_b32_e32 v69, 3, v69
	v_cndmask_b32_e32 v55, v55, v70, vcc
	v_add_lshl_u32 v69, v69, v56, 2
	ds_bpermute_b32 v72, v69, v55
	ds_bpermute_b32 v73, v69, v57
	s_or_b64 s[8:9], vcc, s[8:9]
	v_add_u32_e32 v70, 8, v56
	v_cmp_gt_u32_e64 s[2:3], 48, v54
	s_waitcnt lgkmcnt(1)
	v_add_co_u32_e32 v72, vcc, v72, v71
	s_waitcnt lgkmcnt(0)
	v_addc_co_u32_e32 v73, vcc, v73, v57, vcc
	v_cmp_le_u32_e32 vcc, v70, v49
	v_cndmask_b32_e32 v75, v71, v72, vcc
	v_cndmask_b32_e64 v71, 0, 1, s[2:3]
	v_lshlrev_b32_e32 v71, 4, v71
	v_cndmask_b32_e32 v55, v55, v72, vcc
	v_add_lshl_u32 v71, v71, v56, 2
	v_cndmask_b32_e32 v57, v57, v73, vcc
	ds_bpermute_b32 v73, v71, v55
	ds_bpermute_b32 v74, v71, v57
	s_or_b64 s[2:3], vcc, s[8:9]
	v_add_u32_e32 v72, 16, v56
	s_waitcnt lgkmcnt(1)
	v_add_co_u32_e32 v76, vcc, v73, v75
	s_waitcnt lgkmcnt(0)
	v_addc_co_u32_e32 v74, vcc, v74, v57, vcc
	v_cmp_le_u32_e32 vcc, v72, v49
	s_or_b64 s[8:9], vcc, s[2:3]
	v_cmp_gt_u32_e64 s[2:3], 32, v54
	v_cndmask_b32_e64 v54, 0, 1, s[2:3]
	v_lshlrev_b32_e32 v54, 5, v54
	v_cndmask_b32_e32 v55, v55, v76, vcc
	v_add_lshl_u32 v73, v54, v56, 2
	v_cndmask_b32_e32 v54, v57, v74, vcc
	ds_bpermute_b32 v55, v73, v55
	ds_bpermute_b32 v57, v73, v54
	v_add_u32_e32 v74, 32, v56
	v_cndmask_b32_e32 v56, v75, v76, vcc
	v_cmp_le_u32_e32 vcc, v74, v49
	s_waitcnt lgkmcnt(1)
	v_cndmask_b32_e32 v55, 0, v55, vcc
	s_waitcnt lgkmcnt(0)
	v_cndmask_b32_e32 v49, 0, v57, vcc
	v_add_co_u32_e64 v55, s[2:3], v55, v56
	v_addc_co_u32_e64 v49, s[2:3], v49, v54, s[2:3]
	s_or_b64 vcc, vcc, s[8:9]
	v_cndmask_b32_e32 v47, v47, v49, vcc
	v_cndmask_b32_e32 v46, v46, v55, vcc
	s_branch .LBB30_60
.LBB30_59:                              ;   in Loop: Header=BB30_60 Depth=1
	s_or_b64 exec, exec, s[2:3]
	v_cmp_eq_u16_sdwa s[2:3], v48, v62 src0_sel:BYTE_0 src1_sel:DWORD
	v_and_b32_e32 v49, s3, v45
	v_or_b32_e32 v49, 0x80000000, v49
	ds_bpermute_b32 v57, v63, v46
	v_and_b32_e32 v56, s2, v44
	v_ffbl_b32_e32 v49, v49
	v_add_u32_e32 v49, 32, v49
	v_ffbl_b32_e32 v56, v56
	v_min_u32_e32 v49, v56, v49
	ds_bpermute_b32 v56, v63, v47
	s_waitcnt lgkmcnt(1)
	v_add_co_u32_e32 v57, vcc, v46, v57
	v_addc_co_u32_e32 v75, vcc, 0, v47, vcc
	v_add_co_u32_e32 v76, vcc, 0, v57
	s_waitcnt lgkmcnt(0)
	v_addc_co_u32_e32 v56, vcc, v56, v75, vcc
	v_cmp_le_u32_e32 vcc, v64, v49
	v_cndmask_b32_e32 v57, v46, v57, vcc
	ds_bpermute_b32 v75, v65, v57
	v_cndmask_b32_e32 v56, v47, v56, vcc
	ds_bpermute_b32 v77, v65, v56
	v_cndmask_b32_e32 v76, v46, v76, vcc
	v_subrev_u32_e32 v52, 64, v52
	s_waitcnt lgkmcnt(1)
	v_add_co_u32_e64 v75, s[2:3], v75, v76
	s_waitcnt lgkmcnt(0)
	v_addc_co_u32_e64 v77, s[2:3], v77, v56, s[2:3]
	v_cmp_le_u32_e64 s[2:3], v66, v49
	v_cndmask_b32_e64 v57, v57, v75, s[2:3]
	v_cndmask_b32_e64 v56, v56, v77, s[2:3]
	ds_bpermute_b32 v77, v67, v57
	v_cndmask_b32_e64 v75, v76, v75, s[2:3]
	ds_bpermute_b32 v76, v67, v56
	s_or_b64 s[2:3], vcc, s[2:3]
	s_waitcnt lgkmcnt(1)
	v_add_co_u32_e32 v77, vcc, v77, v75
	s_waitcnt lgkmcnt(0)
	v_addc_co_u32_e32 v76, vcc, v76, v56, vcc
	v_cmp_le_u32_e32 vcc, v68, v49
	v_cndmask_b32_e32 v57, v57, v77, vcc
	v_cndmask_b32_e32 v56, v56, v76, vcc
	ds_bpermute_b32 v76, v69, v57
	v_cndmask_b32_e32 v75, v75, v77, vcc
	ds_bpermute_b32 v77, v69, v56
	s_or_b64 s[2:3], vcc, s[2:3]
	s_waitcnt lgkmcnt(1)
	v_add_co_u32_e32 v76, vcc, v76, v75
	s_waitcnt lgkmcnt(0)
	v_addc_co_u32_e32 v77, vcc, v77, v56, vcc
	v_cmp_le_u32_e32 vcc, v70, v49
	v_cndmask_b32_e32 v57, v57, v76, vcc
	v_cndmask_b32_e32 v56, v56, v77, vcc
	ds_bpermute_b32 v77, v71, v57
	v_cndmask_b32_e32 v75, v75, v76, vcc
	ds_bpermute_b32 v76, v71, v56
	s_or_b64 s[2:3], vcc, s[2:3]
	s_waitcnt lgkmcnt(1)
	v_add_co_u32_e32 v77, vcc, v77, v75
	s_waitcnt lgkmcnt(0)
	v_addc_co_u32_e32 v76, vcc, v76, v56, vcc
	v_cmp_le_u32_e32 vcc, v72, v49
	v_cndmask_b32_e32 v57, v57, v77, vcc
	v_cndmask_b32_e32 v56, v56, v76, vcc
	ds_bpermute_b32 v57, v73, v57
	ds_bpermute_b32 v76, v73, v56
	s_or_b64 s[8:9], vcc, s[2:3]
	v_cndmask_b32_e32 v75, v75, v77, vcc
	v_cmp_le_u32_e32 vcc, v74, v49
	s_waitcnt lgkmcnt(1)
	v_cndmask_b32_e32 v57, 0, v57, vcc
	s_waitcnt lgkmcnt(0)
	v_cndmask_b32_e32 v49, 0, v76, vcc
	v_add_co_u32_e64 v57, s[2:3], v57, v75
	s_or_b64 vcc, vcc, s[8:9]
	v_addc_co_u32_e64 v49, s[2:3], v49, v56, s[2:3]
	v_cndmask_b32_e32 v46, v46, v57, vcc
	v_cndmask_b32_e32 v47, v47, v49, vcc
	v_add_co_u32_e32 v46, vcc, v46, v54
	v_addc_co_u32_e32 v47, vcc, v47, v55, vcc
.LBB30_60:                              ; =>This Loop Header: Depth=1
                                        ;     Child Loop BB30_63 Depth 2
	v_cmp_ne_u16_sdwa s[2:3], v48, v62 src0_sel:BYTE_0 src1_sel:DWORD
	v_cndmask_b32_e64 v48, 0, 1, s[2:3]
	;;#ASMSTART
	;;#ASMEND
	v_cmp_ne_u32_e32 vcc, 0, v48
	s_cmp_lg_u64 vcc, exec
	v_pk_mov_b32 v[54:55], v[46:47], v[46:47] op_sel:[0,1]
	s_cbranch_scc1 .LBB30_65
; %bb.61:                               ;   in Loop: Header=BB30_60 Depth=1
	v_lshlrev_b64 v[46:47], 4, v[52:53]
	v_mov_b32_e32 v48, s21
	v_add_co_u32_e32 v56, vcc, s20, v46
	v_addc_co_u32_e32 v57, vcc, v48, v47, vcc
	;;#ASMSTART
	global_load_dwordx4 v[46:49], v[56:57] off glc	
s_waitcnt vmcnt(0)
	;;#ASMEND
	v_cmp_eq_u16_sdwa s[8:9], v48, v53 src0_sel:BYTE_0 src1_sel:DWORD
	s_and_saveexec_b64 s[2:3], s[8:9]
	s_cbranch_execz .LBB30_59
; %bb.62:                               ;   in Loop: Header=BB30_60 Depth=1
	s_mov_b64 s[8:9], 0
.LBB30_63:                              ;   Parent Loop BB30_60 Depth=1
                                        ; =>  This Inner Loop Header: Depth=2
	;;#ASMSTART
	global_load_dwordx4 v[46:49], v[56:57] off glc	
s_waitcnt vmcnt(0)
	;;#ASMEND
	v_cmp_ne_u16_sdwa s[14:15], v48, v53 src0_sel:BYTE_0 src1_sel:DWORD
	s_or_b64 s[8:9], s[14:15], s[8:9]
	s_andn2_b64 exec, exec, s[8:9]
	s_cbranch_execnz .LBB30_63
; %bb.64:                               ;   in Loop: Header=BB30_60 Depth=1
	s_or_b64 exec, exec, s[8:9]
	s_branch .LBB30_59
.LBB30_65:                              ;   in Loop: Header=BB30_60 Depth=1
                                        ; implicit-def: $vgpr46_vgpr47
                                        ; implicit-def: $vgpr48
	s_cbranch_execz .LBB30_60
; %bb.66:
	s_and_saveexec_b64 s[2:3], s[0:1]
	s_cbranch_execz .LBB30_68
; %bb.67:
	s_add_i32 s0, s6, 64
	s_mov_b32 s1, 0
	s_lshl_b64 s[0:1], s[0:1], 4
	s_add_u32 s0, s20, s0
	v_add_co_u32_e32 v42, vcc, v54, v42
	s_addc_u32 s1, s21, s1
	v_addc_co_u32_e32 v43, vcc, v55, v43, vcc
	v_mov_b32_e32 v44, 2
	v_mov_b32_e32 v45, 0
	v_pk_mov_b32 v[46:47], s[0:1], s[0:1] op_sel:[0,1]
	;;#ASMSTART
	global_store_dwordx4 v[46:47], v[42:45] off	
s_waitcnt vmcnt(0)
	;;#ASMEND
.LBB30_68:
	s_or_b64 exec, exec, s[2:3]
	v_cmp_eq_u32_e32 vcc, 0, v0
	s_and_b64 exec, exec, vcc
	s_cbranch_execz .LBB30_70
; %bb.69:
	v_mov_b32_e32 v42, 0
	ds_write_b64 v42, v[54:55]
.LBB30_70:
	s_or_b64 exec, exec, s[12:13]
	v_mov_b32_e32 v42, 0
	s_waitcnt lgkmcnt(0)
	; wave barrier
	s_waitcnt lgkmcnt(0)
	ds_read_b64 v[42:43], v42
	v_cmp_ne_u32_e32 vcc, 0, v0
	v_cndmask_b32_e32 v1, 0, v1, vcc
	v_cndmask_b32_e32 v44, 0, v61, vcc
	v_add_co_u32_e32 v1, vcc, v1, v34
	v_addc_co_u32_e32 v44, vcc, v44, v35, vcc
	s_waitcnt lgkmcnt(0)
	v_add_co_u32_e32 v42, vcc, v1, v42
	v_addc_co_u32_e32 v43, vcc, v44, v43, vcc
	s_load_dwordx4 s[12:15], s[4:5], 0x38
	s_branch .LBB30_81
.LBB30_71:
                                        ; implicit-def: $vgpr42_vgpr43
	s_load_dwordx4 s[12:15], s[4:5], 0x38
	s_cbranch_execz .LBB30_81
; %bb.72:
	s_load_dword s0, s[4:5], 0x48
	v_cmp_eq_u32_e32 vcc, 0, v0
	s_waitcnt lgkmcnt(0)
	s_bitcmp1_b32 s0, 0
	s_cselect_b64 s[0:1], -1, 0
	s_and_b64 s[0:1], vcc, s[0:1]
	s_and_saveexec_b64 s[2:3], s[0:1]
	s_cbranch_execz .LBB30_74
; %bb.73:
	s_load_dwordx2 s[0:1], s[12:13], 0x0
	s_waitcnt lgkmcnt(0)
	v_mov_b32_e32 v1, s1
	v_add_co_u32_e64 v34, s[0:1], s0, v34
	v_addc_co_u32_e64 v35, s[0:1], v1, v35, s[0:1]
.LBB30_74:
	s_or_b64 exec, exec, s[2:3]
	v_add_co_u32_e64 v1, s[0:1], v38, v36
	v_addc_co_u32_e64 v42, s[0:1], v39, v37, s[0:1]
	v_add_co_u32_e64 v1, s[0:1], v1, v40
	v_addc_co_u32_e64 v42, s[0:1], v42, v41, s[0:1]
	;; [unrolled: 2-line block ×20, first 2 shown]
	s_nop 0
	v_mov_b32_dpp v44, v42 row_shr:1 row_mask:0xf bank_mask:0xf
	v_add_co_u32_e64 v44, s[0:1], v42, v44
	v_addc_co_u32_e64 v47, s[0:1], 0, v43, s[0:1]
	v_mbcnt_hi_u32_b32 v45, -1, v60
	v_mov_b32_dpp v46, v43 row_shr:1 row_mask:0xf bank_mask:0xf
	v_add_co_u32_e64 v48, s[0:1], 0, v44
	v_and_b32_e32 v1, 15, v45
	v_addc_co_u32_e64 v46, s[0:1], v47, v46, s[0:1]
	v_cmp_eq_u32_e64 s[0:1], 0, v1
	v_cndmask_b32_e64 v44, v44, v42, s[0:1]
	v_cndmask_b32_e64 v46, v46, v43, s[0:1]
	v_cndmask_b32_e64 v47, v48, v42, s[0:1]
	v_mov_b32_dpp v48, v44 row_shr:2 row_mask:0xf bank_mask:0xf
	v_mov_b32_dpp v49, v46 row_shr:2 row_mask:0xf bank_mask:0xf
	v_add_co_u32_e64 v48, s[0:1], v48, v47
	v_addc_co_u32_e64 v49, s[0:1], v49, v46, s[0:1]
	v_cmp_lt_u32_e64 s[0:1], 1, v1
	v_cndmask_b32_e64 v44, v44, v48, s[0:1]
	v_cndmask_b32_e64 v46, v46, v49, s[0:1]
	v_cndmask_b32_e64 v47, v47, v48, s[0:1]
	v_mov_b32_dpp v48, v44 row_shr:4 row_mask:0xf bank_mask:0xf
	v_mov_b32_dpp v49, v46 row_shr:4 row_mask:0xf bank_mask:0xf
	v_add_co_u32_e64 v48, s[0:1], v48, v47
	v_addc_co_u32_e64 v49, s[0:1], v49, v46, s[0:1]
	v_cmp_lt_u32_e64 s[0:1], 3, v1
	;; [unrolled: 8-line block ×3, first 2 shown]
	v_cndmask_b32_e64 v52, v44, v48, s[0:1]
	v_cndmask_b32_e64 v1, v46, v49, s[0:1]
	;; [unrolled: 1-line block ×3, first 2 shown]
	v_mov_b32_dpp v46, v52 row_bcast:15 row_mask:0xf bank_mask:0xf
	v_mov_b32_dpp v47, v1 row_bcast:15 row_mask:0xf bank_mask:0xf
	v_add_co_u32_e64 v46, s[0:1], v46, v44
	v_and_b32_e32 v49, 16, v45
	v_addc_co_u32_e64 v48, s[0:1], v47, v1, s[0:1]
	v_cmp_eq_u32_e64 s[0:1], 0, v49
	v_cndmask_b32_e64 v49, v48, v1, s[0:1]
	v_cndmask_b32_e64 v47, v46, v52, s[0:1]
	v_cmp_ne_u32_e64 s[2:3], 0, v45
	v_mov_b32_dpp v49, v49 row_bcast:31 row_mask:0xf bank_mask:0xf
	v_mov_b32_dpp v47, v47 row_bcast:31 row_mask:0xf bank_mask:0xf
	s_and_saveexec_b64 s[6:7], s[2:3]
; %bb.75:
	v_cndmask_b32_e64 v1, v48, v1, s[0:1]
	v_cndmask_b32_e64 v42, v46, v44, s[0:1]
	v_cmp_lt_u32_e64 s[0:1], 31, v45
	v_cndmask_b32_e64 v44, 0, v47, s[0:1]
	v_cndmask_b32_e64 v43, 0, v49, s[0:1]
	v_add_co_u32_e64 v42, s[0:1], v42, v44
	v_addc_co_u32_e64 v43, s[0:1], v1, v43, s[0:1]
; %bb.76:
	s_or_b64 exec, exec, s[6:7]
	v_cmp_eq_u32_e64 s[0:1], 63, v0
	s_and_saveexec_b64 s[2:3], s[0:1]
	s_cbranch_execz .LBB30_78
; %bb.77:
	v_mov_b32_e32 v1, 0
	ds_write_b64 v1, v[42:43]
.LBB30_78:
	s_or_b64 exec, exec, s[2:3]
	v_add_u32_e32 v1, -1, v45
	v_and_b32_e32 v44, 64, v45
	v_cmp_lt_i32_e64 s[0:1], v1, v44
	v_cndmask_b32_e64 v1, v1, v45, s[0:1]
	v_lshlrev_b32_e32 v1, 2, v1
	ds_bpermute_b32 v43, v1, v43
	ds_bpermute_b32 v1, v1, v42
	s_waitcnt lgkmcnt(0)
	; wave barrier
	s_waitcnt lgkmcnt(0)
	v_cndmask_b32_e64 v43, v43, 0, vcc
	v_cndmask_b32_e64 v1, v1, 0, vcc
	v_add_co_u32_e64 v42, s[0:1], v1, v34
	v_addc_co_u32_e64 v43, s[0:1], v43, v35, s[0:1]
	s_and_saveexec_b64 s[0:1], vcc
	s_cbranch_execz .LBB30_80
; %bb.79:
	s_add_u32 s2, s20, 0x400
	v_mov_b32_e32 v47, 0
	s_addc_u32 s3, s21, 0
	ds_read_b64 v[44:45], v47
	v_mov_b32_e32 v46, 2
	v_pk_mov_b32 v[34:35], s[2:3], s[2:3] op_sel:[0,1]
	s_waitcnt lgkmcnt(0)
	;;#ASMSTART
	global_store_dwordx4 v[34:35], v[44:47] off	
s_waitcnt vmcnt(0)
	;;#ASMEND
.LBB30_80:
	s_or_b64 exec, exec, s[0:1]
.LBB30_81:
	v_add_co_u32_e32 v44, vcc, v42, v36
	v_addc_co_u32_e32 v45, vcc, v43, v37, vcc
	v_add_co_u32_e32 v34, vcc, v44, v38
	v_addc_co_u32_e32 v35, vcc, v45, v39, vcc
	;; [unrolled: 2-line block ×20, first 2 shown]
	s_add_u32 s0, s10, s18
	s_addc_u32 s1, s11, s19
	s_mov_b64 s[2:3], -1
	s_and_b64 vcc, exec, s[16:17]
	s_waitcnt lgkmcnt(0)
	; wave barrier
	s_waitcnt lgkmcnt(0)
	s_cbranch_vccz .LBB30_83
; %bb.82:
	v_mul_u32_u24_e32 v1, 0xa8, v0
	s_movk_i32 s2, 0xa8
	ds_write2_b64 v1, v[42:43], v[44:45] offset1:1
	ds_write2_b64 v1, v[34:35], v[38:39] offset0:2 offset1:3
	ds_write2_b64 v1, v[30:31], v[36:37] offset0:4 offset1:5
	ds_write2_b64 v1, v[26:27], v[32:33] offset0:6 offset1:7
	ds_write2_b64 v1, v[22:23], v[28:29] offset0:8 offset1:9
	ds_write2_b64 v1, v[18:19], v[24:25] offset0:10 offset1:11
	ds_write2_b64 v1, v[14:15], v[20:21] offset0:12 offset1:13
	ds_write2_b64 v1, v[10:11], v[16:17] offset0:14 offset1:15
	ds_write2_b64 v1, v[6:7], v[12:13] offset0:16 offset1:17
	ds_write2_b64 v1, v[2:3], v[4:5] offset0:18 offset1:19
	ds_write_b64 v1, v[8:9] offset:160
	v_mul_i32_i24_e32 v1, 0xffffff60, v0
	v_mad_u32_u24 v1, v0, s2, v1
	s_waitcnt lgkmcnt(0)
	; wave barrier
	s_waitcnt lgkmcnt(0)
	ds_read2st64_b64 v[46:49], v1 offset1:1
	ds_read2st64_b64 v[50:53], v1 offset0:2 offset1:3
	ds_read2st64_b64 v[54:57], v1 offset0:4 offset1:5
	;; [unrolled: 1-line block ×9, first 2 shown]
	ds_read_b64 v[40:41], v1 offset:10240
	v_mov_b32_e32 v1, s1
	v_add_co_u32_e32 v88, vcc, s0, v58
	v_addc_co_u32_e32 v1, vcc, 0, v1, vcc
	s_movk_i32 s2, 0x1000
	s_waitcnt lgkmcnt(10)
	global_store_dwordx2 v58, v[46:47], s[0:1]
	global_store_dwordx2 v58, v[48:49], s[0:1] offset:512
	s_waitcnt lgkmcnt(9)
	global_store_dwordx2 v58, v[50:51], s[0:1] offset:1024
	global_store_dwordx2 v58, v[52:53], s[0:1] offset:1536
	s_waitcnt lgkmcnt(8)
	global_store_dwordx2 v58, v[54:55], s[0:1] offset:2048
	;; [unrolled: 3-line block ×3, first 2 shown]
	global_store_dwordx2 v58, v[62:63], s[0:1] offset:3584
	v_add_co_u32_e32 v46, vcc, s2, v88
	v_addc_co_u32_e32 v47, vcc, 0, v1, vcc
	s_waitcnt lgkmcnt(6)
	global_store_dwordx2 v[46:47], v[64:65], off
	global_store_dwordx2 v[46:47], v[66:67], off offset:512
	s_waitcnt lgkmcnt(5)
	global_store_dwordx2 v[46:47], v[68:69], off offset:1024
	global_store_dwordx2 v[46:47], v[70:71], off offset:1536
	s_waitcnt lgkmcnt(4)
	global_store_dwordx2 v[46:47], v[72:73], off offset:2048
	;; [unrolled: 3-line block ×3, first 2 shown]
	global_store_dwordx2 v[46:47], v[78:79], off offset:3584
	v_add_co_u32_e32 v46, vcc, 0x2000, v88
	v_addc_co_u32_e32 v47, vcc, 0, v1, vcc
	s_waitcnt lgkmcnt(2)
	global_store_dwordx2 v[46:47], v[80:81], off
	global_store_dwordx2 v[46:47], v[82:83], off offset:512
	s_waitcnt lgkmcnt(1)
	global_store_dwordx2 v[46:47], v[84:85], off offset:1024
	global_store_dwordx2 v[46:47], v[86:87], off offset:1536
	s_waitcnt lgkmcnt(0)
	global_store_dwordx2 v[46:47], v[40:41], off offset:2048
	s_mov_b64 s[2:3], 0
.LBB30_83:
	s_andn2_b64 vcc, exec, s[2:3]
	s_cbranch_vccnz .LBB30_204
; %bb.84:
	v_mul_u32_u24_e32 v1, 0xa8, v0
	s_movk_i32 s2, 0xa8
	ds_write2_b64 v1, v[42:43], v[44:45] offset1:1
	ds_write2_b64 v1, v[34:35], v[38:39] offset0:2 offset1:3
	ds_write2_b64 v1, v[30:31], v[36:37] offset0:4 offset1:5
	;; [unrolled: 1-line block ×9, first 2 shown]
	ds_write_b64 v1, v[8:9] offset:160
	v_mul_i32_i24_e32 v2, 0xffffff60, v0
	v_mad_u32_u24 v42, v0, s2, v2
	s_waitcnt lgkmcnt(0)
	; wave barrier
	s_waitcnt lgkmcnt(0)
	ds_read2st64_b64 v[6:9], v42 offset1:1
	ds_read2st64_b64 v[10:13], v42 offset0:2 offset1:3
	ds_read2st64_b64 v[14:17], v42 offset0:4 offset1:5
	;; [unrolled: 1-line block ×9, first 2 shown]
	ds_read_b64 v[42:43], v42 offset:10240
	v_mov_b32_e32 v45, s1
	v_add_co_u32_e32 v44, vcc, s0, v58
	v_addc_co_u32_e32 v45, vcc, 0, v45, vcc
	v_mov_b32_e32 v1, 0
	v_cmp_gt_u32_e32 vcc, s22, v0
	s_and_saveexec_b64 s[0:1], vcc
	s_cbranch_execz .LBB30_86
; %bb.85:
	s_waitcnt lgkmcnt(10)
	global_store_dwordx2 v[44:45], v[6:7], off
.LBB30_86:
	s_or_b64 exec, exec, s[0:1]
	v_or_b32_e32 v46, 64, v0
	v_cmp_gt_u32_e32 vcc, s22, v46
	s_and_saveexec_b64 s[0:1], vcc
	s_cbranch_execz .LBB30_88
; %bb.87:
	s_waitcnt lgkmcnt(10)
	global_store_dwordx2 v[44:45], v[8:9], off offset:512
.LBB30_88:
	s_or_b64 exec, exec, s[0:1]
	v_or_b32_e32 v46, 0x80, v0
	v_cmp_gt_u32_e32 vcc, s22, v46
	s_and_saveexec_b64 s[0:1], vcc
	s_cbranch_execz .LBB30_90
; %bb.89:
	s_waitcnt lgkmcnt(9)
	global_store_dwordx2 v[44:45], v[10:11], off offset:1024
.LBB30_90:
	s_or_b64 exec, exec, s[0:1]
	v_or_b32_e32 v46, 0xc0, v0
	v_cmp_gt_u32_e32 vcc, s22, v46
	s_and_saveexec_b64 s[0:1], vcc
	s_cbranch_execz .LBB30_92
; %bb.91:
	s_waitcnt lgkmcnt(9)
	global_store_dwordx2 v[44:45], v[12:13], off offset:1536
.LBB30_92:
	s_or_b64 exec, exec, s[0:1]
	v_or_b32_e32 v46, 0x100, v0
	v_cmp_gt_u32_e32 vcc, s22, v46
	s_and_saveexec_b64 s[0:1], vcc
	s_cbranch_execz .LBB30_94
; %bb.93:
	s_waitcnt lgkmcnt(8)
	global_store_dwordx2 v[44:45], v[14:15], off offset:2048
.LBB30_94:
	s_or_b64 exec, exec, s[0:1]
	v_or_b32_e32 v46, 0x140, v0
	v_cmp_gt_u32_e32 vcc, s22, v46
	s_and_saveexec_b64 s[0:1], vcc
	s_cbranch_execz .LBB30_96
; %bb.95:
	s_waitcnt lgkmcnt(8)
	global_store_dwordx2 v[44:45], v[16:17], off offset:2560
.LBB30_96:
	s_or_b64 exec, exec, s[0:1]
	v_or_b32_e32 v46, 0x180, v0
	v_cmp_gt_u32_e32 vcc, s22, v46
	s_and_saveexec_b64 s[0:1], vcc
	s_cbranch_execz .LBB30_98
; %bb.97:
	s_waitcnt lgkmcnt(7)
	global_store_dwordx2 v[44:45], v[26:27], off offset:3072
.LBB30_98:
	s_or_b64 exec, exec, s[0:1]
	v_or_b32_e32 v46, 0x1c0, v0
	v_cmp_gt_u32_e32 vcc, s22, v46
	s_and_saveexec_b64 s[0:1], vcc
	s_cbranch_execz .LBB30_100
; %bb.99:
	s_waitcnt lgkmcnt(7)
	global_store_dwordx2 v[44:45], v[28:29], off offset:3584
.LBB30_100:
	s_or_b64 exec, exec, s[0:1]
	v_or_b32_e32 v46, 0x200, v0
	v_cmp_gt_u32_e32 vcc, s22, v46
	s_and_saveexec_b64 s[0:1], vcc
	s_cbranch_execz .LBB30_102
; %bb.101:
	v_add_co_u32_e32 v46, vcc, 0x1000, v44
	v_addc_co_u32_e32 v47, vcc, 0, v45, vcc
	s_waitcnt lgkmcnt(6)
	global_store_dwordx2 v[46:47], v[18:19], off
.LBB30_102:
	s_or_b64 exec, exec, s[0:1]
	v_or_b32_e32 v46, 0x240, v0
	v_cmp_gt_u32_e32 vcc, s22, v46
	s_and_saveexec_b64 s[0:1], vcc
	s_cbranch_execz .LBB30_104
; %bb.103:
	v_add_co_u32_e32 v46, vcc, 0x1000, v44
	v_addc_co_u32_e32 v47, vcc, 0, v45, vcc
	s_waitcnt lgkmcnt(6)
	global_store_dwordx2 v[46:47], v[20:21], off offset:512
.LBB30_104:
	s_or_b64 exec, exec, s[0:1]
	v_or_b32_e32 v46, 0x280, v0
	v_cmp_gt_u32_e32 vcc, s22, v46
	s_and_saveexec_b64 s[0:1], vcc
	s_cbranch_execz .LBB30_106
; %bb.105:
	v_add_co_u32_e32 v46, vcc, 0x1000, v44
	v_addc_co_u32_e32 v47, vcc, 0, v45, vcc
	s_waitcnt lgkmcnt(5)
	global_store_dwordx2 v[46:47], v[2:3], off offset:1024
.LBB30_106:
	;; [unrolled: 11-line block ×7, first 2 shown]
	s_or_b64 exec, exec, s[0:1]
	v_or_b32_e32 v46, 0x400, v0
	v_cmp_gt_u32_e32 vcc, s22, v46
	s_and_saveexec_b64 s[0:1], vcc
	s_cbranch_execz .LBB30_118
; %bb.117:
	v_add_co_u32_e32 v46, vcc, 0x2000, v44
	v_addc_co_u32_e32 v47, vcc, 0, v45, vcc
	s_waitcnt lgkmcnt(2)
	global_store_dwordx2 v[46:47], v[38:39], off
.LBB30_118:
	s_or_b64 exec, exec, s[0:1]
	v_or_b32_e32 v46, 0x440, v0
	v_cmp_gt_u32_e32 vcc, s22, v46
	s_and_saveexec_b64 s[0:1], vcc
	s_cbranch_execz .LBB30_120
; %bb.119:
	v_add_co_u32_e32 v46, vcc, 0x2000, v44
	v_addc_co_u32_e32 v47, vcc, 0, v45, vcc
	s_waitcnt lgkmcnt(2)
	global_store_dwordx2 v[46:47], v[40:41], off offset:512
.LBB30_120:
	s_or_b64 exec, exec, s[0:1]
	v_or_b32_e32 v46, 0x480, v0
	v_cmp_gt_u32_e32 vcc, s22, v46
	s_and_saveexec_b64 s[0:1], vcc
	s_cbranch_execz .LBB30_122
; %bb.121:
	v_add_co_u32_e32 v46, vcc, 0x2000, v44
	v_addc_co_u32_e32 v47, vcc, 0, v45, vcc
	s_waitcnt lgkmcnt(1)
	global_store_dwordx2 v[46:47], v[34:35], off offset:1024
.LBB30_122:
	;; [unrolled: 11-line block ×4, first 2 shown]
	s_or_b64 exec, exec, s[0:1]
	s_load_dword s0, s[4:5], 0x48
	s_waitcnt lgkmcnt(0)
	s_bfe_u32 s0, s0, 0x10008
	s_cmp_eq_u32 s0, 0
	s_cbranch_scc1 .LBB30_204
; %bb.127:
	s_add_u32 s0, s22, -1
	s_addc_u32 s1, s23, -1
	s_add_u32 s2, 0, 0x30c26c00
	s_addc_u32 s3, 0, 44
	s_add_i32 s3, s3, 0xc30c2e0
	s_mul_hi_u32 s7, s2, 0xffffffeb
	s_sub_i32 s7, s7, s2
	s_mul_i32 s8, s3, 0xffffffeb
	s_mul_i32 s4, s2, 0xffffffeb
	s_add_i32 s7, s7, s8
	s_mul_hi_u32 s5, s3, s4
	s_mul_i32 s6, s3, s4
	s_mul_i32 s9, s2, s7
	s_mul_hi_u32 s4, s2, s4
	s_mul_hi_u32 s8, s2, s7
	s_add_u32 s4, s4, s9
	s_addc_u32 s8, 0, s8
	s_add_u32 s4, s4, s6
	s_mul_hi_u32 s9, s3, s7
	s_addc_u32 s4, s8, s5
	s_addc_u32 s5, s9, 0
	s_mul_i32 s6, s3, s7
	s_add_u32 s4, s4, s6
	v_mov_b32_e32 v44, s4
	s_addc_u32 s5, 0, s5
	v_add_co_u32_e32 v44, vcc, s2, v44
	s_cmp_lg_u64 vcc, 0
	s_addc_u32 s2, s3, s5
	v_readfirstlane_b32 s5, v44
	s_mul_i32 s4, s0, s2
	s_mul_hi_u32 s6, s0, s5
	s_mul_hi_u32 s3, s0, s2
	s_add_u32 s4, s6, s4
	s_addc_u32 s3, 0, s3
	s_mul_hi_u32 s7, s1, s5
	s_mul_i32 s5, s1, s5
	s_add_u32 s4, s4, s5
	s_mul_hi_u32 s6, s1, s2
	s_addc_u32 s3, s3, s7
	s_addc_u32 s4, s6, 0
	s_mul_i32 s2, s1, s2
	s_add_u32 s2, s3, s2
	s_addc_u32 s3, 0, s4
	s_add_u32 s4, s2, 1
	s_addc_u32 s5, s3, 0
	s_add_u32 s6, s2, 2
	s_mul_i32 s8, s3, 21
	s_mul_hi_u32 s9, s2, 21
	s_addc_u32 s7, s3, 0
	s_add_i32 s9, s9, s8
	s_mul_i32 s8, s2, 21
	v_mov_b32_e32 v44, s8
	v_sub_co_u32_e32 v44, vcc, s0, v44
	s_cmp_lg_u64 vcc, 0
	s_subb_u32 s8, s1, s9
	v_subrev_co_u32_e32 v45, vcc, 21, v44
	s_cmp_lg_u64 vcc, 0
	s_subb_u32 s9, s8, 0
	v_readfirstlane_b32 s10, v45
	s_cmp_gt_u32 s10, 20
	s_cselect_b32 s10, -1, 0
	s_cmp_eq_u32 s9, 0
	s_cselect_b32 s9, s10, -1
	s_cmp_lg_u32 s9, 0
	s_cselect_b32 s4, s6, s4
	v_readfirstlane_b32 s6, v44
	s_cselect_b32 s5, s7, s5
	s_cmp_gt_u32 s6, 20
	s_cselect_b32 s6, -1, 0
	s_cmp_eq_u32 s8, 0
	s_cselect_b32 s6, s6, -1
	s_cmp_lg_u32 s6, 0
	s_cselect_b32 s3, s5, s3
	s_cselect_b32 s2, s4, s2
	v_cmp_eq_u64_e32 vcc, s[2:3], v[0:1]
	s_and_saveexec_b64 s[2:3], vcc
	s_cbranch_execz .LBB30_204
; %bb.128:
	v_mul_hi_u32_u24_e32 v1, 21, v0
	v_mov_b32_e32 v44, s1
	v_sub_co_u32_e32 v0, vcc, s0, v59
	v_subb_co_u32_e32 v1, vcc, v44, v1, vcc
	v_cmp_lt_i64_e32 vcc, 10, v[0:1]
	s_and_saveexec_b64 s[0:1], vcc
	s_xor_b64 s[0:1], exec, s[0:1]
	s_cbranch_execz .LBB30_166
; %bb.129:
	v_cmp_lt_i64_e32 vcc, 15, v[0:1]
	s_and_saveexec_b64 s[2:3], vcc
	s_xor_b64 s[2:3], exec, s[2:3]
	s_cbranch_execz .LBB30_147
; %bb.130:
	;; [unrolled: 5-line block ×5, first 2 shown]
	v_mov_b32_e32 v0, 0
	global_store_dwordx2 v0, v[42:43], s[14:15]
                                        ; implicit-def: $vgpr34_vgpr35_vgpr36_vgpr37
.LBB30_134:
	s_andn2_saveexec_b64 s[8:9], s[8:9]
	s_cbranch_execz .LBB30_136
; %bb.135:
	v_mov_b32_e32 v0, 0
	global_store_dwordx2 v0, v[36:37], s[14:15]
.LBB30_136:
	s_or_b64 exec, exec, s[8:9]
                                        ; implicit-def: $vgpr34_vgpr35_vgpr36_vgpr37
.LBB30_137:
	s_andn2_saveexec_b64 s[6:7], s[6:7]
	s_cbranch_execz .LBB30_139
; %bb.138:
	v_mov_b32_e32 v0, 0
	global_store_dwordx2 v0, v[34:35], s[14:15]
.LBB30_139:
	s_or_b64 exec, exec, s[6:7]
                                        ; implicit-def: $vgpr38_vgpr39_vgpr40_vgpr41
                                        ; implicit-def: $vgpr0_vgpr1
.LBB30_140:
	s_andn2_saveexec_b64 s[4:5], s[4:5]
	s_cbranch_execz .LBB30_146
; %bb.141:
	v_cmp_lt_i64_e32 vcc, 16, v[0:1]
	s_and_saveexec_b64 s[6:7], vcc
	s_xor_b64 s[6:7], exec, s[6:7]
	s_cbranch_execz .LBB30_143
; %bb.142:
	v_mov_b32_e32 v0, 0
	global_store_dwordx2 v0, v[40:41], s[14:15]
                                        ; implicit-def: $vgpr38_vgpr39_vgpr40_vgpr41
.LBB30_143:
	s_andn2_saveexec_b64 s[6:7], s[6:7]
	s_cbranch_execz .LBB30_145
; %bb.144:
	v_mov_b32_e32 v0, 0
	global_store_dwordx2 v0, v[38:39], s[14:15]
.LBB30_145:
	s_or_b64 exec, exec, s[6:7]
.LBB30_146:
	s_or_b64 exec, exec, s[4:5]
                                        ; implicit-def: $vgpr0_vgpr1
                                        ; implicit-def: $vgpr2_vgpr3_vgpr4_vgpr5
                                        ; implicit-def: $vgpr22_vgpr23_vgpr24_vgpr25
                                        ; implicit-def: $vgpr30_vgpr31_vgpr32_vgpr33
.LBB30_147:
	s_andn2_saveexec_b64 s[2:3], s[2:3]
	s_cbranch_execz .LBB30_165
; %bb.148:
	v_cmp_lt_i64_e32 vcc, 12, v[0:1]
	s_and_saveexec_b64 s[4:5], vcc
	s_xor_b64 s[4:5], exec, s[4:5]
	s_cbranch_execz .LBB30_158
; %bb.149:
	v_cmp_lt_i64_e32 vcc, 13, v[0:1]
	s_and_saveexec_b64 s[6:7], vcc
	s_xor_b64 s[6:7], exec, s[6:7]
	;; [unrolled: 5-line block ×3, first 2 shown]
	s_cbranch_execz .LBB30_152
; %bb.151:
	v_mov_b32_e32 v0, 0
	global_store_dwordx2 v0, v[32:33], s[14:15]
                                        ; implicit-def: $vgpr30_vgpr31_vgpr32_vgpr33
.LBB30_152:
	s_andn2_saveexec_b64 s[8:9], s[8:9]
	s_cbranch_execz .LBB30_154
; %bb.153:
	v_mov_b32_e32 v0, 0
	global_store_dwordx2 v0, v[30:31], s[14:15]
.LBB30_154:
	s_or_b64 exec, exec, s[8:9]
                                        ; implicit-def: $vgpr22_vgpr23_vgpr24_vgpr25
.LBB30_155:
	s_andn2_saveexec_b64 s[6:7], s[6:7]
	s_cbranch_execz .LBB30_157
; %bb.156:
	v_mov_b32_e32 v0, 0
	global_store_dwordx2 v0, v[24:25], s[14:15]
.LBB30_157:
	s_or_b64 exec, exec, s[6:7]
                                        ; implicit-def: $vgpr2_vgpr3_vgpr4_vgpr5
                                        ; implicit-def: $vgpr0_vgpr1
                                        ; implicit-def: $vgpr22_vgpr23_vgpr24_vgpr25
.LBB30_158:
	s_andn2_saveexec_b64 s[4:5], s[4:5]
	s_cbranch_execz .LBB30_164
; %bb.159:
	v_cmp_lt_i64_e32 vcc, 11, v[0:1]
	s_and_saveexec_b64 s[6:7], vcc
	s_xor_b64 s[6:7], exec, s[6:7]
	s_cbranch_execz .LBB30_161
; %bb.160:
	v_mov_b32_e32 v0, 0
	global_store_dwordx2 v0, v[22:23], s[14:15]
                                        ; implicit-def: $vgpr2_vgpr3_vgpr4_vgpr5
.LBB30_161:
	s_andn2_saveexec_b64 s[6:7], s[6:7]
	s_cbranch_execz .LBB30_163
; %bb.162:
	v_mov_b32_e32 v0, 0
	global_store_dwordx2 v0, v[4:5], s[14:15]
.LBB30_163:
	s_or_b64 exec, exec, s[6:7]
.LBB30_164:
	s_or_b64 exec, exec, s[4:5]
.LBB30_165:
	s_or_b64 exec, exec, s[2:3]
                                        ; implicit-def: $vgpr0_vgpr1
                                        ; implicit-def: $vgpr26_vgpr27_vgpr28_vgpr29
                                        ; implicit-def: $vgpr10_vgpr11_vgpr12_vgpr13
                                        ; implicit-def: $vgpr6_vgpr7_vgpr8_vgpr9
                                        ; implicit-def: $vgpr18_vgpr19_vgpr20_vgpr21
                                        ; implicit-def: $vgpr14_vgpr15_vgpr16_vgpr17
                                        ; implicit-def: $vgpr2_vgpr3_vgpr4_vgpr5
.LBB30_166:
	s_andn2_saveexec_b64 s[0:1], s[0:1]
	s_cbranch_execz .LBB30_204
; %bb.167:
	v_cmp_lt_i64_e32 vcc, 5, v[0:1]
	s_and_saveexec_b64 s[0:1], vcc
	s_xor_b64 s[0:1], exec, s[0:1]
	s_cbranch_execz .LBB30_185
; %bb.168:
	v_cmp_lt_i64_e32 vcc, 7, v[0:1]
	s_and_saveexec_b64 s[2:3], vcc
	s_xor_b64 s[2:3], exec, s[2:3]
	s_cbranch_execz .LBB30_178
; %bb.169:
	v_cmp_lt_i64_e32 vcc, 8, v[0:1]
	s_and_saveexec_b64 s[4:5], vcc
	s_xor_b64 s[4:5], exec, s[4:5]
	s_cbranch_execz .LBB30_175
; %bb.170:
	v_cmp_lt_i64_e32 vcc, 9, v[0:1]
	s_and_saveexec_b64 s[6:7], vcc
	s_xor_b64 s[6:7], exec, s[6:7]
	s_cbranch_execz .LBB30_172
; %bb.171:
	v_mov_b32_e32 v0, 0
	global_store_dwordx2 v0, v[2:3], s[14:15]
                                        ; implicit-def: $vgpr18_vgpr19_vgpr20_vgpr21
.LBB30_172:
	s_andn2_saveexec_b64 s[6:7], s[6:7]
	s_cbranch_execz .LBB30_174
; %bb.173:
	v_mov_b32_e32 v0, 0
	global_store_dwordx2 v0, v[20:21], s[14:15]
.LBB30_174:
	s_or_b64 exec, exec, s[6:7]
                                        ; implicit-def: $vgpr18_vgpr19_vgpr20_vgpr21
.LBB30_175:
	s_andn2_saveexec_b64 s[4:5], s[4:5]
	s_cbranch_execz .LBB30_177
; %bb.176:
	v_mov_b32_e32 v0, 0
	global_store_dwordx2 v0, v[18:19], s[14:15]
.LBB30_177:
	s_or_b64 exec, exec, s[4:5]
                                        ; implicit-def: $vgpr26_vgpr27_vgpr28_vgpr29
                                        ; implicit-def: $vgpr0_vgpr1
.LBB30_178:
	s_andn2_saveexec_b64 s[2:3], s[2:3]
	s_cbranch_execz .LBB30_184
; %bb.179:
	v_cmp_lt_i64_e32 vcc, 6, v[0:1]
	s_and_saveexec_b64 s[4:5], vcc
	s_xor_b64 s[4:5], exec, s[4:5]
	s_cbranch_execz .LBB30_181
; %bb.180:
	v_mov_b32_e32 v0, 0
	global_store_dwordx2 v0, v[28:29], s[14:15]
                                        ; implicit-def: $vgpr26_vgpr27_vgpr28_vgpr29
.LBB30_181:
	s_andn2_saveexec_b64 s[4:5], s[4:5]
	s_cbranch_execz .LBB30_183
; %bb.182:
	v_mov_b32_e32 v0, 0
	global_store_dwordx2 v0, v[26:27], s[14:15]
.LBB30_183:
	s_or_b64 exec, exec, s[4:5]
.LBB30_184:
	s_or_b64 exec, exec, s[2:3]
                                        ; implicit-def: $vgpr0_vgpr1
                                        ; implicit-def: $vgpr10_vgpr11_vgpr12_vgpr13
                                        ; implicit-def: $vgpr6_vgpr7_vgpr8_vgpr9
                                        ; implicit-def: $vgpr14_vgpr15_vgpr16_vgpr17
.LBB30_185:
	s_andn2_saveexec_b64 s[0:1], s[0:1]
	s_cbranch_execz .LBB30_204
; %bb.186:
	v_cmp_lt_i64_e32 vcc, 2, v[0:1]
	s_and_saveexec_b64 s[0:1], vcc
	s_xor_b64 s[0:1], exec, s[0:1]
	s_cbranch_execz .LBB30_196
; %bb.187:
	v_cmp_lt_i64_e32 vcc, 3, v[0:1]
	s_and_saveexec_b64 s[2:3], vcc
	s_xor_b64 s[2:3], exec, s[2:3]
	;; [unrolled: 5-line block ×3, first 2 shown]
	s_cbranch_execz .LBB30_190
; %bb.189:
	v_mov_b32_e32 v0, 0
	global_store_dwordx2 v0, v[16:17], s[14:15]
                                        ; implicit-def: $vgpr14_vgpr15_vgpr16_vgpr17
.LBB30_190:
	s_andn2_saveexec_b64 s[4:5], s[4:5]
	s_cbranch_execz .LBB30_192
; %bb.191:
	v_mov_b32_e32 v0, 0
	global_store_dwordx2 v0, v[14:15], s[14:15]
.LBB30_192:
	s_or_b64 exec, exec, s[4:5]
                                        ; implicit-def: $vgpr10_vgpr11_vgpr12_vgpr13
.LBB30_193:
	s_andn2_saveexec_b64 s[2:3], s[2:3]
	s_cbranch_execz .LBB30_195
; %bb.194:
	v_mov_b32_e32 v0, 0
	global_store_dwordx2 v0, v[12:13], s[14:15]
.LBB30_195:
	s_or_b64 exec, exec, s[2:3]
                                        ; implicit-def: $vgpr0_vgpr1
                                        ; implicit-def: $vgpr10_vgpr11_vgpr12_vgpr13
                                        ; implicit-def: $vgpr6_vgpr7_vgpr8_vgpr9
.LBB30_196:
	s_andn2_saveexec_b64 s[0:1], s[0:1]
	s_cbranch_execz .LBB30_204
; %bb.197:
	v_cmp_lt_i64_e32 vcc, 1, v[0:1]
	s_and_saveexec_b64 s[0:1], vcc
	s_xor_b64 s[0:1], exec, s[0:1]
	s_cbranch_execz .LBB30_199
; %bb.198:
	v_mov_b32_e32 v0, 0
	global_store_dwordx2 v0, v[10:11], s[14:15]
                                        ; implicit-def: $vgpr6_vgpr7_vgpr8_vgpr9
                                        ; implicit-def: $vgpr0_vgpr1
.LBB30_199:
	s_andn2_saveexec_b64 s[0:1], s[0:1]
	s_cbranch_execz .LBB30_204
; %bb.200:
	v_cmp_ne_u64_e32 vcc, 1, v[0:1]
	s_and_saveexec_b64 s[0:1], vcc
	s_xor_b64 s[0:1], exec, s[0:1]
	s_cbranch_execz .LBB30_202
; %bb.201:
	v_mov_b32_e32 v0, 0
	global_store_dwordx2 v0, v[6:7], s[14:15]
                                        ; implicit-def: $vgpr6_vgpr7_vgpr8_vgpr9
.LBB30_202:
	s_andn2_saveexec_b64 s[0:1], s[0:1]
	s_cbranch_execz .LBB30_204
; %bb.203:
	v_mov_b32_e32 v0, 0
	global_store_dwordx2 v0, v[8:9], s[14:15]
.LBB30_204:
	s_endpgm
	.section	.rodata,"a",@progbits
	.p2align	6, 0x0
	.amdhsa_kernel _ZN7rocprim6detail20lookback_scan_kernelILNS0_25lookback_scan_determinismE0ELb0ENS0_19wrapped_scan_configINS_14default_configEmEEPmS6_N6hipcub3SumEmmNS0_19lookback_scan_stateImLb0ELb1EEEEEvT2_T3_mT5_T4_T7_jPT6_SH_bb
		.amdhsa_group_segment_fixed_size 10752
		.amdhsa_private_segment_fixed_size 0
		.amdhsa_kernarg_size 76
		.amdhsa_user_sgpr_count 6
		.amdhsa_user_sgpr_private_segment_buffer 1
		.amdhsa_user_sgpr_dispatch_ptr 0
		.amdhsa_user_sgpr_queue_ptr 0
		.amdhsa_user_sgpr_kernarg_segment_ptr 1
		.amdhsa_user_sgpr_dispatch_id 0
		.amdhsa_user_sgpr_flat_scratch_init 0
		.amdhsa_user_sgpr_kernarg_preload_length 0
		.amdhsa_user_sgpr_kernarg_preload_offset 0
		.amdhsa_user_sgpr_private_segment_size 0
		.amdhsa_uses_dynamic_stack 0
		.amdhsa_system_sgpr_private_segment_wavefront_offset 0
		.amdhsa_system_sgpr_workgroup_id_x 1
		.amdhsa_system_sgpr_workgroup_id_y 0
		.amdhsa_system_sgpr_workgroup_id_z 0
		.amdhsa_system_sgpr_workgroup_info 0
		.amdhsa_system_vgpr_workitem_id 0
		.amdhsa_next_free_vgpr 89
		.amdhsa_next_free_sgpr 24
		.amdhsa_accum_offset 92
		.amdhsa_reserve_vcc 1
		.amdhsa_reserve_flat_scratch 0
		.amdhsa_float_round_mode_32 0
		.amdhsa_float_round_mode_16_64 0
		.amdhsa_float_denorm_mode_32 3
		.amdhsa_float_denorm_mode_16_64 3
		.amdhsa_dx10_clamp 1
		.amdhsa_ieee_mode 1
		.amdhsa_fp16_overflow 0
		.amdhsa_tg_split 0
		.amdhsa_exception_fp_ieee_invalid_op 0
		.amdhsa_exception_fp_denorm_src 0
		.amdhsa_exception_fp_ieee_div_zero 0
		.amdhsa_exception_fp_ieee_overflow 0
		.amdhsa_exception_fp_ieee_underflow 0
		.amdhsa_exception_fp_ieee_inexact 0
		.amdhsa_exception_int_div_zero 0
	.end_amdhsa_kernel
	.section	.text._ZN7rocprim6detail20lookback_scan_kernelILNS0_25lookback_scan_determinismE0ELb0ENS0_19wrapped_scan_configINS_14default_configEmEEPmS6_N6hipcub3SumEmmNS0_19lookback_scan_stateImLb0ELb1EEEEEvT2_T3_mT5_T4_T7_jPT6_SH_bb,"axG",@progbits,_ZN7rocprim6detail20lookback_scan_kernelILNS0_25lookback_scan_determinismE0ELb0ENS0_19wrapped_scan_configINS_14default_configEmEEPmS6_N6hipcub3SumEmmNS0_19lookback_scan_stateImLb0ELb1EEEEEvT2_T3_mT5_T4_T7_jPT6_SH_bb,comdat
.Lfunc_end30:
	.size	_ZN7rocprim6detail20lookback_scan_kernelILNS0_25lookback_scan_determinismE0ELb0ENS0_19wrapped_scan_configINS_14default_configEmEEPmS6_N6hipcub3SumEmmNS0_19lookback_scan_stateImLb0ELb1EEEEEvT2_T3_mT5_T4_T7_jPT6_SH_bb, .Lfunc_end30-_ZN7rocprim6detail20lookback_scan_kernelILNS0_25lookback_scan_determinismE0ELb0ENS0_19wrapped_scan_configINS_14default_configEmEEPmS6_N6hipcub3SumEmmNS0_19lookback_scan_stateImLb0ELb1EEEEEvT2_T3_mT5_T4_T7_jPT6_SH_bb
                                        ; -- End function
	.section	.AMDGPU.csdata,"",@progbits
; Kernel info:
; codeLenInByte = 7700
; NumSgprs: 28
; NumVgprs: 89
; NumAgprs: 0
; TotalNumVgprs: 89
; ScratchSize: 0
; MemoryBound: 0
; FloatMode: 240
; IeeeMode: 1
; LDSByteSize: 10752 bytes/workgroup (compile time only)
; SGPRBlocks: 3
; VGPRBlocks: 11
; NumSGPRsForWavesPerEU: 28
; NumVGPRsForWavesPerEU: 89
; AccumOffset: 92
; Occupancy: 2
; WaveLimiterHint : 1
; COMPUTE_PGM_RSRC2:SCRATCH_EN: 0
; COMPUTE_PGM_RSRC2:USER_SGPR: 6
; COMPUTE_PGM_RSRC2:TRAP_HANDLER: 0
; COMPUTE_PGM_RSRC2:TGID_X_EN: 1
; COMPUTE_PGM_RSRC2:TGID_Y_EN: 0
; COMPUTE_PGM_RSRC2:TGID_Z_EN: 0
; COMPUTE_PGM_RSRC2:TIDIG_COMP_CNT: 0
; COMPUTE_PGM_RSRC3_GFX90A:ACCUM_OFFSET: 22
; COMPUTE_PGM_RSRC3_GFX90A:TG_SPLIT: 0
	.section	.text._ZN7rocprim6detail16transform_kernelINS0_24wrapped_transform_configINS_14default_configEmEEmPmS5_NS_8identityImEEEEvT1_mT2_T3_,"axG",@progbits,_ZN7rocprim6detail16transform_kernelINS0_24wrapped_transform_configINS_14default_configEmEEmPmS5_NS_8identityImEEEEvT1_mT2_T3_,comdat
	.protected	_ZN7rocprim6detail16transform_kernelINS0_24wrapped_transform_configINS_14default_configEmEEmPmS5_NS_8identityImEEEEvT1_mT2_T3_ ; -- Begin function _ZN7rocprim6detail16transform_kernelINS0_24wrapped_transform_configINS_14default_configEmEEmPmS5_NS_8identityImEEEEvT1_mT2_T3_
	.globl	_ZN7rocprim6detail16transform_kernelINS0_24wrapped_transform_configINS_14default_configEmEEmPmS5_NS_8identityImEEEEvT1_mT2_T3_
	.p2align	8
	.type	_ZN7rocprim6detail16transform_kernelINS0_24wrapped_transform_configINS_14default_configEmEEmPmS5_NS_8identityImEEEEvT1_mT2_T3_,@function
_ZN7rocprim6detail16transform_kernelINS0_24wrapped_transform_configINS_14default_configEmEEmPmS5_NS_8identityImEEEEvT1_mT2_T3_: ; @_ZN7rocprim6detail16transform_kernelINS0_24wrapped_transform_configINS_14default_configEmEEmPmS5_NS_8identityImEEEEvT1_mT2_T3_
; %bb.0:
	s_load_dword s7, s[4:5], 0x20
	s_load_dwordx4 s[0:3], s[4:5], 0x0
	s_load_dwordx2 s[8:9], s[4:5], 0x10
	s_lshl_b32 s10, s6, 9
	s_mov_b32 s11, 0
	s_waitcnt lgkmcnt(0)
	s_add_i32 s7, s7, -1
	s_lshl_b64 s[4:5], s[10:11], 3
	s_add_u32 s0, s0, s4
	s_addc_u32 s1, s1, s5
	v_lshlrev_b32_e32 v1, 3, v0
	v_mov_b32_e32 v2, s1
	v_add_co_u32_e32 v6, vcc, s0, v1
	s_cmp_lg_u32 s6, s7
	v_addc_co_u32_e32 v7, vcc, 0, v2, vcc
	s_cbranch_scc0 .LBB31_2
; %bb.1:
	global_load_dwordx2 v[2:3], v[6:7], off
	global_load_dwordx2 v[4:5], v[6:7], off offset:2048
	s_add_u32 s6, s8, s4
	s_addc_u32 s7, s9, s5
	s_waitcnt vmcnt(1)
	global_store_dwordx2 v1, v[2:3], s[6:7]
	s_mov_b64 s[6:7], -1
	s_cbranch_execz .LBB31_3
	s_branch .LBB31_10
.LBB31_2:
	s_mov_b64 s[6:7], 0
                                        ; implicit-def: $vgpr4_vgpr5
.LBB31_3:
	s_sub_i32 s2, s2, s10
	v_cmp_gt_u32_e32 vcc, s2, v0
                                        ; implicit-def: $vgpr2_vgpr3_vgpr4_vgpr5
	s_and_saveexec_b64 s[0:1], vcc
	s_cbranch_execz .LBB31_5
; %bb.4:
	global_load_dwordx2 v[2:3], v[6:7], off
.LBB31_5:
	s_or_b64 exec, exec, s[0:1]
	v_or_b32_e32 v0, 0x100, v0
	v_cmp_gt_u32_e64 s[0:1], s2, v0
	s_and_saveexec_b64 s[2:3], s[0:1]
	s_cbranch_execnz .LBB31_13
; %bb.6:
	s_or_b64 exec, exec, s[2:3]
	s_and_saveexec_b64 s[2:3], vcc
	s_cbranch_execnz .LBB31_14
.LBB31_7:
	s_or_b64 exec, exec, s[2:3]
	s_and_saveexec_b64 s[2:3], s[0:1]
.LBB31_8:
	s_or_b64 s[6:7], s[6:7], exec
.LBB31_9:
	s_or_b64 exec, exec, s[2:3]
.LBB31_10:
	s_and_saveexec_b64 s[0:1], s[6:7]
	s_cbranch_execnz .LBB31_12
; %bb.11:
	s_endpgm
.LBB31_12:
	s_add_u32 s0, s8, s4
	s_addc_u32 s1, s9, s5
	s_waitcnt vmcnt(0)
	global_store_dwordx2 v1, v[4:5], s[0:1] offset:2048
	s_endpgm
.LBB31_13:
	global_load_dwordx2 v[4:5], v[6:7], off offset:2048
	s_or_b64 exec, exec, s[2:3]
	s_and_saveexec_b64 s[2:3], vcc
	s_cbranch_execz .LBB31_7
.LBB31_14:
	s_add_u32 s10, s8, s4
	s_addc_u32 s11, s9, s5
	s_waitcnt vmcnt(0)
	global_store_dwordx2 v1, v[2:3], s[10:11]
	s_or_b64 exec, exec, s[2:3]
	s_and_saveexec_b64 s[2:3], s[0:1]
	s_cbranch_execnz .LBB31_8
	s_branch .LBB31_9
	.section	.rodata,"a",@progbits
	.p2align	6, 0x0
	.amdhsa_kernel _ZN7rocprim6detail16transform_kernelINS0_24wrapped_transform_configINS_14default_configEmEEmPmS5_NS_8identityImEEEEvT1_mT2_T3_
		.amdhsa_group_segment_fixed_size 0
		.amdhsa_private_segment_fixed_size 0
		.amdhsa_kernarg_size 288
		.amdhsa_user_sgpr_count 6
		.amdhsa_user_sgpr_private_segment_buffer 1
		.amdhsa_user_sgpr_dispatch_ptr 0
		.amdhsa_user_sgpr_queue_ptr 0
		.amdhsa_user_sgpr_kernarg_segment_ptr 1
		.amdhsa_user_sgpr_dispatch_id 0
		.amdhsa_user_sgpr_flat_scratch_init 0
		.amdhsa_user_sgpr_kernarg_preload_length 0
		.amdhsa_user_sgpr_kernarg_preload_offset 0
		.amdhsa_user_sgpr_private_segment_size 0
		.amdhsa_uses_dynamic_stack 0
		.amdhsa_system_sgpr_private_segment_wavefront_offset 0
		.amdhsa_system_sgpr_workgroup_id_x 1
		.amdhsa_system_sgpr_workgroup_id_y 0
		.amdhsa_system_sgpr_workgroup_id_z 0
		.amdhsa_system_sgpr_workgroup_info 0
		.amdhsa_system_vgpr_workitem_id 0
		.amdhsa_next_free_vgpr 8
		.amdhsa_next_free_sgpr 12
		.amdhsa_accum_offset 8
		.amdhsa_reserve_vcc 1
		.amdhsa_reserve_flat_scratch 0
		.amdhsa_float_round_mode_32 0
		.amdhsa_float_round_mode_16_64 0
		.amdhsa_float_denorm_mode_32 3
		.amdhsa_float_denorm_mode_16_64 3
		.amdhsa_dx10_clamp 1
		.amdhsa_ieee_mode 1
		.amdhsa_fp16_overflow 0
		.amdhsa_tg_split 0
		.amdhsa_exception_fp_ieee_invalid_op 0
		.amdhsa_exception_fp_denorm_src 0
		.amdhsa_exception_fp_ieee_div_zero 0
		.amdhsa_exception_fp_ieee_overflow 0
		.amdhsa_exception_fp_ieee_underflow 0
		.amdhsa_exception_fp_ieee_inexact 0
		.amdhsa_exception_int_div_zero 0
	.end_amdhsa_kernel
	.section	.text._ZN7rocprim6detail16transform_kernelINS0_24wrapped_transform_configINS_14default_configEmEEmPmS5_NS_8identityImEEEEvT1_mT2_T3_,"axG",@progbits,_ZN7rocprim6detail16transform_kernelINS0_24wrapped_transform_configINS_14default_configEmEEmPmS5_NS_8identityImEEEEvT1_mT2_T3_,comdat
.Lfunc_end31:
	.size	_ZN7rocprim6detail16transform_kernelINS0_24wrapped_transform_configINS_14default_configEmEEmPmS5_NS_8identityImEEEEvT1_mT2_T3_, .Lfunc_end31-_ZN7rocprim6detail16transform_kernelINS0_24wrapped_transform_configINS_14default_configEmEEmPmS5_NS_8identityImEEEEvT1_mT2_T3_
                                        ; -- End function
	.section	.AMDGPU.csdata,"",@progbits
; Kernel info:
; codeLenInByte = 300
; NumSgprs: 16
; NumVgprs: 8
; NumAgprs: 0
; TotalNumVgprs: 8
; ScratchSize: 0
; MemoryBound: 1
; FloatMode: 240
; IeeeMode: 1
; LDSByteSize: 0 bytes/workgroup (compile time only)
; SGPRBlocks: 1
; VGPRBlocks: 0
; NumSGPRsForWavesPerEU: 16
; NumVGPRsForWavesPerEU: 8
; AccumOffset: 8
; Occupancy: 8
; WaveLimiterHint : 1
; COMPUTE_PGM_RSRC2:SCRATCH_EN: 0
; COMPUTE_PGM_RSRC2:USER_SGPR: 6
; COMPUTE_PGM_RSRC2:TRAP_HANDLER: 0
; COMPUTE_PGM_RSRC2:TGID_X_EN: 1
; COMPUTE_PGM_RSRC2:TGID_Y_EN: 0
; COMPUTE_PGM_RSRC2:TGID_Z_EN: 0
; COMPUTE_PGM_RSRC2:TIDIG_COMP_CNT: 0
; COMPUTE_PGM_RSRC3_GFX90A:ACCUM_OFFSET: 1
; COMPUTE_PGM_RSRC3_GFX90A:TG_SPLIT: 0
	.section	.text._ZN7rocprim6detail18single_scan_kernelILb0ENS0_19wrapped_scan_configINS_14default_configEmEEPmS5_N6hipcub3SumEmmEEvT1_mT4_T2_T3_,"axG",@progbits,_ZN7rocprim6detail18single_scan_kernelILb0ENS0_19wrapped_scan_configINS_14default_configEmEEPmS5_N6hipcub3SumEmmEEvT1_mT4_T2_T3_,comdat
	.protected	_ZN7rocprim6detail18single_scan_kernelILb0ENS0_19wrapped_scan_configINS_14default_configEmEEPmS5_N6hipcub3SumEmmEEvT1_mT4_T2_T3_ ; -- Begin function _ZN7rocprim6detail18single_scan_kernelILb0ENS0_19wrapped_scan_configINS_14default_configEmEEPmS5_N6hipcub3SumEmmEEvT1_mT4_T2_T3_
	.globl	_ZN7rocprim6detail18single_scan_kernelILb0ENS0_19wrapped_scan_configINS_14default_configEmEEPmS5_N6hipcub3SumEmmEEvT1_mT4_T2_T3_
	.p2align	8
	.type	_ZN7rocprim6detail18single_scan_kernelILb0ENS0_19wrapped_scan_configINS_14default_configEmEEPmS5_N6hipcub3SumEmmEEvT1_mT4_T2_T3_,@function
_ZN7rocprim6detail18single_scan_kernelILb0ENS0_19wrapped_scan_configINS_14default_configEmEEPmS5_N6hipcub3SumEmmEEvT1_mT4_T2_T3_: ; @_ZN7rocprim6detail18single_scan_kernelILb0ENS0_19wrapped_scan_configINS_14default_configEmEEPmS5_N6hipcub3SumEmmEEvT1_mT4_T2_T3_
; %bb.0:
	s_load_dwordx4 s[40:43], s[4:5], 0x0
	v_lshlrev_b32_e32 v47, 3, v0
	s_waitcnt lgkmcnt(0)
	s_load_dwordx2 s[46:47], s[40:41], 0x0
	v_mov_b32_e32 v1, s41
	v_add_co_u32_e32 v4, vcc, s40, v47
	v_addc_co_u32_e32 v5, vcc, 0, v1, vcc
	v_cmp_gt_u32_e64 s[0:1], s42, v0
	s_waitcnt lgkmcnt(0)
	v_pk_mov_b32 v[2:3], s[46:47], s[46:47] op_sel:[0,1]
	s_and_saveexec_b64 s[2:3], s[0:1]
	s_cbranch_execz .LBB32_2
; %bb.1:
	global_load_dwordx2 v[2:3], v[4:5], off
.LBB32_2:
	s_or_b64 exec, exec, s[2:3]
	v_or_b32_e32 v1, 64, v0
	v_cmp_gt_u32_e64 s[2:3], s42, v1
	v_pk_mov_b32 v[6:7], s[46:47], s[46:47] op_sel:[0,1]
	s_and_saveexec_b64 s[6:7], s[2:3]
	s_cbranch_execz .LBB32_4
; %bb.3:
	global_load_dwordx2 v[6:7], v[4:5], off offset:512
.LBB32_4:
	s_or_b64 exec, exec, s[6:7]
	v_or_b32_e32 v1, 0x80, v0
	v_cmp_gt_u32_e64 s[44:45], s42, v1
	v_pk_mov_b32 v[8:9], s[46:47], s[46:47] op_sel:[0,1]
	s_and_saveexec_b64 s[6:7], s[44:45]
	s_cbranch_execz .LBB32_6
; %bb.5:
	global_load_dwordx2 v[8:9], v[4:5], off offset:1024
.LBB32_6:
	;; [unrolled: 9-line block ×7, first 2 shown]
	s_or_b64 exec, exec, s[16:17]
	v_or_b32_e32 v1, 0x200, v0
	v_cmp_gt_u32_e64 s[16:17], s42, v1
	v_pk_mov_b32 v[20:21], s[46:47], s[46:47] op_sel:[0,1]
	s_and_saveexec_b64 s[18:19], s[16:17]
	s_cbranch_execz .LBB32_18
; %bb.17:
	v_add_co_u32_e32 v20, vcc, 0x1000, v4
	v_addc_co_u32_e32 v21, vcc, 0, v5, vcc
	global_load_dwordx2 v[20:21], v[20:21], off
.LBB32_18:
	s_or_b64 exec, exec, s[18:19]
	v_or_b32_e32 v1, 0x240, v0
	v_cmp_gt_u32_e64 s[18:19], s42, v1
	v_pk_mov_b32 v[22:23], s[46:47], s[46:47] op_sel:[0,1]
	s_and_saveexec_b64 s[20:21], s[18:19]
	s_cbranch_execz .LBB32_20
; %bb.19:
	v_add_co_u32_e32 v22, vcc, 0x1000, v4
	v_addc_co_u32_e32 v23, vcc, 0, v5, vcc
	global_load_dwordx2 v[22:23], v[22:23], off offset:512
.LBB32_20:
	s_or_b64 exec, exec, s[20:21]
	v_or_b32_e32 v1, 0x280, v0
	v_cmp_gt_u32_e64 s[20:21], s42, v1
	v_pk_mov_b32 v[24:25], s[46:47], s[46:47] op_sel:[0,1]
	s_and_saveexec_b64 s[22:23], s[20:21]
	s_cbranch_execz .LBB32_22
; %bb.21:
	v_add_co_u32_e32 v24, vcc, 0x1000, v4
	v_addc_co_u32_e32 v25, vcc, 0, v5, vcc
	global_load_dwordx2 v[24:25], v[24:25], off offset:1024
.LBB32_22:
	;; [unrolled: 11-line block ×7, first 2 shown]
	s_or_b64 exec, exec, s[34:35]
	v_or_b32_e32 v1, 0x400, v0
	v_cmp_gt_u32_e64 s[34:35], s42, v1
	v_pk_mov_b32 v[36:37], s[46:47], s[46:47] op_sel:[0,1]
	s_and_saveexec_b64 s[36:37], s[34:35]
	s_cbranch_execz .LBB32_34
; %bb.33:
	v_add_co_u32_e32 v36, vcc, 0x2000, v4
	v_addc_co_u32_e32 v37, vcc, 0, v5, vcc
	global_load_dwordx2 v[36:37], v[36:37], off
.LBB32_34:
	s_or_b64 exec, exec, s[36:37]
	v_or_b32_e32 v1, 0x440, v0
	v_cmp_gt_u32_e64 s[36:37], s42, v1
	v_pk_mov_b32 v[38:39], s[46:47], s[46:47] op_sel:[0,1]
	s_and_saveexec_b64 s[38:39], s[36:37]
	s_cbranch_execz .LBB32_36
; %bb.35:
	v_add_co_u32_e32 v38, vcc, 0x2000, v4
	v_addc_co_u32_e32 v39, vcc, 0, v5, vcc
	global_load_dwordx2 v[38:39], v[38:39], off offset:512
.LBB32_36:
	s_or_b64 exec, exec, s[38:39]
	v_or_b32_e32 v1, 0x480, v0
	v_cmp_gt_u32_e64 s[38:39], s42, v1
	v_pk_mov_b32 v[40:41], s[46:47], s[46:47] op_sel:[0,1]
	s_and_saveexec_b64 s[40:41], s[38:39]
	s_cbranch_execz .LBB32_38
; %bb.37:
	v_add_co_u32_e32 v40, vcc, 0x2000, v4
	v_addc_co_u32_e32 v41, vcc, 0, v5, vcc
	global_load_dwordx2 v[40:41], v[40:41], off offset:1024
.LBB32_38:
	s_or_b64 exec, exec, s[40:41]
	v_or_b32_e32 v1, 0x4c0, v0
	v_cmp_gt_u32_e64 s[40:41], s42, v1
	v_pk_mov_b32 v[42:43], s[46:47], s[46:47] op_sel:[0,1]
	s_and_saveexec_b64 s[48:49], s[40:41]
	s_cbranch_execz .LBB32_40
; %bb.39:
	v_add_co_u32_e32 v42, vcc, 0x2000, v4
	v_addc_co_u32_e32 v43, vcc, 0, v5, vcc
	global_load_dwordx2 v[42:43], v[42:43], off offset:1536
.LBB32_40:
	s_or_b64 exec, exec, s[48:49]
	v_or_b32_e32 v1, 0x500, v0
	v_cmp_gt_u32_e64 s[42:43], s42, v1
	v_pk_mov_b32 v[44:45], s[46:47], s[46:47] op_sel:[0,1]
	s_and_saveexec_b64 s[46:47], s[42:43]
	s_cbranch_execz .LBB32_42
; %bb.41:
	v_add_co_u32_e32 v4, vcc, 0x2000, v4
	v_addc_co_u32_e32 v5, vcc, 0, v5, vcc
	global_load_dwordx2 v[44:45], v[4:5], off offset:2048
.LBB32_42:
	s_or_b64 exec, exec, s[46:47]
	s_movk_i32 s33, 0xa0
	v_mad_u32_u24 v1, v0, s33, v47
	s_waitcnt vmcnt(0)
	ds_write2st64_b64 v47, v[2:3], v[6:7] offset1:1
	ds_write2st64_b64 v47, v[8:9], v[10:11] offset0:2 offset1:3
	ds_write2st64_b64 v47, v[12:13], v[14:15] offset0:4 offset1:5
	;; [unrolled: 1-line block ×9, first 2 shown]
	ds_write_b64 v47, v[44:45] offset:10240
	s_waitcnt lgkmcnt(0)
	; wave barrier
	s_waitcnt lgkmcnt(0)
	ds_read2_b64 v[2:5], v1 offset1:1
	ds_read2_b64 v[6:9], v1 offset0:2 offset1:3
	ds_read2_b64 v[10:13], v1 offset0:4 offset1:5
	;; [unrolled: 1-line block ×9, first 2 shown]
	ds_read_b64 v[42:43], v1 offset:160
	s_waitcnt lgkmcnt(10)
	v_add_co_u32_e32 v1, vcc, v4, v2
	v_addc_co_u32_e32 v44, vcc, v5, v3, vcc
	s_waitcnt lgkmcnt(9)
	v_add_co_u32_e32 v1, vcc, v1, v6
	v_addc_co_u32_e32 v44, vcc, v44, v7, vcc
	v_add_co_u32_e32 v1, vcc, v1, v8
	v_addc_co_u32_e32 v44, vcc, v44, v9, vcc
	s_waitcnt lgkmcnt(8)
	v_add_co_u32_e32 v1, vcc, v1, v10
	v_addc_co_u32_e32 v44, vcc, v44, v11, vcc
	;; [unrolled: 5-line block ×10, first 2 shown]
	s_nop 0
	v_mov_b32_dpp v46, v44 row_shr:1 row_mask:0xf bank_mask:0xf
	v_add_co_u32_e32 v46, vcc, v44, v46
	v_mbcnt_lo_u32_b32 v1, -1, 0
	v_addc_co_u32_e32 v50, vcc, 0, v45, vcc
	v_mbcnt_hi_u32_b32 v48, -1, v1
	v_mov_b32_dpp v49, v45 row_shr:1 row_mask:0xf bank_mask:0xf
	v_add_co_u32_e32 v51, vcc, 0, v46
	v_and_b32_e32 v1, 15, v48
	v_addc_co_u32_e32 v49, vcc, v49, v50, vcc
	v_cmp_eq_u32_e32 vcc, 0, v1
	v_cndmask_b32_e32 v46, v46, v44, vcc
	v_cndmask_b32_e32 v49, v49, v45, vcc
	v_cndmask_b32_e32 v50, v51, v44, vcc
	v_mov_b32_dpp v51, v46 row_shr:2 row_mask:0xf bank_mask:0xf
	v_mov_b32_dpp v52, v49 row_shr:2 row_mask:0xf bank_mask:0xf
	v_add_co_u32_e32 v51, vcc, v51, v50
	v_addc_co_u32_e32 v52, vcc, v52, v49, vcc
	v_cmp_lt_u32_e32 vcc, 1, v1
	v_cndmask_b32_e32 v46, v46, v51, vcc
	v_cndmask_b32_e32 v49, v49, v52, vcc
	v_cndmask_b32_e32 v50, v50, v51, vcc
	v_mov_b32_dpp v51, v46 row_shr:4 row_mask:0xf bank_mask:0xf
	v_mov_b32_dpp v52, v49 row_shr:4 row_mask:0xf bank_mask:0xf
	v_add_co_u32_e32 v51, vcc, v51, v50
	v_addc_co_u32_e32 v52, vcc, v52, v49, vcc
	v_cmp_lt_u32_e32 vcc, 3, v1
	;; [unrolled: 8-line block ×3, first 2 shown]
	v_cndmask_b32_e32 v53, v46, v51, vcc
	v_cndmask_b32_e32 v1, v49, v52, vcc
	;; [unrolled: 1-line block ×3, first 2 shown]
	v_mov_b32_dpp v49, v53 row_bcast:15 row_mask:0xf bank_mask:0xf
	v_mov_b32_dpp v50, v1 row_bcast:15 row_mask:0xf bank_mask:0xf
	v_add_co_u32_e32 v49, vcc, v49, v46
	v_and_b32_e32 v52, 16, v48
	v_addc_co_u32_e32 v51, vcc, v50, v1, vcc
	v_cmp_eq_u32_e32 vcc, 0, v52
	v_cndmask_b32_e32 v52, v51, v1, vcc
	v_cndmask_b32_e32 v50, v49, v53, vcc
	v_cmp_ne_u32_e64 s[46:47], 0, v48
	v_mov_b32_dpp v52, v52 row_bcast:31 row_mask:0xf bank_mask:0xf
	v_mov_b32_dpp v50, v50 row_bcast:31 row_mask:0xf bank_mask:0xf
	s_waitcnt lgkmcnt(0)
	; wave barrier
	s_and_saveexec_b64 s[48:49], s[46:47]
; %bb.43:
	v_cndmask_b32_e32 v1, v51, v1, vcc
	v_cndmask_b32_e32 v44, v49, v46, vcc
	v_cmp_lt_u32_e32 vcc, 31, v48
	v_cndmask_b32_e32 v46, 0, v50, vcc
	v_cndmask_b32_e32 v45, 0, v52, vcc
	v_add_co_u32_e32 v44, vcc, v46, v44
	v_addc_co_u32_e32 v45, vcc, v45, v1, vcc
; %bb.44:
	s_or_b64 exec, exec, s[48:49]
	v_mul_u32_u24_e32 v1, 0xa0, v0
	v_cmp_eq_u32_e32 vcc, 63, v0
	s_and_saveexec_b64 s[46:47], vcc
	s_cbranch_execz .LBB32_46
; %bb.45:
	v_mov_b32_e32 v46, 0
	ds_write_b64 v46, v[44:45]
.LBB32_46:
	s_or_b64 exec, exec, s[46:47]
	v_add_u32_e32 v46, -1, v48
	v_and_b32_e32 v49, 64, v48
	v_cmp_lt_i32_e32 vcc, v46, v49
	v_cndmask_b32_e32 v46, v46, v48, vcc
	v_lshlrev_b32_e32 v46, 2, v46
	ds_bpermute_b32 v44, v46, v44
	ds_bpermute_b32 v45, v46, v45
	v_cmp_ne_u32_e32 vcc, 0, v0
	s_waitcnt lgkmcnt(0)
	; wave barrier
	s_waitcnt lgkmcnt(0)
	v_cndmask_b32_e32 v44, 0, v44, vcc
	v_cndmask_b32_e32 v0, 0, v45, vcc
	v_add_co_u32_e32 v2, vcc, v44, v2
	v_addc_co_u32_e32 v3, vcc, v0, v3, vcc
	v_add_co_u32_e32 v4, vcc, v2, v4
	v_addc_co_u32_e32 v5, vcc, v3, v5, vcc
	;; [unrolled: 2-line block ×20, first 2 shown]
	v_add_co_u32_e32 v42, vcc, v40, v42
	v_add_u32_e32 v0, v47, v1
	v_addc_co_u32_e32 v43, vcc, v41, v43, vcc
	s_waitcnt lgkmcnt(0)
	; wave barrier
	ds_write2_b64 v0, v[2:3], v[4:5] offset1:1
	ds_write2_b64 v0, v[6:7], v[8:9] offset0:2 offset1:3
	ds_write2_b64 v0, v[10:11], v[12:13] offset0:4 offset1:5
	ds_write2_b64 v0, v[14:15], v[16:17] offset0:6 offset1:7
	ds_write2_b64 v0, v[18:19], v[20:21] offset0:8 offset1:9
	ds_write2_b64 v0, v[22:23], v[24:25] offset0:10 offset1:11
	ds_write2_b64 v0, v[26:27], v[28:29] offset0:12 offset1:13
	ds_write2_b64 v0, v[30:31], v[32:33] offset0:14 offset1:15
	ds_write2_b64 v0, v[34:35], v[36:37] offset0:16 offset1:17
	ds_write2_b64 v0, v[38:39], v[40:41] offset0:18 offset1:19
	ds_write_b64 v0, v[42:43] offset:160
	s_waitcnt lgkmcnt(0)
	; wave barrier
	s_waitcnt lgkmcnt(0)
	ds_read2st64_b64 v[36:39], v47 offset0:1 offset1:2
	ds_read2st64_b64 v[32:35], v47 offset0:3 offset1:4
	;; [unrolled: 1-line block ×10, first 2 shown]
	s_load_dwordx2 s[4:5], s[4:5], 0x18
	s_waitcnt lgkmcnt(0)
	v_mov_b32_e32 v41, s5
	v_add_co_u32_e32 v40, vcc, s4, v47
	v_addc_co_u32_e32 v41, vcc, 0, v41, vcc
	s_and_saveexec_b64 s[4:5], s[0:1]
	s_cbranch_execnz .LBB32_68
; %bb.47:
	s_or_b64 exec, exec, s[4:5]
	s_and_saveexec_b64 s[0:1], s[2:3]
	s_cbranch_execnz .LBB32_69
.LBB32_48:
	s_or_b64 exec, exec, s[0:1]
	s_and_saveexec_b64 s[0:1], s[44:45]
	s_cbranch_execnz .LBB32_70
.LBB32_49:
	s_or_b64 exec, exec, s[0:1]
	s_and_saveexec_b64 s[0:1], s[6:7]
	s_cbranch_execnz .LBB32_71
.LBB32_50:
	s_or_b64 exec, exec, s[0:1]
	s_and_saveexec_b64 s[0:1], s[8:9]
	s_cbranch_execnz .LBB32_72
.LBB32_51:
	s_or_b64 exec, exec, s[0:1]
	s_and_saveexec_b64 s[0:1], s[10:11]
	s_cbranch_execnz .LBB32_73
.LBB32_52:
	s_or_b64 exec, exec, s[0:1]
	s_and_saveexec_b64 s[0:1], s[12:13]
	s_cbranch_execnz .LBB32_74
.LBB32_53:
	s_or_b64 exec, exec, s[0:1]
	s_and_saveexec_b64 s[0:1], s[14:15]
	s_cbranch_execnz .LBB32_75
.LBB32_54:
	s_or_b64 exec, exec, s[0:1]
	s_and_saveexec_b64 s[0:1], s[16:17]
	s_cbranch_execnz .LBB32_76
.LBB32_55:
	s_or_b64 exec, exec, s[0:1]
	s_and_saveexec_b64 s[0:1], s[18:19]
	s_cbranch_execnz .LBB32_77
.LBB32_56:
	s_or_b64 exec, exec, s[0:1]
	s_and_saveexec_b64 s[0:1], s[20:21]
	s_cbranch_execnz .LBB32_78
.LBB32_57:
	s_or_b64 exec, exec, s[0:1]
	s_and_saveexec_b64 s[0:1], s[22:23]
	s_cbranch_execnz .LBB32_79
.LBB32_58:
	s_or_b64 exec, exec, s[0:1]
	s_and_saveexec_b64 s[0:1], s[24:25]
	s_cbranch_execnz .LBB32_80
.LBB32_59:
	s_or_b64 exec, exec, s[0:1]
	s_and_saveexec_b64 s[0:1], s[26:27]
	s_cbranch_execnz .LBB32_81
.LBB32_60:
	s_or_b64 exec, exec, s[0:1]
	s_and_saveexec_b64 s[0:1], s[28:29]
	s_cbranch_execnz .LBB32_82
.LBB32_61:
	s_or_b64 exec, exec, s[0:1]
	s_and_saveexec_b64 s[0:1], s[30:31]
	s_cbranch_execnz .LBB32_83
.LBB32_62:
	s_or_b64 exec, exec, s[0:1]
	s_and_saveexec_b64 s[0:1], s[34:35]
	s_cbranch_execnz .LBB32_84
.LBB32_63:
	s_or_b64 exec, exec, s[0:1]
	s_and_saveexec_b64 s[0:1], s[36:37]
	s_cbranch_execnz .LBB32_85
.LBB32_64:
	s_or_b64 exec, exec, s[0:1]
	s_and_saveexec_b64 s[0:1], s[38:39]
	s_cbranch_execnz .LBB32_86
.LBB32_65:
	s_or_b64 exec, exec, s[0:1]
	s_and_saveexec_b64 s[0:1], s[40:41]
	s_cbranch_execnz .LBB32_87
.LBB32_66:
	s_or_b64 exec, exec, s[0:1]
	s_and_saveexec_b64 s[0:1], s[42:43]
	s_cbranch_execnz .LBB32_88
.LBB32_67:
	s_endpgm
.LBB32_68:
	ds_read_b64 v[42:43], v47
	s_waitcnt lgkmcnt(0)
	global_store_dwordx2 v[40:41], v[42:43], off
	s_or_b64 exec, exec, s[4:5]
	s_and_saveexec_b64 s[0:1], s[2:3]
	s_cbranch_execz .LBB32_48
.LBB32_69:
	global_store_dwordx2 v[40:41], v[36:37], off offset:512
	s_or_b64 exec, exec, s[0:1]
	s_and_saveexec_b64 s[0:1], s[44:45]
	s_cbranch_execz .LBB32_49
.LBB32_70:
	global_store_dwordx2 v[40:41], v[38:39], off offset:1024
	s_or_b64 exec, exec, s[0:1]
	s_and_saveexec_b64 s[0:1], s[6:7]
	s_cbranch_execz .LBB32_50
.LBB32_71:
	global_store_dwordx2 v[40:41], v[32:33], off offset:1536
	s_or_b64 exec, exec, s[0:1]
	s_and_saveexec_b64 s[0:1], s[8:9]
	s_cbranch_execz .LBB32_51
.LBB32_72:
	global_store_dwordx2 v[40:41], v[34:35], off offset:2048
	s_or_b64 exec, exec, s[0:1]
	s_and_saveexec_b64 s[0:1], s[10:11]
	s_cbranch_execz .LBB32_52
.LBB32_73:
	global_store_dwordx2 v[40:41], v[28:29], off offset:2560
	s_or_b64 exec, exec, s[0:1]
	s_and_saveexec_b64 s[0:1], s[12:13]
	s_cbranch_execz .LBB32_53
.LBB32_74:
	global_store_dwordx2 v[40:41], v[30:31], off offset:3072
	s_or_b64 exec, exec, s[0:1]
	s_and_saveexec_b64 s[0:1], s[14:15]
	s_cbranch_execz .LBB32_54
.LBB32_75:
	global_store_dwordx2 v[40:41], v[24:25], off offset:3584
	s_or_b64 exec, exec, s[0:1]
	s_and_saveexec_b64 s[0:1], s[16:17]
	s_cbranch_execz .LBB32_55
.LBB32_76:
	v_add_co_u32_e32 v24, vcc, 0x1000, v40
	v_addc_co_u32_e32 v25, vcc, 0, v41, vcc
	global_store_dwordx2 v[24:25], v[26:27], off
	s_or_b64 exec, exec, s[0:1]
	s_and_saveexec_b64 s[0:1], s[18:19]
	s_cbranch_execz .LBB32_56
.LBB32_77:
	v_add_co_u32_e32 v24, vcc, 0x1000, v40
	v_addc_co_u32_e32 v25, vcc, 0, v41, vcc
	global_store_dwordx2 v[24:25], v[20:21], off offset:512
	s_or_b64 exec, exec, s[0:1]
	s_and_saveexec_b64 s[0:1], s[20:21]
	s_cbranch_execz .LBB32_57
.LBB32_78:
	v_add_co_u32_e32 v20, vcc, 0x1000, v40
	v_addc_co_u32_e32 v21, vcc, 0, v41, vcc
	global_store_dwordx2 v[20:21], v[22:23], off offset:1024
	s_or_b64 exec, exec, s[0:1]
	s_and_saveexec_b64 s[0:1], s[22:23]
	s_cbranch_execz .LBB32_58
.LBB32_79:
	v_add_co_u32_e32 v20, vcc, 0x1000, v40
	v_addc_co_u32_e32 v21, vcc, 0, v41, vcc
	global_store_dwordx2 v[20:21], v[16:17], off offset:1536
	s_or_b64 exec, exec, s[0:1]
	s_and_saveexec_b64 s[0:1], s[24:25]
	s_cbranch_execz .LBB32_59
.LBB32_80:
	v_add_co_u32_e32 v16, vcc, 0x1000, v40
	v_addc_co_u32_e32 v17, vcc, 0, v41, vcc
	global_store_dwordx2 v[16:17], v[18:19], off offset:2048
	s_or_b64 exec, exec, s[0:1]
	s_and_saveexec_b64 s[0:1], s[26:27]
	s_cbranch_execz .LBB32_60
.LBB32_81:
	v_add_co_u32_e32 v16, vcc, 0x1000, v40
	v_addc_co_u32_e32 v17, vcc, 0, v41, vcc
	global_store_dwordx2 v[16:17], v[12:13], off offset:2560
	s_or_b64 exec, exec, s[0:1]
	s_and_saveexec_b64 s[0:1], s[28:29]
	s_cbranch_execz .LBB32_61
.LBB32_82:
	v_add_co_u32_e32 v12, vcc, 0x1000, v40
	v_addc_co_u32_e32 v13, vcc, 0, v41, vcc
	global_store_dwordx2 v[12:13], v[14:15], off offset:3072
	s_or_b64 exec, exec, s[0:1]
	s_and_saveexec_b64 s[0:1], s[30:31]
	s_cbranch_execz .LBB32_62
.LBB32_83:
	v_add_co_u32_e32 v12, vcc, 0x1000, v40
	v_addc_co_u32_e32 v13, vcc, 0, v41, vcc
	global_store_dwordx2 v[12:13], v[8:9], off offset:3584
	s_or_b64 exec, exec, s[0:1]
	s_and_saveexec_b64 s[0:1], s[34:35]
	s_cbranch_execz .LBB32_63
.LBB32_84:
	v_add_co_u32_e32 v8, vcc, 0x2000, v40
	v_addc_co_u32_e32 v9, vcc, 0, v41, vcc
	global_store_dwordx2 v[8:9], v[10:11], off
	s_or_b64 exec, exec, s[0:1]
	s_and_saveexec_b64 s[0:1], s[36:37]
	s_cbranch_execz .LBB32_64
.LBB32_85:
	v_add_co_u32_e32 v8, vcc, 0x2000, v40
	v_addc_co_u32_e32 v9, vcc, 0, v41, vcc
	global_store_dwordx2 v[8:9], v[4:5], off offset:512
	s_or_b64 exec, exec, s[0:1]
	s_and_saveexec_b64 s[0:1], s[38:39]
	s_cbranch_execz .LBB32_65
.LBB32_86:
	v_add_co_u32_e32 v4, vcc, 0x2000, v40
	v_addc_co_u32_e32 v5, vcc, 0, v41, vcc
	global_store_dwordx2 v[4:5], v[6:7], off offset:1024
	s_or_b64 exec, exec, s[0:1]
	s_and_saveexec_b64 s[0:1], s[40:41]
	s_cbranch_execz .LBB32_66
.LBB32_87:
	v_add_co_u32_e32 v4, vcc, 0x2000, v40
	v_addc_co_u32_e32 v5, vcc, 0, v41, vcc
	global_store_dwordx2 v[4:5], v[0:1], off offset:1536
	s_or_b64 exec, exec, s[0:1]
	s_and_saveexec_b64 s[0:1], s[42:43]
	s_cbranch_execz .LBB32_67
.LBB32_88:
	v_add_co_u32_e32 v0, vcc, 0x2000, v40
	v_addc_co_u32_e32 v1, vcc, 0, v41, vcc
	global_store_dwordx2 v[0:1], v[2:3], off offset:2048
	s_endpgm
	.section	.rodata,"a",@progbits
	.p2align	6, 0x0
	.amdhsa_kernel _ZN7rocprim6detail18single_scan_kernelILb0ENS0_19wrapped_scan_configINS_14default_configEmEEPmS5_N6hipcub3SumEmmEEvT1_mT4_T2_T3_
		.amdhsa_group_segment_fixed_size 10752
		.amdhsa_private_segment_fixed_size 0
		.amdhsa_kernarg_size 36
		.amdhsa_user_sgpr_count 6
		.amdhsa_user_sgpr_private_segment_buffer 1
		.amdhsa_user_sgpr_dispatch_ptr 0
		.amdhsa_user_sgpr_queue_ptr 0
		.amdhsa_user_sgpr_kernarg_segment_ptr 1
		.amdhsa_user_sgpr_dispatch_id 0
		.amdhsa_user_sgpr_flat_scratch_init 0
		.amdhsa_user_sgpr_kernarg_preload_length 0
		.amdhsa_user_sgpr_kernarg_preload_offset 0
		.amdhsa_user_sgpr_private_segment_size 0
		.amdhsa_uses_dynamic_stack 0
		.amdhsa_system_sgpr_private_segment_wavefront_offset 0
		.amdhsa_system_sgpr_workgroup_id_x 1
		.amdhsa_system_sgpr_workgroup_id_y 0
		.amdhsa_system_sgpr_workgroup_id_z 0
		.amdhsa_system_sgpr_workgroup_info 0
		.amdhsa_system_vgpr_workitem_id 0
		.amdhsa_next_free_vgpr 54
		.amdhsa_next_free_sgpr 50
		.amdhsa_accum_offset 56
		.amdhsa_reserve_vcc 1
		.amdhsa_reserve_flat_scratch 0
		.amdhsa_float_round_mode_32 0
		.amdhsa_float_round_mode_16_64 0
		.amdhsa_float_denorm_mode_32 3
		.amdhsa_float_denorm_mode_16_64 3
		.amdhsa_dx10_clamp 1
		.amdhsa_ieee_mode 1
		.amdhsa_fp16_overflow 0
		.amdhsa_tg_split 0
		.amdhsa_exception_fp_ieee_invalid_op 0
		.amdhsa_exception_fp_denorm_src 0
		.amdhsa_exception_fp_ieee_div_zero 0
		.amdhsa_exception_fp_ieee_overflow 0
		.amdhsa_exception_fp_ieee_underflow 0
		.amdhsa_exception_fp_ieee_inexact 0
		.amdhsa_exception_int_div_zero 0
	.end_amdhsa_kernel
	.section	.text._ZN7rocprim6detail18single_scan_kernelILb0ENS0_19wrapped_scan_configINS_14default_configEmEEPmS5_N6hipcub3SumEmmEEvT1_mT4_T2_T3_,"axG",@progbits,_ZN7rocprim6detail18single_scan_kernelILb0ENS0_19wrapped_scan_configINS_14default_configEmEEPmS5_N6hipcub3SumEmmEEvT1_mT4_T2_T3_,comdat
.Lfunc_end32:
	.size	_ZN7rocprim6detail18single_scan_kernelILb0ENS0_19wrapped_scan_configINS_14default_configEmEEPmS5_N6hipcub3SumEmmEEvT1_mT4_T2_T3_, .Lfunc_end32-_ZN7rocprim6detail18single_scan_kernelILb0ENS0_19wrapped_scan_configINS_14default_configEmEEPmS5_N6hipcub3SumEmmEEvT1_mT4_T2_T3_
                                        ; -- End function
	.section	.AMDGPU.csdata,"",@progbits
; Kernel info:
; codeLenInByte = 3108
; NumSgprs: 54
; NumVgprs: 54
; NumAgprs: 0
; TotalNumVgprs: 54
; ScratchSize: 0
; MemoryBound: 0
; FloatMode: 240
; IeeeMode: 1
; LDSByteSize: 10752 bytes/workgroup (compile time only)
; SGPRBlocks: 6
; VGPRBlocks: 6
; NumSGPRsForWavesPerEU: 54
; NumVGPRsForWavesPerEU: 54
; AccumOffset: 56
; Occupancy: 2
; WaveLimiterHint : 0
; COMPUTE_PGM_RSRC2:SCRATCH_EN: 0
; COMPUTE_PGM_RSRC2:USER_SGPR: 6
; COMPUTE_PGM_RSRC2:TRAP_HANDLER: 0
; COMPUTE_PGM_RSRC2:TGID_X_EN: 1
; COMPUTE_PGM_RSRC2:TGID_Y_EN: 0
; COMPUTE_PGM_RSRC2:TGID_Z_EN: 0
; COMPUTE_PGM_RSRC2:TIDIG_COMP_CNT: 0
; COMPUTE_PGM_RSRC3_GFX90A:ACCUM_OFFSET: 13
; COMPUTE_PGM_RSRC3_GFX90A:TG_SPLIT: 0
	.section	.text._ZN7rocprim6detail31init_lookback_scan_state_kernelINS0_19lookback_scan_stateIyLb1ELb1EEEEEvT_jjPNS4_10value_typeE,"axG",@progbits,_ZN7rocprim6detail31init_lookback_scan_state_kernelINS0_19lookback_scan_stateIyLb1ELb1EEEEEvT_jjPNS4_10value_typeE,comdat
	.protected	_ZN7rocprim6detail31init_lookback_scan_state_kernelINS0_19lookback_scan_stateIyLb1ELb1EEEEEvT_jjPNS4_10value_typeE ; -- Begin function _ZN7rocprim6detail31init_lookback_scan_state_kernelINS0_19lookback_scan_stateIyLb1ELb1EEEEEvT_jjPNS4_10value_typeE
	.globl	_ZN7rocprim6detail31init_lookback_scan_state_kernelINS0_19lookback_scan_stateIyLb1ELb1EEEEEvT_jjPNS4_10value_typeE
	.p2align	8
	.type	_ZN7rocprim6detail31init_lookback_scan_state_kernelINS0_19lookback_scan_stateIyLb1ELb1EEEEEvT_jjPNS4_10value_typeE,@function
_ZN7rocprim6detail31init_lookback_scan_state_kernelINS0_19lookback_scan_stateIyLb1ELb1EEEEEvT_jjPNS4_10value_typeE: ; @_ZN7rocprim6detail31init_lookback_scan_state_kernelINS0_19lookback_scan_stateIyLb1ELb1EEEEEvT_jjPNS4_10value_typeE
; %bb.0:
	s_load_dword s7, s[4:5], 0x24
	s_load_dwordx2 s[8:9], s[4:5], 0x10
	s_load_dwordx4 s[0:3], s[4:5], 0x0
	s_waitcnt lgkmcnt(0)
	s_and_b32 s4, s7, 0xffff
	s_mul_i32 s6, s6, s4
	s_cmp_eq_u64 s[8:9], 0
	v_add_u32_e32 v0, s6, v0
	s_cbranch_scc1 .LBB33_10
; %bb.1:
	s_cmp_lt_u32 s3, s2
	s_cselect_b32 s4, s3, 0
	s_mov_b32 s7, 0
	v_cmp_eq_u32_e32 vcc, s4, v0
	s_and_saveexec_b64 s[4:5], vcc
	s_cbranch_execz .LBB33_9
; %bb.2:
	s_add_i32 s6, s3, 64
	s_lshl_b64 s[6:7], s[6:7], 4
	s_add_u32 s12, s0, s6
	s_addc_u32 s13, s1, s7
	v_pk_mov_b32 v[2:3], s[12:13], s[12:13] op_sel:[0,1]
	;;#ASMSTART
	global_load_dwordx4 v[2:5], v[2:3] off glc	
s_waitcnt vmcnt(0)
	;;#ASMEND
	v_mov_b32_e32 v7, 0
	v_and_b32_e32 v6, 0xff, v4
	s_mov_b64 s[10:11], 0
	v_cmp_eq_u64_e32 vcc, 0, v[6:7]
	s_and_saveexec_b64 s[6:7], vcc
	s_cbranch_execz .LBB33_8
; %bb.3:
	s_mov_b32 s3, 1
	v_pk_mov_b32 v[8:9], s[12:13], s[12:13] op_sel:[0,1]
.LBB33_4:                               ; =>This Loop Header: Depth=1
                                        ;     Child Loop BB33_5 Depth 2
	s_max_u32 s12, s3, 1
.LBB33_5:                               ;   Parent Loop BB33_4 Depth=1
                                        ; =>  This Inner Loop Header: Depth=2
	s_add_i32 s12, s12, -1
	s_cmp_eq_u32 s12, 0
	s_sleep 1
	s_cbranch_scc0 .LBB33_5
; %bb.6:                                ;   in Loop: Header=BB33_4 Depth=1
	s_cmp_lt_u32 s3, 32
	s_cselect_b64 s[12:13], -1, 0
	s_cmp_lg_u64 s[12:13], 0
	;;#ASMSTART
	global_load_dwordx4 v[2:5], v[8:9] off glc	
s_waitcnt vmcnt(0)
	;;#ASMEND
	v_and_b32_e32 v6, 0xff, v4
	s_addc_u32 s3, s3, 0
	v_cmp_ne_u64_e32 vcc, 0, v[6:7]
	s_or_b64 s[10:11], vcc, s[10:11]
	s_andn2_b64 exec, exec, s[10:11]
	s_cbranch_execnz .LBB33_4
; %bb.7:
	s_or_b64 exec, exec, s[10:11]
.LBB33_8:
	s_or_b64 exec, exec, s[6:7]
	v_mov_b32_e32 v1, 0
	global_store_dwordx2 v1, v[2:3], s[8:9]
.LBB33_9:
	s_or_b64 exec, exec, s[4:5]
.LBB33_10:
	v_cmp_gt_u32_e32 vcc, s2, v0
	s_and_saveexec_b64 s[2:3], vcc
	s_cbranch_execnz .LBB33_13
; %bb.11:
	s_or_b64 exec, exec, s[2:3]
	v_cmp_gt_u32_e32 vcc, 64, v0
	s_and_saveexec_b64 s[2:3], vcc
	s_cbranch_execnz .LBB33_14
.LBB33_12:
	s_endpgm
.LBB33_13:
	v_add_u32_e32 v2, 64, v0
	v_mov_b32_e32 v3, 0
	v_lshlrev_b64 v[4:5], 4, v[2:3]
	v_mov_b32_e32 v1, s1
	v_add_co_u32_e32 v6, vcc, s0, v4
	v_addc_co_u32_e32 v7, vcc, v1, v5, vcc
	v_mov_b32_e32 v2, v3
	v_mov_b32_e32 v4, v3
	;; [unrolled: 1-line block ×3, first 2 shown]
	global_store_dwordx4 v[6:7], v[2:5], off
	s_or_b64 exec, exec, s[2:3]
	v_cmp_gt_u32_e32 vcc, 64, v0
	s_and_saveexec_b64 s[2:3], vcc
	s_cbranch_execz .LBB33_12
.LBB33_14:
	v_mov_b32_e32 v1, 0
	v_lshlrev_b64 v[2:3], 4, v[0:1]
	v_mov_b32_e32 v0, s1
	v_add_co_u32_e32 v4, vcc, s0, v2
	v_addc_co_u32_e32 v5, vcc, v0, v3, vcc
	v_mov_b32_e32 v2, 0xff
	v_mov_b32_e32 v0, v1
	;; [unrolled: 1-line block ×3, first 2 shown]
	global_store_dwordx4 v[4:5], v[0:3], off
	s_endpgm
	.section	.rodata,"a",@progbits
	.p2align	6, 0x0
	.amdhsa_kernel _ZN7rocprim6detail31init_lookback_scan_state_kernelINS0_19lookback_scan_stateIyLb1ELb1EEEEEvT_jjPNS4_10value_typeE
		.amdhsa_group_segment_fixed_size 0
		.amdhsa_private_segment_fixed_size 0
		.amdhsa_kernarg_size 280
		.amdhsa_user_sgpr_count 6
		.amdhsa_user_sgpr_private_segment_buffer 1
		.amdhsa_user_sgpr_dispatch_ptr 0
		.amdhsa_user_sgpr_queue_ptr 0
		.amdhsa_user_sgpr_kernarg_segment_ptr 1
		.amdhsa_user_sgpr_dispatch_id 0
		.amdhsa_user_sgpr_flat_scratch_init 0
		.amdhsa_user_sgpr_kernarg_preload_length 0
		.amdhsa_user_sgpr_kernarg_preload_offset 0
		.amdhsa_user_sgpr_private_segment_size 0
		.amdhsa_uses_dynamic_stack 0
		.amdhsa_system_sgpr_private_segment_wavefront_offset 0
		.amdhsa_system_sgpr_workgroup_id_x 1
		.amdhsa_system_sgpr_workgroup_id_y 0
		.amdhsa_system_sgpr_workgroup_id_z 0
		.amdhsa_system_sgpr_workgroup_info 0
		.amdhsa_system_vgpr_workitem_id 0
		.amdhsa_next_free_vgpr 10
		.amdhsa_next_free_sgpr 14
		.amdhsa_accum_offset 12
		.amdhsa_reserve_vcc 1
		.amdhsa_reserve_flat_scratch 0
		.amdhsa_float_round_mode_32 0
		.amdhsa_float_round_mode_16_64 0
		.amdhsa_float_denorm_mode_32 3
		.amdhsa_float_denorm_mode_16_64 3
		.amdhsa_dx10_clamp 1
		.amdhsa_ieee_mode 1
		.amdhsa_fp16_overflow 0
		.amdhsa_tg_split 0
		.amdhsa_exception_fp_ieee_invalid_op 0
		.amdhsa_exception_fp_denorm_src 0
		.amdhsa_exception_fp_ieee_div_zero 0
		.amdhsa_exception_fp_ieee_overflow 0
		.amdhsa_exception_fp_ieee_underflow 0
		.amdhsa_exception_fp_ieee_inexact 0
		.amdhsa_exception_int_div_zero 0
	.end_amdhsa_kernel
	.section	.text._ZN7rocprim6detail31init_lookback_scan_state_kernelINS0_19lookback_scan_stateIyLb1ELb1EEEEEvT_jjPNS4_10value_typeE,"axG",@progbits,_ZN7rocprim6detail31init_lookback_scan_state_kernelINS0_19lookback_scan_stateIyLb1ELb1EEEEEvT_jjPNS4_10value_typeE,comdat
.Lfunc_end33:
	.size	_ZN7rocprim6detail31init_lookback_scan_state_kernelINS0_19lookback_scan_stateIyLb1ELb1EEEEEvT_jjPNS4_10value_typeE, .Lfunc_end33-_ZN7rocprim6detail31init_lookback_scan_state_kernelINS0_19lookback_scan_stateIyLb1ELb1EEEEEvT_jjPNS4_10value_typeE
                                        ; -- End function
	.section	.AMDGPU.csdata,"",@progbits
; Kernel info:
; codeLenInByte = 404
; NumSgprs: 18
; NumVgprs: 10
; NumAgprs: 0
; TotalNumVgprs: 10
; ScratchSize: 0
; MemoryBound: 0
; FloatMode: 240
; IeeeMode: 1
; LDSByteSize: 0 bytes/workgroup (compile time only)
; SGPRBlocks: 2
; VGPRBlocks: 1
; NumSGPRsForWavesPerEU: 18
; NumVGPRsForWavesPerEU: 10
; AccumOffset: 12
; Occupancy: 8
; WaveLimiterHint : 0
; COMPUTE_PGM_RSRC2:SCRATCH_EN: 0
; COMPUTE_PGM_RSRC2:USER_SGPR: 6
; COMPUTE_PGM_RSRC2:TRAP_HANDLER: 0
; COMPUTE_PGM_RSRC2:TGID_X_EN: 1
; COMPUTE_PGM_RSRC2:TGID_Y_EN: 0
; COMPUTE_PGM_RSRC2:TGID_Z_EN: 0
; COMPUTE_PGM_RSRC2:TIDIG_COMP_CNT: 0
; COMPUTE_PGM_RSRC3_GFX90A:ACCUM_OFFSET: 2
; COMPUTE_PGM_RSRC3_GFX90A:TG_SPLIT: 0
	.section	.text._ZN7rocprim6detail31init_lookback_scan_state_kernelINS0_19lookback_scan_stateIyLb0ELb1EEEEEvT_jjPNS4_10value_typeE,"axG",@progbits,_ZN7rocprim6detail31init_lookback_scan_state_kernelINS0_19lookback_scan_stateIyLb0ELb1EEEEEvT_jjPNS4_10value_typeE,comdat
	.protected	_ZN7rocprim6detail31init_lookback_scan_state_kernelINS0_19lookback_scan_stateIyLb0ELb1EEEEEvT_jjPNS4_10value_typeE ; -- Begin function _ZN7rocprim6detail31init_lookback_scan_state_kernelINS0_19lookback_scan_stateIyLb0ELb1EEEEEvT_jjPNS4_10value_typeE
	.globl	_ZN7rocprim6detail31init_lookback_scan_state_kernelINS0_19lookback_scan_stateIyLb0ELb1EEEEEvT_jjPNS4_10value_typeE
	.p2align	8
	.type	_ZN7rocprim6detail31init_lookback_scan_state_kernelINS0_19lookback_scan_stateIyLb0ELb1EEEEEvT_jjPNS4_10value_typeE,@function
_ZN7rocprim6detail31init_lookback_scan_state_kernelINS0_19lookback_scan_stateIyLb0ELb1EEEEEvT_jjPNS4_10value_typeE: ; @_ZN7rocprim6detail31init_lookback_scan_state_kernelINS0_19lookback_scan_stateIyLb0ELb1EEEEEvT_jjPNS4_10value_typeE
; %bb.0:
	s_load_dword s7, s[4:5], 0x24
	s_load_dwordx2 s[8:9], s[4:5], 0x10
	s_load_dwordx4 s[0:3], s[4:5], 0x0
	s_waitcnt lgkmcnt(0)
	s_and_b32 s4, s7, 0xffff
	s_mul_i32 s6, s6, s4
	s_cmp_eq_u64 s[8:9], 0
	v_add_u32_e32 v0, s6, v0
	s_cbranch_scc1 .LBB34_8
; %bb.1:
	s_cmp_lt_u32 s3, s2
	s_cselect_b32 s4, s3, 0
	s_mov_b32 s7, 0
	v_cmp_eq_u32_e32 vcc, s4, v0
	s_and_saveexec_b64 s[4:5], vcc
	s_cbranch_execz .LBB34_7
; %bb.2:
	s_add_i32 s6, s3, 64
	s_lshl_b64 s[6:7], s[6:7], 4
	s_add_u32 s12, s0, s6
	s_addc_u32 s13, s1, s7
	v_pk_mov_b32 v[2:3], s[12:13], s[12:13] op_sel:[0,1]
	;;#ASMSTART
	global_load_dwordx4 v[2:5], v[2:3] off glc	
s_waitcnt vmcnt(0)
	;;#ASMEND
	v_mov_b32_e32 v7, 0
	v_and_b32_e32 v6, 0xff, v4
	s_mov_b64 s[10:11], 0
	v_cmp_eq_u64_e32 vcc, 0, v[6:7]
	s_and_saveexec_b64 s[6:7], vcc
	s_cbranch_execz .LBB34_6
; %bb.3:
	v_pk_mov_b32 v[8:9], s[12:13], s[12:13] op_sel:[0,1]
.LBB34_4:                               ; =>This Inner Loop Header: Depth=1
	;;#ASMSTART
	global_load_dwordx4 v[2:5], v[8:9] off glc	
s_waitcnt vmcnt(0)
	;;#ASMEND
	v_and_b32_e32 v6, 0xff, v4
	v_cmp_ne_u64_e32 vcc, 0, v[6:7]
	s_or_b64 s[10:11], vcc, s[10:11]
	s_andn2_b64 exec, exec, s[10:11]
	s_cbranch_execnz .LBB34_4
; %bb.5:
	s_or_b64 exec, exec, s[10:11]
.LBB34_6:
	s_or_b64 exec, exec, s[6:7]
	v_mov_b32_e32 v1, 0
	global_store_dwordx2 v1, v[2:3], s[8:9]
.LBB34_7:
	s_or_b64 exec, exec, s[4:5]
.LBB34_8:
	v_cmp_gt_u32_e32 vcc, s2, v0
	s_and_saveexec_b64 s[2:3], vcc
	s_cbranch_execnz .LBB34_11
; %bb.9:
	s_or_b64 exec, exec, s[2:3]
	v_cmp_gt_u32_e32 vcc, 64, v0
	s_and_saveexec_b64 s[2:3], vcc
	s_cbranch_execnz .LBB34_12
.LBB34_10:
	s_endpgm
.LBB34_11:
	v_add_u32_e32 v2, 64, v0
	v_mov_b32_e32 v3, 0
	v_lshlrev_b64 v[4:5], 4, v[2:3]
	v_mov_b32_e32 v1, s1
	v_add_co_u32_e32 v6, vcc, s0, v4
	v_addc_co_u32_e32 v7, vcc, v1, v5, vcc
	v_mov_b32_e32 v2, v3
	v_mov_b32_e32 v4, v3
	;; [unrolled: 1-line block ×3, first 2 shown]
	global_store_dwordx4 v[6:7], v[2:5], off
	s_or_b64 exec, exec, s[2:3]
	v_cmp_gt_u32_e32 vcc, 64, v0
	s_and_saveexec_b64 s[2:3], vcc
	s_cbranch_execz .LBB34_10
.LBB34_12:
	v_mov_b32_e32 v1, 0
	v_lshlrev_b64 v[2:3], 4, v[0:1]
	v_mov_b32_e32 v0, s1
	v_add_co_u32_e32 v4, vcc, s0, v2
	v_addc_co_u32_e32 v5, vcc, v0, v3, vcc
	v_mov_b32_e32 v2, 0xff
	v_mov_b32_e32 v0, v1
	v_mov_b32_e32 v3, v1
	global_store_dwordx4 v[4:5], v[0:3], off
	s_endpgm
	.section	.rodata,"a",@progbits
	.p2align	6, 0x0
	.amdhsa_kernel _ZN7rocprim6detail31init_lookback_scan_state_kernelINS0_19lookback_scan_stateIyLb0ELb1EEEEEvT_jjPNS4_10value_typeE
		.amdhsa_group_segment_fixed_size 0
		.amdhsa_private_segment_fixed_size 0
		.amdhsa_kernarg_size 280
		.amdhsa_user_sgpr_count 6
		.amdhsa_user_sgpr_private_segment_buffer 1
		.amdhsa_user_sgpr_dispatch_ptr 0
		.amdhsa_user_sgpr_queue_ptr 0
		.amdhsa_user_sgpr_kernarg_segment_ptr 1
		.amdhsa_user_sgpr_dispatch_id 0
		.amdhsa_user_sgpr_flat_scratch_init 0
		.amdhsa_user_sgpr_kernarg_preload_length 0
		.amdhsa_user_sgpr_kernarg_preload_offset 0
		.amdhsa_user_sgpr_private_segment_size 0
		.amdhsa_uses_dynamic_stack 0
		.amdhsa_system_sgpr_private_segment_wavefront_offset 0
		.amdhsa_system_sgpr_workgroup_id_x 1
		.amdhsa_system_sgpr_workgroup_id_y 0
		.amdhsa_system_sgpr_workgroup_id_z 0
		.amdhsa_system_sgpr_workgroup_info 0
		.amdhsa_system_vgpr_workitem_id 0
		.amdhsa_next_free_vgpr 10
		.amdhsa_next_free_sgpr 14
		.amdhsa_accum_offset 12
		.amdhsa_reserve_vcc 1
		.amdhsa_reserve_flat_scratch 0
		.amdhsa_float_round_mode_32 0
		.amdhsa_float_round_mode_16_64 0
		.amdhsa_float_denorm_mode_32 3
		.amdhsa_float_denorm_mode_16_64 3
		.amdhsa_dx10_clamp 1
		.amdhsa_ieee_mode 1
		.amdhsa_fp16_overflow 0
		.amdhsa_tg_split 0
		.amdhsa_exception_fp_ieee_invalid_op 0
		.amdhsa_exception_fp_denorm_src 0
		.amdhsa_exception_fp_ieee_div_zero 0
		.amdhsa_exception_fp_ieee_overflow 0
		.amdhsa_exception_fp_ieee_underflow 0
		.amdhsa_exception_fp_ieee_inexact 0
		.amdhsa_exception_int_div_zero 0
	.end_amdhsa_kernel
	.section	.text._ZN7rocprim6detail31init_lookback_scan_state_kernelINS0_19lookback_scan_stateIyLb0ELb1EEEEEvT_jjPNS4_10value_typeE,"axG",@progbits,_ZN7rocprim6detail31init_lookback_scan_state_kernelINS0_19lookback_scan_stateIyLb0ELb1EEEEEvT_jjPNS4_10value_typeE,comdat
.Lfunc_end34:
	.size	_ZN7rocprim6detail31init_lookback_scan_state_kernelINS0_19lookback_scan_stateIyLb0ELb1EEEEEvT_jjPNS4_10value_typeE, .Lfunc_end34-_ZN7rocprim6detail31init_lookback_scan_state_kernelINS0_19lookback_scan_stateIyLb0ELb1EEEEEvT_jjPNS4_10value_typeE
                                        ; -- End function
	.section	.AMDGPU.csdata,"",@progbits
; Kernel info:
; codeLenInByte = 364
; NumSgprs: 18
; NumVgprs: 10
; NumAgprs: 0
; TotalNumVgprs: 10
; ScratchSize: 0
; MemoryBound: 0
; FloatMode: 240
; IeeeMode: 1
; LDSByteSize: 0 bytes/workgroup (compile time only)
; SGPRBlocks: 2
; VGPRBlocks: 1
; NumSGPRsForWavesPerEU: 18
; NumVGPRsForWavesPerEU: 10
; AccumOffset: 12
; Occupancy: 8
; WaveLimiterHint : 0
; COMPUTE_PGM_RSRC2:SCRATCH_EN: 0
; COMPUTE_PGM_RSRC2:USER_SGPR: 6
; COMPUTE_PGM_RSRC2:TRAP_HANDLER: 0
; COMPUTE_PGM_RSRC2:TGID_X_EN: 1
; COMPUTE_PGM_RSRC2:TGID_Y_EN: 0
; COMPUTE_PGM_RSRC2:TGID_Z_EN: 0
; COMPUTE_PGM_RSRC2:TIDIG_COMP_CNT: 0
; COMPUTE_PGM_RSRC3_GFX90A:ACCUM_OFFSET: 2
; COMPUTE_PGM_RSRC3_GFX90A:TG_SPLIT: 0
	.section	.text._ZN7rocprim6detail20lookback_scan_kernelILNS0_25lookback_scan_determinismE0ELb0ENS0_19wrapped_scan_configINS_14default_configEyEEPyS6_N6hipcub3MinEyyNS0_19lookback_scan_stateIyLb1ELb1EEEEEvT2_T3_mT5_T4_T7_jPT6_SH_bb,"axG",@progbits,_ZN7rocprim6detail20lookback_scan_kernelILNS0_25lookback_scan_determinismE0ELb0ENS0_19wrapped_scan_configINS_14default_configEyEEPyS6_N6hipcub3MinEyyNS0_19lookback_scan_stateIyLb1ELb1EEEEEvT2_T3_mT5_T4_T7_jPT6_SH_bb,comdat
	.protected	_ZN7rocprim6detail20lookback_scan_kernelILNS0_25lookback_scan_determinismE0ELb0ENS0_19wrapped_scan_configINS_14default_configEyEEPyS6_N6hipcub3MinEyyNS0_19lookback_scan_stateIyLb1ELb1EEEEEvT2_T3_mT5_T4_T7_jPT6_SH_bb ; -- Begin function _ZN7rocprim6detail20lookback_scan_kernelILNS0_25lookback_scan_determinismE0ELb0ENS0_19wrapped_scan_configINS_14default_configEyEEPyS6_N6hipcub3MinEyyNS0_19lookback_scan_stateIyLb1ELb1EEEEEvT2_T3_mT5_T4_T7_jPT6_SH_bb
	.globl	_ZN7rocprim6detail20lookback_scan_kernelILNS0_25lookback_scan_determinismE0ELb0ENS0_19wrapped_scan_configINS_14default_configEyEEPyS6_N6hipcub3MinEyyNS0_19lookback_scan_stateIyLb1ELb1EEEEEvT2_T3_mT5_T4_T7_jPT6_SH_bb
	.p2align	8
	.type	_ZN7rocprim6detail20lookback_scan_kernelILNS0_25lookback_scan_determinismE0ELb0ENS0_19wrapped_scan_configINS_14default_configEyEEPyS6_N6hipcub3MinEyyNS0_19lookback_scan_stateIyLb1ELb1EEEEEvT2_T3_mT5_T4_T7_jPT6_SH_bb,@function
_ZN7rocprim6detail20lookback_scan_kernelILNS0_25lookback_scan_determinismE0ELb0ENS0_19wrapped_scan_configINS_14default_configEyEEPyS6_N6hipcub3MinEyyNS0_19lookback_scan_stateIyLb1ELb1EEEEEvT2_T3_mT5_T4_T7_jPT6_SH_bb: ; @_ZN7rocprim6detail20lookback_scan_kernelILNS0_25lookback_scan_determinismE0ELb0ENS0_19wrapped_scan_configINS_14default_configEyEEPyS6_N6hipcub3MinEyyNS0_19lookback_scan_stateIyLb1ELb1EEEEEvT2_T3_mT5_T4_T7_jPT6_SH_bb
; %bb.0:
	s_endpgm
	.section	.rodata,"a",@progbits
	.p2align	6, 0x0
	.amdhsa_kernel _ZN7rocprim6detail20lookback_scan_kernelILNS0_25lookback_scan_determinismE0ELb0ENS0_19wrapped_scan_configINS_14default_configEyEEPyS6_N6hipcub3MinEyyNS0_19lookback_scan_stateIyLb1ELb1EEEEEvT2_T3_mT5_T4_T7_jPT6_SH_bb
		.amdhsa_group_segment_fixed_size 0
		.amdhsa_private_segment_fixed_size 0
		.amdhsa_kernarg_size 76
		.amdhsa_user_sgpr_count 6
		.amdhsa_user_sgpr_private_segment_buffer 1
		.amdhsa_user_sgpr_dispatch_ptr 0
		.amdhsa_user_sgpr_queue_ptr 0
		.amdhsa_user_sgpr_kernarg_segment_ptr 1
		.amdhsa_user_sgpr_dispatch_id 0
		.amdhsa_user_sgpr_flat_scratch_init 0
		.amdhsa_user_sgpr_kernarg_preload_length 0
		.amdhsa_user_sgpr_kernarg_preload_offset 0
		.amdhsa_user_sgpr_private_segment_size 0
		.amdhsa_uses_dynamic_stack 0
		.amdhsa_system_sgpr_private_segment_wavefront_offset 0
		.amdhsa_system_sgpr_workgroup_id_x 1
		.amdhsa_system_sgpr_workgroup_id_y 0
		.amdhsa_system_sgpr_workgroup_id_z 0
		.amdhsa_system_sgpr_workgroup_info 0
		.amdhsa_system_vgpr_workitem_id 0
		.amdhsa_next_free_vgpr 1
		.amdhsa_next_free_sgpr 0
		.amdhsa_accum_offset 4
		.amdhsa_reserve_vcc 0
		.amdhsa_reserve_flat_scratch 0
		.amdhsa_float_round_mode_32 0
		.amdhsa_float_round_mode_16_64 0
		.amdhsa_float_denorm_mode_32 3
		.amdhsa_float_denorm_mode_16_64 3
		.amdhsa_dx10_clamp 1
		.amdhsa_ieee_mode 1
		.amdhsa_fp16_overflow 0
		.amdhsa_tg_split 0
		.amdhsa_exception_fp_ieee_invalid_op 0
		.amdhsa_exception_fp_denorm_src 0
		.amdhsa_exception_fp_ieee_div_zero 0
		.amdhsa_exception_fp_ieee_overflow 0
		.amdhsa_exception_fp_ieee_underflow 0
		.amdhsa_exception_fp_ieee_inexact 0
		.amdhsa_exception_int_div_zero 0
	.end_amdhsa_kernel
	.section	.text._ZN7rocprim6detail20lookback_scan_kernelILNS0_25lookback_scan_determinismE0ELb0ENS0_19wrapped_scan_configINS_14default_configEyEEPyS6_N6hipcub3MinEyyNS0_19lookback_scan_stateIyLb1ELb1EEEEEvT2_T3_mT5_T4_T7_jPT6_SH_bb,"axG",@progbits,_ZN7rocprim6detail20lookback_scan_kernelILNS0_25lookback_scan_determinismE0ELb0ENS0_19wrapped_scan_configINS_14default_configEyEEPyS6_N6hipcub3MinEyyNS0_19lookback_scan_stateIyLb1ELb1EEEEEvT2_T3_mT5_T4_T7_jPT6_SH_bb,comdat
.Lfunc_end35:
	.size	_ZN7rocprim6detail20lookback_scan_kernelILNS0_25lookback_scan_determinismE0ELb0ENS0_19wrapped_scan_configINS_14default_configEyEEPyS6_N6hipcub3MinEyyNS0_19lookback_scan_stateIyLb1ELb1EEEEEvT2_T3_mT5_T4_T7_jPT6_SH_bb, .Lfunc_end35-_ZN7rocprim6detail20lookback_scan_kernelILNS0_25lookback_scan_determinismE0ELb0ENS0_19wrapped_scan_configINS_14default_configEyEEPyS6_N6hipcub3MinEyyNS0_19lookback_scan_stateIyLb1ELb1EEEEEvT2_T3_mT5_T4_T7_jPT6_SH_bb
                                        ; -- End function
	.section	.AMDGPU.csdata,"",@progbits
; Kernel info:
; codeLenInByte = 4
; NumSgprs: 4
; NumVgprs: 0
; NumAgprs: 0
; TotalNumVgprs: 0
; ScratchSize: 0
; MemoryBound: 0
; FloatMode: 240
; IeeeMode: 1
; LDSByteSize: 0 bytes/workgroup (compile time only)
; SGPRBlocks: 0
; VGPRBlocks: 0
; NumSGPRsForWavesPerEU: 4
; NumVGPRsForWavesPerEU: 1
; AccumOffset: 4
; Occupancy: 8
; WaveLimiterHint : 0
; COMPUTE_PGM_RSRC2:SCRATCH_EN: 0
; COMPUTE_PGM_RSRC2:USER_SGPR: 6
; COMPUTE_PGM_RSRC2:TRAP_HANDLER: 0
; COMPUTE_PGM_RSRC2:TGID_X_EN: 1
; COMPUTE_PGM_RSRC2:TGID_Y_EN: 0
; COMPUTE_PGM_RSRC2:TGID_Z_EN: 0
; COMPUTE_PGM_RSRC2:TIDIG_COMP_CNT: 0
; COMPUTE_PGM_RSRC3_GFX90A:ACCUM_OFFSET: 0
; COMPUTE_PGM_RSRC3_GFX90A:TG_SPLIT: 0
	.section	.text._ZN7rocprim6detail20lookback_scan_kernelILNS0_25lookback_scan_determinismE0ELb0ENS0_19wrapped_scan_configINS_14default_configEyEEPyS6_N6hipcub3MinEyyNS0_19lookback_scan_stateIyLb0ELb1EEEEEvT2_T3_mT5_T4_T7_jPT6_SH_bb,"axG",@progbits,_ZN7rocprim6detail20lookback_scan_kernelILNS0_25lookback_scan_determinismE0ELb0ENS0_19wrapped_scan_configINS_14default_configEyEEPyS6_N6hipcub3MinEyyNS0_19lookback_scan_stateIyLb0ELb1EEEEEvT2_T3_mT5_T4_T7_jPT6_SH_bb,comdat
	.protected	_ZN7rocprim6detail20lookback_scan_kernelILNS0_25lookback_scan_determinismE0ELb0ENS0_19wrapped_scan_configINS_14default_configEyEEPyS6_N6hipcub3MinEyyNS0_19lookback_scan_stateIyLb0ELb1EEEEEvT2_T3_mT5_T4_T7_jPT6_SH_bb ; -- Begin function _ZN7rocprim6detail20lookback_scan_kernelILNS0_25lookback_scan_determinismE0ELb0ENS0_19wrapped_scan_configINS_14default_configEyEEPyS6_N6hipcub3MinEyyNS0_19lookback_scan_stateIyLb0ELb1EEEEEvT2_T3_mT5_T4_T7_jPT6_SH_bb
	.globl	_ZN7rocprim6detail20lookback_scan_kernelILNS0_25lookback_scan_determinismE0ELb0ENS0_19wrapped_scan_configINS_14default_configEyEEPyS6_N6hipcub3MinEyyNS0_19lookback_scan_stateIyLb0ELb1EEEEEvT2_T3_mT5_T4_T7_jPT6_SH_bb
	.p2align	8
	.type	_ZN7rocprim6detail20lookback_scan_kernelILNS0_25lookback_scan_determinismE0ELb0ENS0_19wrapped_scan_configINS_14default_configEyEEPyS6_N6hipcub3MinEyyNS0_19lookback_scan_stateIyLb0ELb1EEEEEvT2_T3_mT5_T4_T7_jPT6_SH_bb,@function
_ZN7rocprim6detail20lookback_scan_kernelILNS0_25lookback_scan_determinismE0ELb0ENS0_19wrapped_scan_configINS_14default_configEyEEPyS6_N6hipcub3MinEyyNS0_19lookback_scan_stateIyLb0ELb1EEEEEvT2_T3_mT5_T4_T7_jPT6_SH_bb: ; @_ZN7rocprim6detail20lookback_scan_kernelILNS0_25lookback_scan_determinismE0ELb0ENS0_19wrapped_scan_configINS_14default_configEyEEPyS6_N6hipcub3MinEyyNS0_19lookback_scan_stateIyLb0ELb1EEEEEvT2_T3_mT5_T4_T7_jPT6_SH_bb
; %bb.0:
	s_load_dword s3, s[4:5], 0x30
	s_load_dwordx4 s[8:11], s[4:5], 0x0
	s_load_dwordx2 s[0:1], s[4:5], 0x10
	s_mul_i32 s2, s6, 0x540
	v_lshlrev_b32_e32 v88, 3, v0
	s_waitcnt lgkmcnt(0)
	s_add_i32 s7, s3, -1
	s_mul_i32 s12, s7, 0x540
	s_sub_u32 s20, s0, s12
	s_subb_u32 s21, s1, 0
	s_mov_b32 s3, 0
	s_cmp_lg_u32 s6, s7
	s_cselect_b64 s[16:17], -1, 0
	s_lshl_b64 s[18:19], s[2:3], 3
	s_add_u32 s8, s8, s18
	s_addc_u32 s9, s9, s19
	s_mov_b64 s[0:1], -1
	s_and_b64 vcc, exec, s[16:17]
	s_cbranch_vccz .LBB36_2
; %bb.1:
	v_mov_b32_e32 v1, s9
	v_add_co_u32_e32 v36, vcc, s8, v88
	v_addc_co_u32_e32 v1, vcc, 0, v1, vcc
	v_add_co_u32_e32 v18, vcc, 0x1000, v36
	v_addc_co_u32_e32 v19, vcc, 0, v1, vcc
	global_load_dwordx2 v[2:3], v88, s[8:9]
	global_load_dwordx2 v[4:5], v88, s[8:9] offset:512
	global_load_dwordx2 v[6:7], v88, s[8:9] offset:1024
	;; [unrolled: 1-line block ×7, first 2 shown]
	global_load_dwordx2 v[20:21], v[18:19], off
	global_load_dwordx2 v[22:23], v[18:19], off offset:512
	global_load_dwordx2 v[24:25], v[18:19], off offset:1024
	;; [unrolled: 1-line block ×7, first 2 shown]
	v_add_co_u32_e32 v18, vcc, 0x2000, v36
	v_addc_co_u32_e32 v19, vcc, 0, v1, vcc
	global_load_dwordx2 v[36:37], v[18:19], off
	global_load_dwordx2 v[38:39], v[18:19], off offset:512
	global_load_dwordx2 v[40:41], v[18:19], off offset:1024
	;; [unrolled: 1-line block ×4, first 2 shown]
	s_mov_b64 s[0:1], 0
	s_waitcnt vmcnt(19)
	ds_write2st64_b64 v88, v[2:3], v[4:5] offset1:1
	s_waitcnt vmcnt(17)
	ds_write2st64_b64 v88, v[6:7], v[8:9] offset0:2 offset1:3
	s_waitcnt vmcnt(15)
	ds_write2st64_b64 v88, v[10:11], v[12:13] offset0:4 offset1:5
	;; [unrolled: 2-line block ×9, first 2 shown]
	s_waitcnt vmcnt(0)
	ds_write_b64 v88, v[44:45] offset:10240
	s_waitcnt lgkmcnt(0)
	; wave barrier
.LBB36_2:
	s_andn2_b64 vcc, exec, s[0:1]
	v_cmp_gt_u32_e64 s[0:1], s20, v0
	s_cbranch_vccnz .LBB36_46
; %bb.3:
	s_load_dwordx2 s[2:3], s[8:9], 0x0
	v_mov_b32_e32 v1, s9
	v_add_co_u32_e32 v4, vcc, s8, v88
	v_addc_co_u32_e32 v5, vcc, 0, v1, vcc
	s_waitcnt lgkmcnt(0)
	v_pk_mov_b32 v[2:3], s[2:3], s[2:3] op_sel:[0,1]
	s_and_saveexec_b64 s[8:9], s[0:1]
	s_cbranch_execz .LBB36_5
; %bb.4:
	global_load_dwordx2 v[2:3], v[4:5], off
.LBB36_5:
	s_or_b64 exec, exec, s[8:9]
	v_or_b32_e32 v1, 64, v0
	v_cmp_gt_u32_e32 vcc, s20, v1
	v_pk_mov_b32 v[6:7], s[2:3], s[2:3] op_sel:[0,1]
	s_and_saveexec_b64 s[0:1], vcc
	s_cbranch_execz .LBB36_7
; %bb.6:
	global_load_dwordx2 v[6:7], v[4:5], off offset:512
.LBB36_7:
	s_or_b64 exec, exec, s[0:1]
	v_or_b32_e32 v1, 0x80, v0
	v_cmp_gt_u32_e32 vcc, s20, v1
	v_pk_mov_b32 v[8:9], s[2:3], s[2:3] op_sel:[0,1]
	s_and_saveexec_b64 s[0:1], vcc
	s_cbranch_execz .LBB36_9
; %bb.8:
	global_load_dwordx2 v[8:9], v[4:5], off offset:1024
.LBB36_9:
	;; [unrolled: 9-line block ×7, first 2 shown]
	s_or_b64 exec, exec, s[0:1]
	v_or_b32_e32 v1, 0x200, v0
	v_cmp_gt_u32_e32 vcc, s20, v1
	v_pk_mov_b32 v[20:21], s[2:3], s[2:3] op_sel:[0,1]
	s_and_saveexec_b64 s[0:1], vcc
	s_cbranch_execz .LBB36_21
; %bb.20:
	v_add_co_u32_e32 v20, vcc, 0x1000, v4
	v_addc_co_u32_e32 v21, vcc, 0, v5, vcc
	global_load_dwordx2 v[20:21], v[20:21], off
.LBB36_21:
	s_or_b64 exec, exec, s[0:1]
	v_or_b32_e32 v1, 0x240, v0
	v_cmp_gt_u32_e32 vcc, s20, v1
	v_pk_mov_b32 v[22:23], s[2:3], s[2:3] op_sel:[0,1]
	s_and_saveexec_b64 s[0:1], vcc
	s_cbranch_execz .LBB36_23
; %bb.22:
	v_add_co_u32_e32 v22, vcc, 0x1000, v4
	v_addc_co_u32_e32 v23, vcc, 0, v5, vcc
	global_load_dwordx2 v[22:23], v[22:23], off offset:512
.LBB36_23:
	s_or_b64 exec, exec, s[0:1]
	v_or_b32_e32 v1, 0x280, v0
	v_cmp_gt_u32_e32 vcc, s20, v1
	v_pk_mov_b32 v[24:25], s[2:3], s[2:3] op_sel:[0,1]
	s_and_saveexec_b64 s[0:1], vcc
	s_cbranch_execz .LBB36_25
; %bb.24:
	v_add_co_u32_e32 v24, vcc, 0x1000, v4
	v_addc_co_u32_e32 v25, vcc, 0, v5, vcc
	global_load_dwordx2 v[24:25], v[24:25], off offset:1024
.LBB36_25:
	;; [unrolled: 11-line block ×7, first 2 shown]
	s_or_b64 exec, exec, s[0:1]
	v_or_b32_e32 v1, 0x400, v0
	v_cmp_gt_u32_e32 vcc, s20, v1
	v_pk_mov_b32 v[36:37], s[2:3], s[2:3] op_sel:[0,1]
	s_and_saveexec_b64 s[0:1], vcc
	s_cbranch_execz .LBB36_37
; %bb.36:
	v_add_co_u32_e32 v36, vcc, 0x2000, v4
	v_addc_co_u32_e32 v37, vcc, 0, v5, vcc
	global_load_dwordx2 v[36:37], v[36:37], off
.LBB36_37:
	s_or_b64 exec, exec, s[0:1]
	v_or_b32_e32 v1, 0x440, v0
	v_cmp_gt_u32_e32 vcc, s20, v1
	v_pk_mov_b32 v[38:39], s[2:3], s[2:3] op_sel:[0,1]
	s_and_saveexec_b64 s[0:1], vcc
	s_cbranch_execz .LBB36_39
; %bb.38:
	v_add_co_u32_e32 v38, vcc, 0x2000, v4
	v_addc_co_u32_e32 v39, vcc, 0, v5, vcc
	global_load_dwordx2 v[38:39], v[38:39], off offset:512
.LBB36_39:
	s_or_b64 exec, exec, s[0:1]
	v_or_b32_e32 v1, 0x480, v0
	v_cmp_gt_u32_e32 vcc, s20, v1
	v_pk_mov_b32 v[40:41], s[2:3], s[2:3] op_sel:[0,1]
	s_and_saveexec_b64 s[0:1], vcc
	s_cbranch_execz .LBB36_41
; %bb.40:
	v_add_co_u32_e32 v40, vcc, 0x2000, v4
	v_addc_co_u32_e32 v41, vcc, 0, v5, vcc
	global_load_dwordx2 v[40:41], v[40:41], off offset:1024
.LBB36_41:
	;; [unrolled: 11-line block ×4, first 2 shown]
	s_or_b64 exec, exec, s[0:1]
	s_waitcnt vmcnt(0)
	ds_write2st64_b64 v88, v[2:3], v[6:7] offset1:1
	ds_write2st64_b64 v88, v[8:9], v[10:11] offset0:2 offset1:3
	ds_write2st64_b64 v88, v[12:13], v[14:15] offset0:4 offset1:5
	;; [unrolled: 1-line block ×9, first 2 shown]
	ds_write_b64 v88, v[44:45] offset:10240
	s_waitcnt lgkmcnt(0)
	; wave barrier
.LBB36_46:
	v_mul_u32_u24_e32 v89, 21, v0
	v_lshlrev_b32_e32 v90, 3, v89
	s_waitcnt lgkmcnt(0)
	ds_read2_b64 v[2:5], v90 offset1:1
	ds_read2_b64 v[38:41], v90 offset0:2 offset1:3
	ds_read2_b64 v[34:37], v90 offset0:4 offset1:5
	;; [unrolled: 1-line block ×9, first 2 shown]
	ds_read_b64 v[64:65], v90 offset:160
	s_load_dwordx2 s[8:9], s[4:5], 0x28
	s_cmp_lg_u32 s6, 0
	v_mbcnt_lo_u32_b32 v1, -1, 0
	s_waitcnt lgkmcnt(0)
	; wave barrier
	s_waitcnt lgkmcnt(0)
	s_cbranch_scc0 .LBB36_71
; %bb.47:
	v_cmp_lt_u64_e32 vcc, v[2:3], v[4:5]
	v_cndmask_b32_e32 v43, v5, v3, vcc
	v_cndmask_b32_e32 v42, v4, v2, vcc
	v_cmp_lt_u64_e32 vcc, v[42:43], v[38:39]
	v_cndmask_b32_e32 v43, v39, v43, vcc
	v_cndmask_b32_e32 v42, v38, v42, vcc
	;; [unrolled: 3-line block ×20, first 2 shown]
	v_mbcnt_hi_u32_b32 v53, -1, v1
	v_mov_b32_dpp v45, v43 row_shr:1 row_mask:0xf bank_mask:0xf
	v_mov_b32_dpp v44, v42 row_shr:1 row_mask:0xf bank_mask:0xf
	v_and_b32_e32 v48, 15, v53
	v_cmp_lt_u64_e32 vcc, v[44:45], v[42:43]
	v_cndmask_b32_e32 v44, v42, v44, vcc
	v_cndmask_b32_e32 v45, v43, v45, vcc
	v_cmp_eq_u32_e32 vcc, 0, v48
	v_cndmask_b32_e32 v45, v45, v43, vcc
	v_cndmask_b32_e32 v44, v44, v42, vcc
	v_and_b32_e32 v50, 16, v53
	v_mov_b32_dpp v47, v45 row_shr:2 row_mask:0xf bank_mask:0xf
	v_mov_b32_dpp v46, v44 row_shr:2 row_mask:0xf bank_mask:0xf
	v_cmp_lt_u64_e32 vcc, v[46:47], v[44:45]
	v_cndmask_b32_e32 v46, v44, v46, vcc
	v_cndmask_b32_e32 v47, v45, v47, vcc
	v_cmp_lt_u32_e32 vcc, 1, v48
	v_cndmask_b32_e32 v45, v45, v47, vcc
	v_cndmask_b32_e32 v44, v44, v46, vcc
	v_cmp_eq_u32_e64 s[0:1], 0, v53
	v_mov_b32_dpp v47, v45 row_shr:4 row_mask:0xf bank_mask:0xf
	v_mov_b32_dpp v46, v44 row_shr:4 row_mask:0xf bank_mask:0xf
	v_cmp_lt_u64_e32 vcc, v[46:47], v[44:45]
	v_cndmask_b32_e32 v46, v44, v46, vcc
	v_cndmask_b32_e32 v47, v45, v47, vcc
	v_cmp_lt_u32_e32 vcc, 3, v48
	v_cndmask_b32_e32 v45, v45, v47, vcc
	v_cndmask_b32_e32 v44, v44, v46, vcc
	v_cmp_ne_u32_e64 s[2:3], 0, v53
	v_mov_b32_dpp v47, v45 row_shr:8 row_mask:0xf bank_mask:0xf
	v_mov_b32_dpp v46, v44 row_shr:8 row_mask:0xf bank_mask:0xf
	v_cmp_lt_u64_e32 vcc, v[46:47], v[44:45]
	v_cndmask_b32_e32 v46, v44, v46, vcc
	v_cndmask_b32_e32 v47, v45, v47, vcc
	v_cmp_lt_u32_e32 vcc, 7, v48
	v_cndmask_b32_e32 v45, v45, v47, vcc
	v_cndmask_b32_e32 v44, v44, v46, vcc
	s_nop 0
	v_mov_b32_dpp v47, v45 row_bcast:15 row_mask:0xf bank_mask:0xf
	v_mov_b32_dpp v46, v44 row_bcast:15 row_mask:0xf bank_mask:0xf
	v_cmp_lt_u64_e32 vcc, v[46:47], v[44:45]
	v_cndmask_b32_e32 v48, v45, v47, vcc
	v_cndmask_b32_e32 v49, v44, v46, vcc
	v_cmp_eq_u32_e32 vcc, 0, v50
	v_cndmask_b32_e32 v47, v48, v45, vcc
	v_cndmask_b32_e32 v46, v49, v44, vcc
	s_nop 0
	v_mov_b32_dpp v47, v47 row_bcast:31 row_mask:0xf bank_mask:0xf
	v_mov_b32_dpp v46, v46 row_bcast:31 row_mask:0xf bank_mask:0xf
	s_and_saveexec_b64 s[12:13], s[2:3]
; %bb.48:
	v_cndmask_b32_e32 v43, v48, v45, vcc
	v_cndmask_b32_e32 v42, v49, v44, vcc
	v_cmp_lt_u32_e64 s[2:3], 31, v53
	v_cmp_lt_u64_e32 vcc, v[46:47], v[42:43]
	s_and_b64 vcc, s[2:3], vcc
	v_cndmask_b32_e32 v43, v43, v47, vcc
	v_cndmask_b32_e32 v42, v42, v46, vcc
; %bb.49:
	s_or_b64 exec, exec, s[12:13]
	v_cmp_eq_u32_e32 vcc, 63, v0
	s_and_saveexec_b64 s[2:3], vcc
	s_cbranch_execz .LBB36_51
; %bb.50:
	v_mov_b32_e32 v44, 0
	ds_write_b64 v44, v[42:43]
.LBB36_51:
	s_or_b64 exec, exec, s[2:3]
	v_add_u32_e32 v44, -1, v53
	v_and_b32_e32 v45, 64, v53
	v_cmp_lt_i32_e32 vcc, v44, v45
	v_cndmask_b32_e32 v44, v44, v53, vcc
	v_lshlrev_b32_e32 v44, 2, v44
	ds_bpermute_b32 v50, v44, v42
	ds_bpermute_b32 v51, v44, v43
	v_cmp_gt_u32_e32 vcc, 64, v0
	s_waitcnt lgkmcnt(0)
	; wave barrier
	s_waitcnt lgkmcnt(0)
	s_and_saveexec_b64 s[12:13], vcc
	s_cbranch_execz .LBB36_70
; %bb.52:
	v_mov_b32_e32 v45, 0
	ds_read_b64 v[42:43], v45
	s_and_saveexec_b64 s[2:3], s[0:1]
	s_cbranch_execz .LBB36_54
; %bb.53:
	s_add_i32 s14, s6, 64
	s_mov_b32 s15, 0
	s_lshl_b64 s[14:15], s[14:15], 4
	s_add_u32 s14, s8, s14
	s_addc_u32 s15, s9, s15
	v_mov_b32_e32 v44, 1
	v_pk_mov_b32 v[46:47], s[14:15], s[14:15] op_sel:[0,1]
	s_waitcnt lgkmcnt(0)
	;;#ASMSTART
	global_store_dwordx4 v[46:47], v[42:45] off	
s_waitcnt vmcnt(0)
	;;#ASMEND
.LBB36_54:
	s_or_b64 exec, exec, s[2:3]
	v_xad_u32 v52, v53, -1, s6
	v_add_u32_e32 v44, 64, v52
	v_lshlrev_b64 v[46:47], 4, v[44:45]
	v_mov_b32_e32 v44, s9
	v_add_co_u32_e32 v54, vcc, s8, v46
	v_addc_co_u32_e32 v55, vcc, v44, v47, vcc
	;;#ASMSTART
	global_load_dwordx4 v[46:49], v[54:55] off glc	
s_waitcnt vmcnt(0)
	;;#ASMEND
	v_cmp_eq_u16_sdwa s[14:15], v48, v45 src0_sel:BYTE_0 src1_sel:DWORD
	s_and_saveexec_b64 s[2:3], s[14:15]
	s_cbranch_execz .LBB36_58
; %bb.55:
	s_mov_b64 s[14:15], 0
	v_mov_b32_e32 v44, 0
.LBB36_56:                              ; =>This Inner Loop Header: Depth=1
	;;#ASMSTART
	global_load_dwordx4 v[46:49], v[54:55] off glc	
s_waitcnt vmcnt(0)
	;;#ASMEND
	v_cmp_ne_u16_sdwa s[22:23], v48, v44 src0_sel:BYTE_0 src1_sel:DWORD
	s_or_b64 s[14:15], s[22:23], s[14:15]
	s_andn2_b64 exec, exec, s[14:15]
	s_cbranch_execnz .LBB36_56
; %bb.57:
	s_or_b64 exec, exec, s[14:15]
.LBB36_58:
	s_or_b64 exec, exec, s[2:3]
	v_and_b32_e32 v57, 63, v53
	v_cmp_ne_u32_e32 vcc, 63, v57
	v_addc_co_u32_e32 v54, vcc, 0, v53, vcc
	v_mov_b32_e32 v58, 2
	v_lshlrev_b32_e32 v59, 2, v54
	v_cmp_eq_u16_sdwa s[2:3], v48, v58 src0_sel:BYTE_0 src1_sel:DWORD
	v_lshlrev_b64 v[44:45], v53, -1
	ds_bpermute_b32 v54, v59, v46
	ds_bpermute_b32 v55, v59, v47
	v_and_b32_e32 v49, s3, v45
	v_or_b32_e32 v49, 0x80000000, v49
	v_and_b32_e32 v56, s2, v44
	v_ffbl_b32_e32 v49, v49
	v_add_u32_e32 v49, 32, v49
	v_ffbl_b32_e32 v56, v56
	v_min_u32_e32 v49, v56, v49
	v_add_u32_e32 v60, 1, v53
	s_waitcnt lgkmcnt(0)
	v_cmp_lt_u64_e32 vcc, v[54:55], v[46:47]
	v_cndmask_b32_e32 v55, v47, v55, vcc
	v_cndmask_b32_e32 v54, v46, v54, vcc
	v_cmp_gt_u32_e32 vcc, v60, v49
	v_cndmask_b32_e32 v46, v54, v46, vcc
	v_cndmask_b32_e32 v47, v55, v47, vcc
	v_cmp_gt_u32_e32 vcc, 62, v57
	v_cndmask_b32_e64 v54, 0, 1, vcc
	v_lshlrev_b32_e32 v54, 1, v54
	v_add_lshl_u32 v61, v54, v53, 2
	ds_bpermute_b32 v54, v61, v46
	ds_bpermute_b32 v55, v61, v47
	v_add_u32_e32 v62, 2, v53
	v_add_u32_e32 v66, 4, v53
	;; [unrolled: 1-line block ×4, first 2 shown]
	s_waitcnt lgkmcnt(0)
	v_cmp_lt_u64_e32 vcc, v[54:55], v[46:47]
	v_cndmask_b32_e32 v55, v47, v55, vcc
	v_cndmask_b32_e32 v54, v46, v54, vcc
	v_cmp_gt_u32_e32 vcc, v62, v49
	v_cndmask_b32_e32 v46, v54, v46, vcc
	v_cndmask_b32_e32 v47, v55, v47, vcc
	v_cmp_gt_u32_e32 vcc, 60, v57
	v_cndmask_b32_e64 v54, 0, 1, vcc
	v_lshlrev_b32_e32 v54, 2, v54
	v_add_lshl_u32 v63, v54, v53, 2
	ds_bpermute_b32 v54, v63, v46
	ds_bpermute_b32 v55, v63, v47
	v_cmp_gt_u32_e64 s[2:3], 32, v57
	v_add_u32_e32 v72, 32, v53
	s_waitcnt lgkmcnt(0)
	v_cmp_lt_u64_e32 vcc, v[54:55], v[46:47]
	v_cndmask_b32_e32 v55, v47, v55, vcc
	v_cndmask_b32_e32 v54, v46, v54, vcc
	v_cmp_gt_u32_e32 vcc, v66, v49
	v_cndmask_b32_e32 v46, v54, v46, vcc
	v_cndmask_b32_e32 v47, v55, v47, vcc
	v_cmp_gt_u32_e32 vcc, 56, v57
	v_cndmask_b32_e64 v54, 0, 1, vcc
	v_lshlrev_b32_e32 v54, 3, v54
	v_add_lshl_u32 v67, v54, v53, 2
	ds_bpermute_b32 v54, v67, v46
	ds_bpermute_b32 v55, v67, v47
	s_waitcnt lgkmcnt(0)
	v_cmp_lt_u64_e32 vcc, v[54:55], v[46:47]
	v_cndmask_b32_e32 v55, v47, v55, vcc
	v_cndmask_b32_e32 v54, v46, v54, vcc
	v_cmp_gt_u32_e32 vcc, v68, v49
	v_cndmask_b32_e32 v46, v54, v46, vcc
	v_cndmask_b32_e32 v47, v55, v47, vcc
	v_cmp_gt_u32_e32 vcc, 48, v57
	v_cndmask_b32_e64 v54, 0, 1, vcc
	v_lshlrev_b32_e32 v54, 4, v54
	v_add_lshl_u32 v69, v54, v53, 2
	ds_bpermute_b32 v54, v69, v46
	ds_bpermute_b32 v55, v69, v47
	s_waitcnt lgkmcnt(0)
	v_cmp_lt_u64_e32 vcc, v[54:55], v[46:47]
	v_cndmask_b32_e32 v55, v47, v55, vcc
	v_cndmask_b32_e32 v54, v46, v54, vcc
	v_cmp_gt_u32_e32 vcc, v70, v49
	v_cndmask_b32_e32 v46, v54, v46, vcc
	v_cndmask_b32_e64 v54, 0, 1, s[2:3]
	v_lshlrev_b32_e32 v54, 5, v54
	v_add_lshl_u32 v71, v54, v53, 2
	v_cndmask_b32_e32 v47, v55, v47, vcc
	ds_bpermute_b32 v54, v71, v46
	ds_bpermute_b32 v55, v71, v47
	s_waitcnt lgkmcnt(0)
	v_cmp_lt_u64_e32 vcc, v[54:55], v[46:47]
	v_cndmask_b32_e32 v53, v46, v54, vcc
	v_cndmask_b32_e32 v54, v47, v55, vcc
	v_cmp_gt_u32_e32 vcc, v72, v49
	v_cndmask_b32_e32 v47, v54, v47, vcc
	v_cndmask_b32_e32 v46, v53, v46, vcc
	v_mov_b32_e32 v53, 0
	s_branch .LBB36_60
.LBB36_59:                              ;   in Loop: Header=BB36_60 Depth=1
	s_or_b64 exec, exec, s[2:3]
	v_cmp_eq_u16_sdwa s[2:3], v48, v58 src0_sel:BYTE_0 src1_sel:DWORD
	ds_bpermute_b32 v56, v59, v46
	ds_bpermute_b32 v57, v59, v47
	v_and_b32_e32 v49, s3, v45
	v_or_b32_e32 v49, 0x80000000, v49
	v_and_b32_e32 v73, s2, v44
	v_ffbl_b32_e32 v49, v49
	v_add_u32_e32 v49, 32, v49
	v_ffbl_b32_e32 v73, v73
	v_min_u32_e32 v49, v73, v49
	s_waitcnt lgkmcnt(0)
	v_cmp_lt_u64_e32 vcc, v[56:57], v[46:47]
	v_cndmask_b32_e32 v57, v47, v57, vcc
	v_cndmask_b32_e32 v56, v46, v56, vcc
	v_cmp_gt_u32_e32 vcc, v60, v49
	v_cndmask_b32_e32 v46, v56, v46, vcc
	v_cndmask_b32_e32 v47, v57, v47, vcc
	ds_bpermute_b32 v56, v61, v46
	ds_bpermute_b32 v57, v61, v47
	v_subrev_u32_e32 v52, 64, v52
	s_waitcnt lgkmcnt(0)
	v_cmp_lt_u64_e32 vcc, v[56:57], v[46:47]
	v_cndmask_b32_e32 v57, v47, v57, vcc
	v_cndmask_b32_e32 v56, v46, v56, vcc
	v_cmp_gt_u32_e32 vcc, v62, v49
	v_cndmask_b32_e32 v46, v56, v46, vcc
	v_cndmask_b32_e32 v47, v57, v47, vcc
	ds_bpermute_b32 v56, v63, v46
	ds_bpermute_b32 v57, v63, v47
	s_waitcnt lgkmcnt(0)
	v_cmp_lt_u64_e32 vcc, v[56:57], v[46:47]
	v_cndmask_b32_e32 v57, v47, v57, vcc
	v_cndmask_b32_e32 v56, v46, v56, vcc
	v_cmp_gt_u32_e32 vcc, v66, v49
	v_cndmask_b32_e32 v46, v56, v46, vcc
	v_cndmask_b32_e32 v47, v57, v47, vcc
	ds_bpermute_b32 v56, v67, v46
	ds_bpermute_b32 v57, v67, v47
	;; [unrolled: 9-line block ×4, first 2 shown]
	s_waitcnt lgkmcnt(0)
	v_cmp_lt_u64_e32 vcc, v[56:57], v[46:47]
	v_cndmask_b32_e32 v56, v46, v56, vcc
	v_cndmask_b32_e32 v57, v47, v57, vcc
	v_cmp_gt_u32_e32 vcc, v72, v49
	v_cndmask_b32_e32 v47, v57, v47, vcc
	v_cndmask_b32_e32 v46, v56, v46, vcc
	v_cmp_lt_u64_e32 vcc, v[46:47], v[54:55]
	v_cndmask_b32_e32 v47, v55, v47, vcc
	v_cndmask_b32_e32 v46, v54, v46, vcc
.LBB36_60:                              ; =>This Loop Header: Depth=1
                                        ;     Child Loop BB36_63 Depth 2
	v_cmp_ne_u16_sdwa s[2:3], v48, v58 src0_sel:BYTE_0 src1_sel:DWORD
	v_cndmask_b32_e64 v48, 0, 1, s[2:3]
	;;#ASMSTART
	;;#ASMEND
	v_cmp_ne_u32_e32 vcc, 0, v48
	s_cmp_lg_u64 vcc, exec
	v_pk_mov_b32 v[54:55], v[46:47], v[46:47] op_sel:[0,1]
	s_cbranch_scc1 .LBB36_65
; %bb.61:                               ;   in Loop: Header=BB36_60 Depth=1
	v_lshlrev_b64 v[46:47], 4, v[52:53]
	v_mov_b32_e32 v48, s9
	v_add_co_u32_e32 v56, vcc, s8, v46
	v_addc_co_u32_e32 v57, vcc, v48, v47, vcc
	;;#ASMSTART
	global_load_dwordx4 v[46:49], v[56:57] off glc	
s_waitcnt vmcnt(0)
	;;#ASMEND
	v_cmp_eq_u16_sdwa s[14:15], v48, v53 src0_sel:BYTE_0 src1_sel:DWORD
	s_and_saveexec_b64 s[2:3], s[14:15]
	s_cbranch_execz .LBB36_59
; %bb.62:                               ;   in Loop: Header=BB36_60 Depth=1
	s_mov_b64 s[14:15], 0
.LBB36_63:                              ;   Parent Loop BB36_60 Depth=1
                                        ; =>  This Inner Loop Header: Depth=2
	;;#ASMSTART
	global_load_dwordx4 v[46:49], v[56:57] off glc	
s_waitcnt vmcnt(0)
	;;#ASMEND
	v_cmp_ne_u16_sdwa s[22:23], v48, v53 src0_sel:BYTE_0 src1_sel:DWORD
	s_or_b64 s[14:15], s[22:23], s[14:15]
	s_andn2_b64 exec, exec, s[14:15]
	s_cbranch_execnz .LBB36_63
; %bb.64:                               ;   in Loop: Header=BB36_60 Depth=1
	s_or_b64 exec, exec, s[14:15]
	s_branch .LBB36_59
.LBB36_65:                              ;   in Loop: Header=BB36_60 Depth=1
                                        ; implicit-def: $vgpr46_vgpr47
                                        ; implicit-def: $vgpr48
	s_cbranch_execz .LBB36_60
; %bb.66:
	s_and_saveexec_b64 s[2:3], s[0:1]
	s_cbranch_execz .LBB36_68
; %bb.67:
	s_add_i32 s0, s6, 64
	s_mov_b32 s1, 0
	s_lshl_b64 s[0:1], s[0:1], 4
	s_add_u32 s0, s8, s0
	v_cmp_lt_u64_e32 vcc, v[54:55], v[42:43]
	s_addc_u32 s1, s9, s1
	v_cndmask_b32_e32 v43, v43, v55, vcc
	v_cndmask_b32_e32 v42, v42, v54, vcc
	v_mov_b32_e32 v44, 2
	v_mov_b32_e32 v45, 0
	v_pk_mov_b32 v[46:47], s[0:1], s[0:1] op_sel:[0,1]
	;;#ASMSTART
	global_store_dwordx4 v[46:47], v[42:45] off	
s_waitcnt vmcnt(0)
	;;#ASMEND
.LBB36_68:
	s_or_b64 exec, exec, s[2:3]
	v_cmp_eq_u32_e32 vcc, 0, v0
	s_and_b64 exec, exec, vcc
	s_cbranch_execz .LBB36_70
; %bb.69:
	v_mov_b32_e32 v42, 0
	ds_write_b64 v42, v[54:55]
.LBB36_70:
	s_or_b64 exec, exec, s[12:13]
	v_mov_b32_e32 v42, 0
	s_waitcnt lgkmcnt(0)
	; wave barrier
	s_waitcnt lgkmcnt(0)
	ds_read_b64 v[42:43], v42
	v_cmp_lt_u64_e32 vcc, v[50:51], v[2:3]
	v_cndmask_b32_e32 v44, v2, v50, vcc
	v_cndmask_b32_e32 v45, v3, v51, vcc
	v_cmp_eq_u32_e32 vcc, 0, v0
	v_cndmask_b32_e32 v45, v45, v3, vcc
	v_cndmask_b32_e32 v44, v44, v2, vcc
	s_waitcnt lgkmcnt(0)
	v_cmp_lt_u64_e32 vcc, v[42:43], v[44:45]
	v_cndmask_b32_e32 v67, v45, v43, vcc
	v_cndmask_b32_e32 v66, v44, v42, vcc
	v_cmp_lt_u64_e32 vcc, v[66:67], v[4:5]
	v_cndmask_b32_e32 v45, v5, v67, vcc
	v_cndmask_b32_e32 v44, v4, v66, vcc
	;; [unrolled: 3-line block ×21, first 2 shown]
	s_load_dwordx4 s[12:15], s[4:5], 0x38
	s_branch .LBB36_81
.LBB36_71:
                                        ; implicit-def: $vgpr60_vgpr61_vgpr62_vgpr63
                                        ; implicit-def: $vgpr58_vgpr59_vgpr60_vgpr61
                                        ; implicit-def: $vgpr66_vgpr67
                                        ; implicit-def: $vgpr68_vgpr69
                                        ; implicit-def: $vgpr70_vgpr71
                                        ; implicit-def: $vgpr72_vgpr73
                                        ; implicit-def: $vgpr74_vgpr75
                                        ; implicit-def: $vgpr76_vgpr77
                                        ; implicit-def: $vgpr78_vgpr79
                                        ; implicit-def: $vgpr80_vgpr81
                                        ; implicit-def: $vgpr82_vgpr83
                                        ; implicit-def: $vgpr84_vgpr85
                                        ; implicit-def: $vgpr86_vgpr87
                                        ; implicit-def: $vgpr56_vgpr57_vgpr58_vgpr59
                                        ; implicit-def: $vgpr54_vgpr55_vgpr56_vgpr57
                                        ; implicit-def: $vgpr52_vgpr53_vgpr54_vgpr55
                                        ; implicit-def: $vgpr50_vgpr51_vgpr52_vgpr53
                                        ; implicit-def: $vgpr48_vgpr49_vgpr50_vgpr51
                                        ; implicit-def: $vgpr46_vgpr47_vgpr48_vgpr49
                                        ; implicit-def: $vgpr44_vgpr45_vgpr46_vgpr47
                                        ; implicit-def: $vgpr42_vgpr43_vgpr44_vgpr45
	s_load_dwordx4 s[12:15], s[4:5], 0x38
	s_cbranch_execz .LBB36_81
; %bb.72:
	s_load_dword s0, s[4:5], 0x48
	v_cmp_eq_u32_e32 vcc, 0, v0
	s_waitcnt lgkmcnt(0)
	s_bitcmp1_b32 s0, 0
	s_cselect_b64 s[0:1], -1, 0
	s_and_b64 s[0:1], vcc, s[0:1]
	s_and_saveexec_b64 s[2:3], s[0:1]
	s_cbranch_execz .LBB36_74
; %bb.73:
	s_load_dwordx2 s[0:1], s[12:13], 0x0
	s_waitcnt lgkmcnt(0)
	v_mov_b32_e32 v42, s1
	v_mov_b32_e32 v43, s0
	v_cmp_lt_u64_e64 s[0:1], s[0:1], v[2:3]
	v_cndmask_b32_e64 v3, v3, v42, s[0:1]
	v_cndmask_b32_e64 v2, v2, v43, s[0:1]
.LBB36_74:
	s_or_b64 exec, exec, s[2:3]
	v_cmp_lt_u64_e64 s[0:1], v[2:3], v[4:5]
	v_cndmask_b32_e64 v43, v5, v3, s[0:1]
	v_cndmask_b32_e64 v42, v4, v2, s[0:1]
	v_cmp_lt_u64_e64 s[0:1], v[42:43], v[38:39]
	v_cndmask_b32_e64 v43, v39, v43, s[0:1]
	v_cndmask_b32_e64 v42, v38, v42, s[0:1]
	;; [unrolled: 3-line block ×20, first 2 shown]
	v_mbcnt_hi_u32_b32 v1, -1, v1
	v_mov_b32_dpp v45, v43 row_shr:1 row_mask:0xf bank_mask:0xf
	v_mov_b32_dpp v44, v42 row_shr:1 row_mask:0xf bank_mask:0xf
	v_and_b32_e32 v48, 15, v1
	v_cmp_lt_u64_e64 s[0:1], v[44:45], v[42:43]
	v_cndmask_b32_e64 v44, v42, v44, s[0:1]
	v_cndmask_b32_e64 v45, v43, v45, s[0:1]
	v_cmp_eq_u32_e64 s[0:1], 0, v48
	v_cndmask_b32_e64 v45, v45, v43, s[0:1]
	v_cndmask_b32_e64 v44, v44, v42, s[0:1]
	v_and_b32_e32 v50, 16, v1
	v_mov_b32_dpp v47, v45 row_shr:2 row_mask:0xf bank_mask:0xf
	v_mov_b32_dpp v46, v44 row_shr:2 row_mask:0xf bank_mask:0xf
	v_cmp_lt_u64_e64 s[0:1], v[46:47], v[44:45]
	v_cndmask_b32_e64 v46, v44, v46, s[0:1]
	v_cndmask_b32_e64 v47, v45, v47, s[0:1]
	v_cmp_lt_u32_e64 s[0:1], 1, v48
	v_cndmask_b32_e64 v45, v45, v47, s[0:1]
	v_cndmask_b32_e64 v44, v44, v46, s[0:1]
	v_cmp_ne_u32_e64 s[2:3], 0, v1
	v_mov_b32_dpp v47, v45 row_shr:4 row_mask:0xf bank_mask:0xf
	v_mov_b32_dpp v46, v44 row_shr:4 row_mask:0xf bank_mask:0xf
	v_cmp_lt_u64_e64 s[0:1], v[46:47], v[44:45]
	v_cndmask_b32_e64 v46, v44, v46, s[0:1]
	v_cndmask_b32_e64 v47, v45, v47, s[0:1]
	v_cmp_lt_u32_e64 s[0:1], 3, v48
	v_cndmask_b32_e64 v45, v45, v47, s[0:1]
	v_cndmask_b32_e64 v44, v44, v46, s[0:1]
	s_nop 0
	v_mov_b32_dpp v47, v45 row_shr:8 row_mask:0xf bank_mask:0xf
	v_mov_b32_dpp v46, v44 row_shr:8 row_mask:0xf bank_mask:0xf
	v_cmp_lt_u64_e64 s[0:1], v[46:47], v[44:45]
	v_cndmask_b32_e64 v46, v44, v46, s[0:1]
	v_cndmask_b32_e64 v47, v45, v47, s[0:1]
	v_cmp_lt_u32_e64 s[0:1], 7, v48
	v_cndmask_b32_e64 v45, v45, v47, s[0:1]
	v_cndmask_b32_e64 v44, v44, v46, s[0:1]
	s_nop 0
	v_mov_b32_dpp v47, v45 row_bcast:15 row_mask:0xf bank_mask:0xf
	v_mov_b32_dpp v46, v44 row_bcast:15 row_mask:0xf bank_mask:0xf
	v_cmp_lt_u64_e64 s[0:1], v[46:47], v[44:45]
	v_cndmask_b32_e64 v48, v45, v47, s[0:1]
	v_cndmask_b32_e64 v49, v44, v46, s[0:1]
	v_cmp_eq_u32_e64 s[0:1], 0, v50
	v_cndmask_b32_e64 v47, v48, v45, s[0:1]
	v_cndmask_b32_e64 v46, v49, v44, s[0:1]
	s_nop 0
	v_mov_b32_dpp v47, v47 row_bcast:31 row_mask:0xf bank_mask:0xf
	v_mov_b32_dpp v46, v46 row_bcast:31 row_mask:0xf bank_mask:0xf
	s_and_saveexec_b64 s[6:7], s[2:3]
; %bb.75:
	v_cndmask_b32_e64 v43, v48, v45, s[0:1]
	v_cndmask_b32_e64 v42, v49, v44, s[0:1]
	v_cmp_lt_u32_e64 s[2:3], 31, v1
	v_cmp_lt_u64_e64 s[0:1], v[46:47], v[42:43]
	s_and_b64 s[0:1], s[2:3], s[0:1]
	v_cndmask_b32_e64 v43, v43, v47, s[0:1]
	v_cndmask_b32_e64 v42, v42, v46, s[0:1]
; %bb.76:
	s_or_b64 exec, exec, s[6:7]
	v_cmp_eq_u32_e64 s[0:1], 63, v0
	s_and_saveexec_b64 s[2:3], s[0:1]
	s_cbranch_execz .LBB36_78
; %bb.77:
	v_mov_b32_e32 v44, 0
	ds_write_b64 v44, v[42:43]
.LBB36_78:
	s_or_b64 exec, exec, s[2:3]
	v_add_u32_e32 v44, -1, v1
	v_and_b32_e32 v45, 64, v1
	v_cmp_lt_i32_e64 s[0:1], v44, v45
	v_cndmask_b32_e64 v1, v44, v1, s[0:1]
	v_lshlrev_b32_e32 v1, 2, v1
	ds_bpermute_b32 v42, v1, v42
	ds_bpermute_b32 v43, v1, v43
	s_waitcnt lgkmcnt(0)
	; wave barrier
	s_waitcnt lgkmcnt(0)
	v_cmp_lt_u64_e64 s[0:1], v[42:43], v[2:3]
	v_cndmask_b32_e64 v67, v3, v43, s[0:1]
	v_cndmask_b32_e64 v66, v2, v42, s[0:1]
	v_cndmask_b32_e32 v43, v67, v3, vcc
	v_cndmask_b32_e32 v42, v66, v2, vcc
	v_cmp_lt_u64_e64 s[0:1], v[42:43], v[4:5]
	v_cndmask_b32_e64 v45, v5, v43, s[0:1]
	v_cndmask_b32_e64 v44, v4, v42, s[0:1]
	v_cmp_lt_u64_e64 s[0:1], v[44:45], v[38:39]
	v_cndmask_b32_e64 v69, v39, v45, s[0:1]
	v_cndmask_b32_e64 v68, v38, v44, s[0:1]
	;; [unrolled: 3-line block ×20, first 2 shown]
	s_and_saveexec_b64 s[0:1], vcc
	s_cbranch_execz .LBB36_80
; %bb.79:
	s_add_u32 s2, s8, 0x400
	v_mov_b32_e32 v7, 0
	s_addc_u32 s3, s9, 0
	ds_read_b64 v[4:5], v7
	v_mov_b32_e32 v6, 2
	v_pk_mov_b32 v[8:9], s[2:3], s[2:3] op_sel:[0,1]
	s_waitcnt lgkmcnt(0)
	;;#ASMSTART
	global_store_dwordx4 v[8:9], v[4:7] off	
s_waitcnt vmcnt(0)
	;;#ASMEND
	v_pk_mov_b32 v[66:67], v[2:3], v[2:3] op_sel:[0,1]
.LBB36_80:
	s_or_b64 exec, exec, s[0:1]
.LBB36_81:
	s_add_u32 s0, s10, s18
	s_addc_u32 s1, s11, s19
	s_mov_b64 s[2:3], -1
	s_and_b64 vcc, exec, s[16:17]
	s_waitcnt lgkmcnt(0)
	; wave barrier
	s_waitcnt lgkmcnt(0)
	s_cbranch_vccz .LBB36_83
; %bb.82:
	v_mul_u32_u24_e32 v1, 0xa8, v0
	s_movk_i32 s2, 0xa8
	ds_write2_b64 v1, v[66:67], v[44:45] offset1:1
	ds_write2_b64 v1, v[68:69], v[46:47] offset0:2 offset1:3
	ds_write2_b64 v1, v[70:71], v[48:49] offset0:4 offset1:5
	;; [unrolled: 1-line block ×9, first 2 shown]
	ds_write_b64 v1, v[86:87] offset:160
	v_mul_i32_i24_e32 v1, 0xffffff60, v0
	v_mad_u32_u24 v1, v0, s2, v1
	s_waitcnt lgkmcnt(0)
	; wave barrier
	s_waitcnt lgkmcnt(0)
	ds_read2st64_b64 v[2:5], v1 offset1:1
	ds_read2st64_b64 v[6:9], v1 offset0:2 offset1:3
	ds_read2st64_b64 v[10:13], v1 offset0:4 offset1:5
	;; [unrolled: 1-line block ×9, first 2 shown]
	ds_read_b64 v[42:43], v1 offset:10240
	v_mov_b32_e32 v1, s1
	v_add_co_u32_e32 v64, vcc, s0, v88
	v_addc_co_u32_e32 v1, vcc, 0, v1, vcc
	s_movk_i32 s2, 0x1000
	s_waitcnt lgkmcnt(10)
	global_store_dwordx2 v88, v[2:3], s[0:1]
	global_store_dwordx2 v88, v[4:5], s[0:1] offset:512
	s_waitcnt lgkmcnt(9)
	global_store_dwordx2 v88, v[6:7], s[0:1] offset:1024
	global_store_dwordx2 v88, v[8:9], s[0:1] offset:1536
	s_waitcnt lgkmcnt(8)
	global_store_dwordx2 v88, v[10:11], s[0:1] offset:2048
	;; [unrolled: 3-line block ×3, first 2 shown]
	global_store_dwordx2 v88, v[16:17], s[0:1] offset:3584
	v_add_co_u32_e32 v2, vcc, s2, v64
	v_addc_co_u32_e32 v3, vcc, 0, v1, vcc
	s_waitcnt lgkmcnt(6)
	global_store_dwordx2 v[2:3], v[18:19], off
	global_store_dwordx2 v[2:3], v[20:21], off offset:512
	s_waitcnt lgkmcnt(5)
	global_store_dwordx2 v[2:3], v[22:23], off offset:1024
	global_store_dwordx2 v[2:3], v[24:25], off offset:1536
	s_waitcnt lgkmcnt(4)
	global_store_dwordx2 v[2:3], v[26:27], off offset:2048
	;; [unrolled: 3-line block ×3, first 2 shown]
	global_store_dwordx2 v[2:3], v[32:33], off offset:3584
	v_add_co_u32_e32 v2, vcc, 0x2000, v64
	v_addc_co_u32_e32 v3, vcc, 0, v1, vcc
	s_waitcnt lgkmcnt(2)
	global_store_dwordx2 v[2:3], v[34:35], off
	global_store_dwordx2 v[2:3], v[36:37], off offset:512
	s_waitcnt lgkmcnt(1)
	global_store_dwordx2 v[2:3], v[38:39], off offset:1024
	global_store_dwordx2 v[2:3], v[40:41], off offset:1536
	s_waitcnt lgkmcnt(0)
	global_store_dwordx2 v[2:3], v[42:43], off offset:2048
	s_mov_b64 s[2:3], 0
.LBB36_83:
	s_andn2_b64 vcc, exec, s[2:3]
	s_cbranch_vccnz .LBB36_204
; %bb.84:
	s_movk_i32 s2, 0xff60
	v_mad_i32_i24 v42, v0, s2, v90
	ds_write2_b64 v90, v[66:67], v[44:45] offset1:1
	ds_write2_b64 v90, v[68:69], v[46:47] offset0:2 offset1:3
	ds_write2_b64 v90, v[70:71], v[48:49] offset0:4 offset1:5
	;; [unrolled: 1-line block ×9, first 2 shown]
	ds_write_b64 v90, v[86:87] offset:160
	s_waitcnt lgkmcnt(0)
	; wave barrier
	s_waitcnt lgkmcnt(0)
	ds_read2st64_b64 v[6:9], v42 offset1:1
	ds_read2st64_b64 v[10:13], v42 offset0:2 offset1:3
	ds_read2st64_b64 v[14:17], v42 offset0:4 offset1:5
	;; [unrolled: 1-line block ×9, first 2 shown]
	ds_read_b64 v[42:43], v42 offset:10240
	v_mov_b32_e32 v45, s1
	v_add_co_u32_e32 v44, vcc, s0, v88
	v_addc_co_u32_e32 v45, vcc, 0, v45, vcc
	v_mov_b32_e32 v1, 0
	v_cmp_gt_u32_e32 vcc, s20, v0
	s_and_saveexec_b64 s[0:1], vcc
	s_cbranch_execz .LBB36_86
; %bb.85:
	s_waitcnt lgkmcnt(10)
	global_store_dwordx2 v[44:45], v[6:7], off
.LBB36_86:
	s_or_b64 exec, exec, s[0:1]
	v_or_b32_e32 v46, 64, v0
	v_cmp_gt_u32_e32 vcc, s20, v46
	s_and_saveexec_b64 s[0:1], vcc
	s_cbranch_execz .LBB36_88
; %bb.87:
	s_waitcnt lgkmcnt(10)
	global_store_dwordx2 v[44:45], v[8:9], off offset:512
.LBB36_88:
	s_or_b64 exec, exec, s[0:1]
	v_or_b32_e32 v46, 0x80, v0
	v_cmp_gt_u32_e32 vcc, s20, v46
	s_and_saveexec_b64 s[0:1], vcc
	s_cbranch_execz .LBB36_90
; %bb.89:
	s_waitcnt lgkmcnt(9)
	global_store_dwordx2 v[44:45], v[10:11], off offset:1024
.LBB36_90:
	;; [unrolled: 9-line block ×7, first 2 shown]
	s_or_b64 exec, exec, s[0:1]
	v_or_b32_e32 v46, 0x200, v0
	v_cmp_gt_u32_e32 vcc, s20, v46
	s_and_saveexec_b64 s[0:1], vcc
	s_cbranch_execz .LBB36_102
; %bb.101:
	v_add_co_u32_e32 v46, vcc, 0x1000, v44
	v_addc_co_u32_e32 v47, vcc, 0, v45, vcc
	s_waitcnt lgkmcnt(6)
	global_store_dwordx2 v[46:47], v[18:19], off
.LBB36_102:
	s_or_b64 exec, exec, s[0:1]
	v_or_b32_e32 v46, 0x240, v0
	v_cmp_gt_u32_e32 vcc, s20, v46
	s_and_saveexec_b64 s[0:1], vcc
	s_cbranch_execz .LBB36_104
; %bb.103:
	v_add_co_u32_e32 v46, vcc, 0x1000, v44
	v_addc_co_u32_e32 v47, vcc, 0, v45, vcc
	s_waitcnt lgkmcnt(6)
	global_store_dwordx2 v[46:47], v[20:21], off offset:512
.LBB36_104:
	s_or_b64 exec, exec, s[0:1]
	v_or_b32_e32 v46, 0x280, v0
	v_cmp_gt_u32_e32 vcc, s20, v46
	s_and_saveexec_b64 s[0:1], vcc
	s_cbranch_execz .LBB36_106
; %bb.105:
	v_add_co_u32_e32 v46, vcc, 0x1000, v44
	v_addc_co_u32_e32 v47, vcc, 0, v45, vcc
	s_waitcnt lgkmcnt(5)
	global_store_dwordx2 v[46:47], v[2:3], off offset:1024
.LBB36_106:
	;; [unrolled: 11-line block ×7, first 2 shown]
	s_or_b64 exec, exec, s[0:1]
	v_or_b32_e32 v46, 0x400, v0
	v_cmp_gt_u32_e32 vcc, s20, v46
	s_and_saveexec_b64 s[0:1], vcc
	s_cbranch_execz .LBB36_118
; %bb.117:
	v_add_co_u32_e32 v46, vcc, 0x2000, v44
	v_addc_co_u32_e32 v47, vcc, 0, v45, vcc
	s_waitcnt lgkmcnt(2)
	global_store_dwordx2 v[46:47], v[38:39], off
.LBB36_118:
	s_or_b64 exec, exec, s[0:1]
	v_or_b32_e32 v46, 0x440, v0
	v_cmp_gt_u32_e32 vcc, s20, v46
	s_and_saveexec_b64 s[0:1], vcc
	s_cbranch_execz .LBB36_120
; %bb.119:
	v_add_co_u32_e32 v46, vcc, 0x2000, v44
	v_addc_co_u32_e32 v47, vcc, 0, v45, vcc
	s_waitcnt lgkmcnt(2)
	global_store_dwordx2 v[46:47], v[40:41], off offset:512
.LBB36_120:
	s_or_b64 exec, exec, s[0:1]
	v_or_b32_e32 v46, 0x480, v0
	v_cmp_gt_u32_e32 vcc, s20, v46
	s_and_saveexec_b64 s[0:1], vcc
	s_cbranch_execz .LBB36_122
; %bb.121:
	v_add_co_u32_e32 v46, vcc, 0x2000, v44
	v_addc_co_u32_e32 v47, vcc, 0, v45, vcc
	s_waitcnt lgkmcnt(1)
	global_store_dwordx2 v[46:47], v[34:35], off offset:1024
.LBB36_122:
	;; [unrolled: 11-line block ×4, first 2 shown]
	s_or_b64 exec, exec, s[0:1]
	s_load_dword s0, s[4:5], 0x48
	s_waitcnt lgkmcnt(0)
	s_bfe_u32 s0, s0, 0x10008
	s_cmp_eq_u32 s0, 0
	s_cbranch_scc1 .LBB36_204
; %bb.127:
	s_add_u32 s0, s20, -1
	s_addc_u32 s1, s21, -1
	s_add_u32 s2, 0, 0x30c26c00
	s_addc_u32 s3, 0, 44
	s_add_i32 s3, s3, 0xc30c2e0
	s_mul_hi_u32 s7, s2, 0xffffffeb
	s_sub_i32 s7, s7, s2
	s_mul_i32 s8, s3, 0xffffffeb
	s_mul_i32 s4, s2, 0xffffffeb
	s_add_i32 s7, s7, s8
	s_mul_hi_u32 s5, s3, s4
	s_mul_i32 s6, s3, s4
	s_mul_i32 s9, s2, s7
	s_mul_hi_u32 s4, s2, s4
	s_mul_hi_u32 s8, s2, s7
	s_add_u32 s4, s4, s9
	s_addc_u32 s8, 0, s8
	s_add_u32 s4, s4, s6
	s_mul_hi_u32 s9, s3, s7
	s_addc_u32 s4, s8, s5
	s_addc_u32 s5, s9, 0
	s_mul_i32 s6, s3, s7
	s_add_u32 s4, s4, s6
	v_mov_b32_e32 v44, s4
	s_addc_u32 s5, 0, s5
	v_add_co_u32_e32 v44, vcc, s2, v44
	s_cmp_lg_u64 vcc, 0
	s_addc_u32 s2, s3, s5
	v_readfirstlane_b32 s5, v44
	s_mul_i32 s4, s0, s2
	s_mul_hi_u32 s6, s0, s5
	s_mul_hi_u32 s3, s0, s2
	s_add_u32 s4, s6, s4
	s_addc_u32 s3, 0, s3
	s_mul_hi_u32 s7, s1, s5
	s_mul_i32 s5, s1, s5
	s_add_u32 s4, s4, s5
	s_mul_hi_u32 s6, s1, s2
	s_addc_u32 s3, s3, s7
	s_addc_u32 s4, s6, 0
	s_mul_i32 s2, s1, s2
	s_add_u32 s2, s3, s2
	s_addc_u32 s3, 0, s4
	s_add_u32 s4, s2, 1
	s_addc_u32 s5, s3, 0
	s_add_u32 s6, s2, 2
	s_mul_i32 s8, s3, 21
	s_mul_hi_u32 s9, s2, 21
	s_addc_u32 s7, s3, 0
	s_add_i32 s9, s9, s8
	s_mul_i32 s8, s2, 21
	v_mov_b32_e32 v44, s8
	v_sub_co_u32_e32 v44, vcc, s0, v44
	s_cmp_lg_u64 vcc, 0
	s_subb_u32 s8, s1, s9
	v_subrev_co_u32_e32 v45, vcc, 21, v44
	s_cmp_lg_u64 vcc, 0
	s_subb_u32 s9, s8, 0
	v_readfirstlane_b32 s10, v45
	s_cmp_gt_u32 s10, 20
	s_cselect_b32 s10, -1, 0
	s_cmp_eq_u32 s9, 0
	s_cselect_b32 s9, s10, -1
	s_cmp_lg_u32 s9, 0
	s_cselect_b32 s4, s6, s4
	v_readfirstlane_b32 s6, v44
	s_cselect_b32 s5, s7, s5
	s_cmp_gt_u32 s6, 20
	s_cselect_b32 s6, -1, 0
	s_cmp_eq_u32 s8, 0
	s_cselect_b32 s6, s6, -1
	s_cmp_lg_u32 s6, 0
	s_cselect_b32 s3, s5, s3
	s_cselect_b32 s2, s4, s2
	v_cmp_eq_u64_e32 vcc, s[2:3], v[0:1]
	s_and_saveexec_b64 s[2:3], vcc
	s_cbranch_execz .LBB36_204
; %bb.128:
	v_mul_hi_u32_u24_e32 v1, 21, v0
	v_mov_b32_e32 v44, s1
	v_sub_co_u32_e32 v0, vcc, s0, v89
	v_subb_co_u32_e32 v1, vcc, v44, v1, vcc
	v_cmp_lt_i64_e32 vcc, 10, v[0:1]
	s_and_saveexec_b64 s[0:1], vcc
	s_xor_b64 s[0:1], exec, s[0:1]
	s_cbranch_execz .LBB36_166
; %bb.129:
	v_cmp_lt_i64_e32 vcc, 15, v[0:1]
	s_and_saveexec_b64 s[2:3], vcc
	s_xor_b64 s[2:3], exec, s[2:3]
	s_cbranch_execz .LBB36_147
; %bb.130:
	;; [unrolled: 5-line block ×5, first 2 shown]
	v_mov_b32_e32 v0, 0
	global_store_dwordx2 v0, v[42:43], s[14:15]
                                        ; implicit-def: $vgpr34_vgpr35_vgpr36_vgpr37
.LBB36_134:
	s_andn2_saveexec_b64 s[8:9], s[8:9]
	s_cbranch_execz .LBB36_136
; %bb.135:
	v_mov_b32_e32 v0, 0
	global_store_dwordx2 v0, v[36:37], s[14:15]
.LBB36_136:
	s_or_b64 exec, exec, s[8:9]
                                        ; implicit-def: $vgpr34_vgpr35_vgpr36_vgpr37
.LBB36_137:
	s_andn2_saveexec_b64 s[6:7], s[6:7]
	s_cbranch_execz .LBB36_139
; %bb.138:
	v_mov_b32_e32 v0, 0
	global_store_dwordx2 v0, v[34:35], s[14:15]
.LBB36_139:
	s_or_b64 exec, exec, s[6:7]
                                        ; implicit-def: $vgpr38_vgpr39_vgpr40_vgpr41
                                        ; implicit-def: $vgpr0_vgpr1
.LBB36_140:
	s_andn2_saveexec_b64 s[4:5], s[4:5]
	s_cbranch_execz .LBB36_146
; %bb.141:
	v_cmp_lt_i64_e32 vcc, 16, v[0:1]
	s_and_saveexec_b64 s[6:7], vcc
	s_xor_b64 s[6:7], exec, s[6:7]
	s_cbranch_execz .LBB36_143
; %bb.142:
	v_mov_b32_e32 v0, 0
	global_store_dwordx2 v0, v[40:41], s[14:15]
                                        ; implicit-def: $vgpr38_vgpr39_vgpr40_vgpr41
.LBB36_143:
	s_andn2_saveexec_b64 s[6:7], s[6:7]
	s_cbranch_execz .LBB36_145
; %bb.144:
	v_mov_b32_e32 v0, 0
	global_store_dwordx2 v0, v[38:39], s[14:15]
.LBB36_145:
	s_or_b64 exec, exec, s[6:7]
.LBB36_146:
	s_or_b64 exec, exec, s[4:5]
                                        ; implicit-def: $vgpr0_vgpr1
                                        ; implicit-def: $vgpr2_vgpr3_vgpr4_vgpr5
                                        ; implicit-def: $vgpr22_vgpr23_vgpr24_vgpr25
                                        ; implicit-def: $vgpr30_vgpr31_vgpr32_vgpr33
.LBB36_147:
	s_andn2_saveexec_b64 s[2:3], s[2:3]
	s_cbranch_execz .LBB36_165
; %bb.148:
	v_cmp_lt_i64_e32 vcc, 12, v[0:1]
	s_and_saveexec_b64 s[4:5], vcc
	s_xor_b64 s[4:5], exec, s[4:5]
	s_cbranch_execz .LBB36_158
; %bb.149:
	v_cmp_lt_i64_e32 vcc, 13, v[0:1]
	s_and_saveexec_b64 s[6:7], vcc
	s_xor_b64 s[6:7], exec, s[6:7]
	s_cbranch_execz .LBB36_155
; %bb.150:
	v_cmp_lt_i64_e32 vcc, 14, v[0:1]
	s_and_saveexec_b64 s[8:9], vcc
	s_xor_b64 s[8:9], exec, s[8:9]
	s_cbranch_execz .LBB36_152
; %bb.151:
	v_mov_b32_e32 v0, 0
	global_store_dwordx2 v0, v[32:33], s[14:15]
                                        ; implicit-def: $vgpr30_vgpr31_vgpr32_vgpr33
.LBB36_152:
	s_andn2_saveexec_b64 s[8:9], s[8:9]
	s_cbranch_execz .LBB36_154
; %bb.153:
	v_mov_b32_e32 v0, 0
	global_store_dwordx2 v0, v[30:31], s[14:15]
.LBB36_154:
	s_or_b64 exec, exec, s[8:9]
                                        ; implicit-def: $vgpr22_vgpr23_vgpr24_vgpr25
.LBB36_155:
	s_andn2_saveexec_b64 s[6:7], s[6:7]
	s_cbranch_execz .LBB36_157
; %bb.156:
	v_mov_b32_e32 v0, 0
	global_store_dwordx2 v0, v[24:25], s[14:15]
.LBB36_157:
	s_or_b64 exec, exec, s[6:7]
                                        ; implicit-def: $vgpr2_vgpr3_vgpr4_vgpr5
                                        ; implicit-def: $vgpr0_vgpr1
                                        ; implicit-def: $vgpr22_vgpr23_vgpr24_vgpr25
.LBB36_158:
	s_andn2_saveexec_b64 s[4:5], s[4:5]
	s_cbranch_execz .LBB36_164
; %bb.159:
	v_cmp_lt_i64_e32 vcc, 11, v[0:1]
	s_and_saveexec_b64 s[6:7], vcc
	s_xor_b64 s[6:7], exec, s[6:7]
	s_cbranch_execz .LBB36_161
; %bb.160:
	v_mov_b32_e32 v0, 0
	global_store_dwordx2 v0, v[22:23], s[14:15]
                                        ; implicit-def: $vgpr2_vgpr3_vgpr4_vgpr5
.LBB36_161:
	s_andn2_saveexec_b64 s[6:7], s[6:7]
	s_cbranch_execz .LBB36_163
; %bb.162:
	v_mov_b32_e32 v0, 0
	global_store_dwordx2 v0, v[4:5], s[14:15]
.LBB36_163:
	s_or_b64 exec, exec, s[6:7]
.LBB36_164:
	s_or_b64 exec, exec, s[4:5]
.LBB36_165:
	s_or_b64 exec, exec, s[2:3]
                                        ; implicit-def: $vgpr0_vgpr1
                                        ; implicit-def: $vgpr26_vgpr27_vgpr28_vgpr29
                                        ; implicit-def: $vgpr10_vgpr11_vgpr12_vgpr13
                                        ; implicit-def: $vgpr6_vgpr7_vgpr8_vgpr9
                                        ; implicit-def: $vgpr18_vgpr19_vgpr20_vgpr21
                                        ; implicit-def: $vgpr14_vgpr15_vgpr16_vgpr17
                                        ; implicit-def: $vgpr2_vgpr3_vgpr4_vgpr5
.LBB36_166:
	s_andn2_saveexec_b64 s[0:1], s[0:1]
	s_cbranch_execz .LBB36_204
; %bb.167:
	v_cmp_lt_i64_e32 vcc, 5, v[0:1]
	s_and_saveexec_b64 s[0:1], vcc
	s_xor_b64 s[0:1], exec, s[0:1]
	s_cbranch_execz .LBB36_185
; %bb.168:
	v_cmp_lt_i64_e32 vcc, 7, v[0:1]
	s_and_saveexec_b64 s[2:3], vcc
	s_xor_b64 s[2:3], exec, s[2:3]
	;; [unrolled: 5-line block ×4, first 2 shown]
	s_cbranch_execz .LBB36_172
; %bb.171:
	v_mov_b32_e32 v0, 0
	global_store_dwordx2 v0, v[2:3], s[14:15]
                                        ; implicit-def: $vgpr18_vgpr19_vgpr20_vgpr21
.LBB36_172:
	s_andn2_saveexec_b64 s[6:7], s[6:7]
	s_cbranch_execz .LBB36_174
; %bb.173:
	v_mov_b32_e32 v0, 0
	global_store_dwordx2 v0, v[20:21], s[14:15]
.LBB36_174:
	s_or_b64 exec, exec, s[6:7]
                                        ; implicit-def: $vgpr18_vgpr19_vgpr20_vgpr21
.LBB36_175:
	s_andn2_saveexec_b64 s[4:5], s[4:5]
	s_cbranch_execz .LBB36_177
; %bb.176:
	v_mov_b32_e32 v0, 0
	global_store_dwordx2 v0, v[18:19], s[14:15]
.LBB36_177:
	s_or_b64 exec, exec, s[4:5]
                                        ; implicit-def: $vgpr26_vgpr27_vgpr28_vgpr29
                                        ; implicit-def: $vgpr0_vgpr1
.LBB36_178:
	s_andn2_saveexec_b64 s[2:3], s[2:3]
	s_cbranch_execz .LBB36_184
; %bb.179:
	v_cmp_lt_i64_e32 vcc, 6, v[0:1]
	s_and_saveexec_b64 s[4:5], vcc
	s_xor_b64 s[4:5], exec, s[4:5]
	s_cbranch_execz .LBB36_181
; %bb.180:
	v_mov_b32_e32 v0, 0
	global_store_dwordx2 v0, v[28:29], s[14:15]
                                        ; implicit-def: $vgpr26_vgpr27_vgpr28_vgpr29
.LBB36_181:
	s_andn2_saveexec_b64 s[4:5], s[4:5]
	s_cbranch_execz .LBB36_183
; %bb.182:
	v_mov_b32_e32 v0, 0
	global_store_dwordx2 v0, v[26:27], s[14:15]
.LBB36_183:
	s_or_b64 exec, exec, s[4:5]
.LBB36_184:
	s_or_b64 exec, exec, s[2:3]
                                        ; implicit-def: $vgpr0_vgpr1
                                        ; implicit-def: $vgpr10_vgpr11_vgpr12_vgpr13
                                        ; implicit-def: $vgpr6_vgpr7_vgpr8_vgpr9
                                        ; implicit-def: $vgpr14_vgpr15_vgpr16_vgpr17
.LBB36_185:
	s_andn2_saveexec_b64 s[0:1], s[0:1]
	s_cbranch_execz .LBB36_204
; %bb.186:
	v_cmp_lt_i64_e32 vcc, 2, v[0:1]
	s_and_saveexec_b64 s[0:1], vcc
	s_xor_b64 s[0:1], exec, s[0:1]
	s_cbranch_execz .LBB36_196
; %bb.187:
	v_cmp_lt_i64_e32 vcc, 3, v[0:1]
	s_and_saveexec_b64 s[2:3], vcc
	s_xor_b64 s[2:3], exec, s[2:3]
	;; [unrolled: 5-line block ×3, first 2 shown]
	s_cbranch_execz .LBB36_190
; %bb.189:
	v_mov_b32_e32 v0, 0
	global_store_dwordx2 v0, v[16:17], s[14:15]
                                        ; implicit-def: $vgpr14_vgpr15_vgpr16_vgpr17
.LBB36_190:
	s_andn2_saveexec_b64 s[4:5], s[4:5]
	s_cbranch_execz .LBB36_192
; %bb.191:
	v_mov_b32_e32 v0, 0
	global_store_dwordx2 v0, v[14:15], s[14:15]
.LBB36_192:
	s_or_b64 exec, exec, s[4:5]
                                        ; implicit-def: $vgpr10_vgpr11_vgpr12_vgpr13
.LBB36_193:
	s_andn2_saveexec_b64 s[2:3], s[2:3]
	s_cbranch_execz .LBB36_195
; %bb.194:
	v_mov_b32_e32 v0, 0
	global_store_dwordx2 v0, v[12:13], s[14:15]
.LBB36_195:
	s_or_b64 exec, exec, s[2:3]
                                        ; implicit-def: $vgpr0_vgpr1
                                        ; implicit-def: $vgpr10_vgpr11_vgpr12_vgpr13
                                        ; implicit-def: $vgpr6_vgpr7_vgpr8_vgpr9
.LBB36_196:
	s_andn2_saveexec_b64 s[0:1], s[0:1]
	s_cbranch_execz .LBB36_204
; %bb.197:
	v_cmp_lt_i64_e32 vcc, 1, v[0:1]
	s_and_saveexec_b64 s[0:1], vcc
	s_xor_b64 s[0:1], exec, s[0:1]
	s_cbranch_execz .LBB36_199
; %bb.198:
	v_mov_b32_e32 v0, 0
	global_store_dwordx2 v0, v[10:11], s[14:15]
                                        ; implicit-def: $vgpr6_vgpr7_vgpr8_vgpr9
                                        ; implicit-def: $vgpr0_vgpr1
.LBB36_199:
	s_andn2_saveexec_b64 s[0:1], s[0:1]
	s_cbranch_execz .LBB36_204
; %bb.200:
	v_cmp_ne_u64_e32 vcc, 1, v[0:1]
	s_and_saveexec_b64 s[0:1], vcc
	s_xor_b64 s[0:1], exec, s[0:1]
	s_cbranch_execz .LBB36_202
; %bb.201:
	v_mov_b32_e32 v0, 0
	global_store_dwordx2 v0, v[6:7], s[14:15]
                                        ; implicit-def: $vgpr6_vgpr7_vgpr8_vgpr9
.LBB36_202:
	s_andn2_saveexec_b64 s[0:1], s[0:1]
	s_cbranch_execz .LBB36_204
; %bb.203:
	v_mov_b32_e32 v0, 0
	global_store_dwordx2 v0, v[8:9], s[14:15]
.LBB36_204:
	s_endpgm
	.section	.rodata,"a",@progbits
	.p2align	6, 0x0
	.amdhsa_kernel _ZN7rocprim6detail20lookback_scan_kernelILNS0_25lookback_scan_determinismE0ELb0ENS0_19wrapped_scan_configINS_14default_configEyEEPyS6_N6hipcub3MinEyyNS0_19lookback_scan_stateIyLb0ELb1EEEEEvT2_T3_mT5_T4_T7_jPT6_SH_bb
		.amdhsa_group_segment_fixed_size 10752
		.amdhsa_private_segment_fixed_size 0
		.amdhsa_kernarg_size 76
		.amdhsa_user_sgpr_count 6
		.amdhsa_user_sgpr_private_segment_buffer 1
		.amdhsa_user_sgpr_dispatch_ptr 0
		.amdhsa_user_sgpr_queue_ptr 0
		.amdhsa_user_sgpr_kernarg_segment_ptr 1
		.amdhsa_user_sgpr_dispatch_id 0
		.amdhsa_user_sgpr_flat_scratch_init 0
		.amdhsa_user_sgpr_kernarg_preload_length 0
		.amdhsa_user_sgpr_kernarg_preload_offset 0
		.amdhsa_user_sgpr_private_segment_size 0
		.amdhsa_uses_dynamic_stack 0
		.amdhsa_system_sgpr_private_segment_wavefront_offset 0
		.amdhsa_system_sgpr_workgroup_id_x 1
		.amdhsa_system_sgpr_workgroup_id_y 0
		.amdhsa_system_sgpr_workgroup_id_z 0
		.amdhsa_system_sgpr_workgroup_info 0
		.amdhsa_system_vgpr_workitem_id 0
		.amdhsa_next_free_vgpr 91
		.amdhsa_next_free_sgpr 24
		.amdhsa_accum_offset 92
		.amdhsa_reserve_vcc 1
		.amdhsa_reserve_flat_scratch 0
		.amdhsa_float_round_mode_32 0
		.amdhsa_float_round_mode_16_64 0
		.amdhsa_float_denorm_mode_32 3
		.amdhsa_float_denorm_mode_16_64 3
		.amdhsa_dx10_clamp 1
		.amdhsa_ieee_mode 1
		.amdhsa_fp16_overflow 0
		.amdhsa_tg_split 0
		.amdhsa_exception_fp_ieee_invalid_op 0
		.amdhsa_exception_fp_denorm_src 0
		.amdhsa_exception_fp_ieee_div_zero 0
		.amdhsa_exception_fp_ieee_overflow 0
		.amdhsa_exception_fp_ieee_underflow 0
		.amdhsa_exception_fp_ieee_inexact 0
		.amdhsa_exception_int_div_zero 0
	.end_amdhsa_kernel
	.section	.text._ZN7rocprim6detail20lookback_scan_kernelILNS0_25lookback_scan_determinismE0ELb0ENS0_19wrapped_scan_configINS_14default_configEyEEPyS6_N6hipcub3MinEyyNS0_19lookback_scan_stateIyLb0ELb1EEEEEvT2_T3_mT5_T4_T7_jPT6_SH_bb,"axG",@progbits,_ZN7rocprim6detail20lookback_scan_kernelILNS0_25lookback_scan_determinismE0ELb0ENS0_19wrapped_scan_configINS_14default_configEyEEPyS6_N6hipcub3MinEyyNS0_19lookback_scan_stateIyLb0ELb1EEEEEvT2_T3_mT5_T4_T7_jPT6_SH_bb,comdat
.Lfunc_end36:
	.size	_ZN7rocprim6detail20lookback_scan_kernelILNS0_25lookback_scan_determinismE0ELb0ENS0_19wrapped_scan_configINS_14default_configEyEEPyS6_N6hipcub3MinEyyNS0_19lookback_scan_stateIyLb0ELb1EEEEEvT2_T3_mT5_T4_T7_jPT6_SH_bb, .Lfunc_end36-_ZN7rocprim6detail20lookback_scan_kernelILNS0_25lookback_scan_determinismE0ELb0ENS0_19wrapped_scan_configINS_14default_configEyEEPyS6_N6hipcub3MinEyyNS0_19lookback_scan_stateIyLb0ELb1EEEEEvT2_T3_mT5_T4_T7_jPT6_SH_bb
                                        ; -- End function
	.section	.AMDGPU.csdata,"",@progbits
; Kernel info:
; codeLenInByte = 8328
; NumSgprs: 28
; NumVgprs: 91
; NumAgprs: 0
; TotalNumVgprs: 91
; ScratchSize: 0
; MemoryBound: 0
; FloatMode: 240
; IeeeMode: 1
; LDSByteSize: 10752 bytes/workgroup (compile time only)
; SGPRBlocks: 3
; VGPRBlocks: 11
; NumSGPRsForWavesPerEU: 28
; NumVGPRsForWavesPerEU: 91
; AccumOffset: 92
; Occupancy: 2
; WaveLimiterHint : 1
; COMPUTE_PGM_RSRC2:SCRATCH_EN: 0
; COMPUTE_PGM_RSRC2:USER_SGPR: 6
; COMPUTE_PGM_RSRC2:TRAP_HANDLER: 0
; COMPUTE_PGM_RSRC2:TGID_X_EN: 1
; COMPUTE_PGM_RSRC2:TGID_Y_EN: 0
; COMPUTE_PGM_RSRC2:TGID_Z_EN: 0
; COMPUTE_PGM_RSRC2:TIDIG_COMP_CNT: 0
; COMPUTE_PGM_RSRC3_GFX90A:ACCUM_OFFSET: 22
; COMPUTE_PGM_RSRC3_GFX90A:TG_SPLIT: 0
	.section	.text._ZN7rocprim6detail16transform_kernelINS0_24wrapped_transform_configINS_14default_configEyEEyPyS5_NS_8identityIyEEEEvT1_mT2_T3_,"axG",@progbits,_ZN7rocprim6detail16transform_kernelINS0_24wrapped_transform_configINS_14default_configEyEEyPyS5_NS_8identityIyEEEEvT1_mT2_T3_,comdat
	.protected	_ZN7rocprim6detail16transform_kernelINS0_24wrapped_transform_configINS_14default_configEyEEyPyS5_NS_8identityIyEEEEvT1_mT2_T3_ ; -- Begin function _ZN7rocprim6detail16transform_kernelINS0_24wrapped_transform_configINS_14default_configEyEEyPyS5_NS_8identityIyEEEEvT1_mT2_T3_
	.globl	_ZN7rocprim6detail16transform_kernelINS0_24wrapped_transform_configINS_14default_configEyEEyPyS5_NS_8identityIyEEEEvT1_mT2_T3_
	.p2align	8
	.type	_ZN7rocprim6detail16transform_kernelINS0_24wrapped_transform_configINS_14default_configEyEEyPyS5_NS_8identityIyEEEEvT1_mT2_T3_,@function
_ZN7rocprim6detail16transform_kernelINS0_24wrapped_transform_configINS_14default_configEyEEyPyS5_NS_8identityIyEEEEvT1_mT2_T3_: ; @_ZN7rocprim6detail16transform_kernelINS0_24wrapped_transform_configINS_14default_configEyEEyPyS5_NS_8identityIyEEEEvT1_mT2_T3_
; %bb.0:
	s_load_dword s7, s[4:5], 0x20
	s_load_dwordx4 s[0:3], s[4:5], 0x0
	s_load_dwordx2 s[8:9], s[4:5], 0x10
	s_lshl_b32 s10, s6, 9
	s_mov_b32 s11, 0
	s_waitcnt lgkmcnt(0)
	s_add_i32 s7, s7, -1
	s_lshl_b64 s[4:5], s[10:11], 3
	s_add_u32 s0, s0, s4
	s_addc_u32 s1, s1, s5
	v_lshlrev_b32_e32 v1, 3, v0
	v_mov_b32_e32 v2, s1
	v_add_co_u32_e32 v6, vcc, s0, v1
	s_cmp_lg_u32 s6, s7
	v_addc_co_u32_e32 v7, vcc, 0, v2, vcc
	s_cbranch_scc0 .LBB37_2
; %bb.1:
	global_load_dwordx2 v[2:3], v[6:7], off
	global_load_dwordx2 v[4:5], v[6:7], off offset:2048
	s_add_u32 s6, s8, s4
	s_addc_u32 s7, s9, s5
	s_waitcnt vmcnt(1)
	global_store_dwordx2 v1, v[2:3], s[6:7]
	s_mov_b64 s[6:7], -1
	s_cbranch_execz .LBB37_3
	s_branch .LBB37_10
.LBB37_2:
	s_mov_b64 s[6:7], 0
                                        ; implicit-def: $vgpr4_vgpr5
.LBB37_3:
	s_sub_i32 s2, s2, s10
	v_cmp_gt_u32_e32 vcc, s2, v0
                                        ; implicit-def: $vgpr2_vgpr3_vgpr4_vgpr5
	s_and_saveexec_b64 s[0:1], vcc
	s_cbranch_execz .LBB37_5
; %bb.4:
	global_load_dwordx2 v[2:3], v[6:7], off
.LBB37_5:
	s_or_b64 exec, exec, s[0:1]
	v_or_b32_e32 v0, 0x100, v0
	v_cmp_gt_u32_e64 s[0:1], s2, v0
	s_and_saveexec_b64 s[2:3], s[0:1]
	s_cbranch_execnz .LBB37_13
; %bb.6:
	s_or_b64 exec, exec, s[2:3]
	s_and_saveexec_b64 s[2:3], vcc
	s_cbranch_execnz .LBB37_14
.LBB37_7:
	s_or_b64 exec, exec, s[2:3]
	s_and_saveexec_b64 s[2:3], s[0:1]
.LBB37_8:
	s_or_b64 s[6:7], s[6:7], exec
.LBB37_9:
	s_or_b64 exec, exec, s[2:3]
.LBB37_10:
	s_and_saveexec_b64 s[0:1], s[6:7]
	s_cbranch_execnz .LBB37_12
; %bb.11:
	s_endpgm
.LBB37_12:
	s_add_u32 s0, s8, s4
	s_addc_u32 s1, s9, s5
	s_waitcnt vmcnt(0)
	global_store_dwordx2 v1, v[4:5], s[0:1] offset:2048
	s_endpgm
.LBB37_13:
	global_load_dwordx2 v[4:5], v[6:7], off offset:2048
	s_or_b64 exec, exec, s[2:3]
	s_and_saveexec_b64 s[2:3], vcc
	s_cbranch_execz .LBB37_7
.LBB37_14:
	s_add_u32 s10, s8, s4
	s_addc_u32 s11, s9, s5
	s_waitcnt vmcnt(0)
	global_store_dwordx2 v1, v[2:3], s[10:11]
	s_or_b64 exec, exec, s[2:3]
	s_and_saveexec_b64 s[2:3], s[0:1]
	s_cbranch_execnz .LBB37_8
	s_branch .LBB37_9
	.section	.rodata,"a",@progbits
	.p2align	6, 0x0
	.amdhsa_kernel _ZN7rocprim6detail16transform_kernelINS0_24wrapped_transform_configINS_14default_configEyEEyPyS5_NS_8identityIyEEEEvT1_mT2_T3_
		.amdhsa_group_segment_fixed_size 0
		.amdhsa_private_segment_fixed_size 0
		.amdhsa_kernarg_size 288
		.amdhsa_user_sgpr_count 6
		.amdhsa_user_sgpr_private_segment_buffer 1
		.amdhsa_user_sgpr_dispatch_ptr 0
		.amdhsa_user_sgpr_queue_ptr 0
		.amdhsa_user_sgpr_kernarg_segment_ptr 1
		.amdhsa_user_sgpr_dispatch_id 0
		.amdhsa_user_sgpr_flat_scratch_init 0
		.amdhsa_user_sgpr_kernarg_preload_length 0
		.amdhsa_user_sgpr_kernarg_preload_offset 0
		.amdhsa_user_sgpr_private_segment_size 0
		.amdhsa_uses_dynamic_stack 0
		.amdhsa_system_sgpr_private_segment_wavefront_offset 0
		.amdhsa_system_sgpr_workgroup_id_x 1
		.amdhsa_system_sgpr_workgroup_id_y 0
		.amdhsa_system_sgpr_workgroup_id_z 0
		.amdhsa_system_sgpr_workgroup_info 0
		.amdhsa_system_vgpr_workitem_id 0
		.amdhsa_next_free_vgpr 8
		.amdhsa_next_free_sgpr 12
		.amdhsa_accum_offset 8
		.amdhsa_reserve_vcc 1
		.amdhsa_reserve_flat_scratch 0
		.amdhsa_float_round_mode_32 0
		.amdhsa_float_round_mode_16_64 0
		.amdhsa_float_denorm_mode_32 3
		.amdhsa_float_denorm_mode_16_64 3
		.amdhsa_dx10_clamp 1
		.amdhsa_ieee_mode 1
		.amdhsa_fp16_overflow 0
		.amdhsa_tg_split 0
		.amdhsa_exception_fp_ieee_invalid_op 0
		.amdhsa_exception_fp_denorm_src 0
		.amdhsa_exception_fp_ieee_div_zero 0
		.amdhsa_exception_fp_ieee_overflow 0
		.amdhsa_exception_fp_ieee_underflow 0
		.amdhsa_exception_fp_ieee_inexact 0
		.amdhsa_exception_int_div_zero 0
	.end_amdhsa_kernel
	.section	.text._ZN7rocprim6detail16transform_kernelINS0_24wrapped_transform_configINS_14default_configEyEEyPyS5_NS_8identityIyEEEEvT1_mT2_T3_,"axG",@progbits,_ZN7rocprim6detail16transform_kernelINS0_24wrapped_transform_configINS_14default_configEyEEyPyS5_NS_8identityIyEEEEvT1_mT2_T3_,comdat
.Lfunc_end37:
	.size	_ZN7rocprim6detail16transform_kernelINS0_24wrapped_transform_configINS_14default_configEyEEyPyS5_NS_8identityIyEEEEvT1_mT2_T3_, .Lfunc_end37-_ZN7rocprim6detail16transform_kernelINS0_24wrapped_transform_configINS_14default_configEyEEyPyS5_NS_8identityIyEEEEvT1_mT2_T3_
                                        ; -- End function
	.section	.AMDGPU.csdata,"",@progbits
; Kernel info:
; codeLenInByte = 300
; NumSgprs: 16
; NumVgprs: 8
; NumAgprs: 0
; TotalNumVgprs: 8
; ScratchSize: 0
; MemoryBound: 1
; FloatMode: 240
; IeeeMode: 1
; LDSByteSize: 0 bytes/workgroup (compile time only)
; SGPRBlocks: 1
; VGPRBlocks: 0
; NumSGPRsForWavesPerEU: 16
; NumVGPRsForWavesPerEU: 8
; AccumOffset: 8
; Occupancy: 8
; WaveLimiterHint : 1
; COMPUTE_PGM_RSRC2:SCRATCH_EN: 0
; COMPUTE_PGM_RSRC2:USER_SGPR: 6
; COMPUTE_PGM_RSRC2:TRAP_HANDLER: 0
; COMPUTE_PGM_RSRC2:TGID_X_EN: 1
; COMPUTE_PGM_RSRC2:TGID_Y_EN: 0
; COMPUTE_PGM_RSRC2:TGID_Z_EN: 0
; COMPUTE_PGM_RSRC2:TIDIG_COMP_CNT: 0
; COMPUTE_PGM_RSRC3_GFX90A:ACCUM_OFFSET: 1
; COMPUTE_PGM_RSRC3_GFX90A:TG_SPLIT: 0
	.section	.text._ZN7rocprim6detail18single_scan_kernelILb0ENS0_19wrapped_scan_configINS_14default_configEyEEPyS5_N6hipcub3MinEyyEEvT1_mT4_T2_T3_,"axG",@progbits,_ZN7rocprim6detail18single_scan_kernelILb0ENS0_19wrapped_scan_configINS_14default_configEyEEPyS5_N6hipcub3MinEyyEEvT1_mT4_T2_T3_,comdat
	.protected	_ZN7rocprim6detail18single_scan_kernelILb0ENS0_19wrapped_scan_configINS_14default_configEyEEPyS5_N6hipcub3MinEyyEEvT1_mT4_T2_T3_ ; -- Begin function _ZN7rocprim6detail18single_scan_kernelILb0ENS0_19wrapped_scan_configINS_14default_configEyEEPyS5_N6hipcub3MinEyyEEvT1_mT4_T2_T3_
	.globl	_ZN7rocprim6detail18single_scan_kernelILb0ENS0_19wrapped_scan_configINS_14default_configEyEEPyS5_N6hipcub3MinEyyEEvT1_mT4_T2_T3_
	.p2align	8
	.type	_ZN7rocprim6detail18single_scan_kernelILb0ENS0_19wrapped_scan_configINS_14default_configEyEEPyS5_N6hipcub3MinEyyEEvT1_mT4_T2_T3_,@function
_ZN7rocprim6detail18single_scan_kernelILb0ENS0_19wrapped_scan_configINS_14default_configEyEEPyS5_N6hipcub3MinEyyEEvT1_mT4_T2_T3_: ; @_ZN7rocprim6detail18single_scan_kernelILb0ENS0_19wrapped_scan_configINS_14default_configEyEEPyS5_N6hipcub3MinEyyEEvT1_mT4_T2_T3_
; %bb.0:
	s_load_dwordx4 s[40:43], s[4:5], 0x0
	v_lshlrev_b32_e32 v50, 3, v0
	s_waitcnt lgkmcnt(0)
	s_load_dwordx2 s[46:47], s[40:41], 0x0
	v_mov_b32_e32 v1, s41
	v_add_co_u32_e32 v4, vcc, s40, v50
	v_addc_co_u32_e32 v5, vcc, 0, v1, vcc
	v_cmp_gt_u32_e64 s[0:1], s42, v0
	s_waitcnt lgkmcnt(0)
	v_pk_mov_b32 v[2:3], s[46:47], s[46:47] op_sel:[0,1]
	s_and_saveexec_b64 s[2:3], s[0:1]
	s_cbranch_execz .LBB38_2
; %bb.1:
	global_load_dwordx2 v[2:3], v[4:5], off
.LBB38_2:
	s_or_b64 exec, exec, s[2:3]
	v_or_b32_e32 v1, 64, v0
	v_cmp_gt_u32_e64 s[2:3], s42, v1
	v_pk_mov_b32 v[6:7], s[46:47], s[46:47] op_sel:[0,1]
	s_and_saveexec_b64 s[6:7], s[2:3]
	s_cbranch_execz .LBB38_4
; %bb.3:
	global_load_dwordx2 v[6:7], v[4:5], off offset:512
.LBB38_4:
	s_or_b64 exec, exec, s[6:7]
	v_or_b32_e32 v1, 0x80, v0
	v_cmp_gt_u32_e64 s[44:45], s42, v1
	v_pk_mov_b32 v[8:9], s[46:47], s[46:47] op_sel:[0,1]
	s_and_saveexec_b64 s[6:7], s[44:45]
	s_cbranch_execz .LBB38_6
; %bb.5:
	global_load_dwordx2 v[8:9], v[4:5], off offset:1024
.LBB38_6:
	s_or_b64 exec, exec, s[6:7]
	v_or_b32_e32 v1, 0xc0, v0
	v_cmp_gt_u32_e64 s[6:7], s42, v1
	v_pk_mov_b32 v[10:11], s[46:47], s[46:47] op_sel:[0,1]
	s_and_saveexec_b64 s[8:9], s[6:7]
	s_cbranch_execz .LBB38_8
; %bb.7:
	global_load_dwordx2 v[10:11], v[4:5], off offset:1536
.LBB38_8:
	s_or_b64 exec, exec, s[8:9]
	v_or_b32_e32 v1, 0x100, v0
	v_cmp_gt_u32_e64 s[8:9], s42, v1
	v_pk_mov_b32 v[12:13], s[46:47], s[46:47] op_sel:[0,1]
	s_and_saveexec_b64 s[10:11], s[8:9]
	s_cbranch_execz .LBB38_10
; %bb.9:
	global_load_dwordx2 v[12:13], v[4:5], off offset:2048
.LBB38_10:
	s_or_b64 exec, exec, s[10:11]
	v_or_b32_e32 v1, 0x140, v0
	v_cmp_gt_u32_e64 s[10:11], s42, v1
	v_pk_mov_b32 v[14:15], s[46:47], s[46:47] op_sel:[0,1]
	s_and_saveexec_b64 s[12:13], s[10:11]
	s_cbranch_execz .LBB38_12
; %bb.11:
	global_load_dwordx2 v[14:15], v[4:5], off offset:2560
.LBB38_12:
	s_or_b64 exec, exec, s[12:13]
	v_or_b32_e32 v1, 0x180, v0
	v_cmp_gt_u32_e64 s[12:13], s42, v1
	v_pk_mov_b32 v[16:17], s[46:47], s[46:47] op_sel:[0,1]
	s_and_saveexec_b64 s[14:15], s[12:13]
	s_cbranch_execz .LBB38_14
; %bb.13:
	global_load_dwordx2 v[16:17], v[4:5], off offset:3072
.LBB38_14:
	s_or_b64 exec, exec, s[14:15]
	v_or_b32_e32 v1, 0x1c0, v0
	v_cmp_gt_u32_e64 s[14:15], s42, v1
	v_pk_mov_b32 v[18:19], s[46:47], s[46:47] op_sel:[0,1]
	s_and_saveexec_b64 s[16:17], s[14:15]
	s_cbranch_execz .LBB38_16
; %bb.15:
	global_load_dwordx2 v[18:19], v[4:5], off offset:3584
.LBB38_16:
	s_or_b64 exec, exec, s[16:17]
	v_or_b32_e32 v1, 0x200, v0
	v_cmp_gt_u32_e64 s[16:17], s42, v1
	v_pk_mov_b32 v[20:21], s[46:47], s[46:47] op_sel:[0,1]
	s_and_saveexec_b64 s[18:19], s[16:17]
	s_cbranch_execz .LBB38_18
; %bb.17:
	v_add_co_u32_e32 v20, vcc, 0x1000, v4
	v_addc_co_u32_e32 v21, vcc, 0, v5, vcc
	global_load_dwordx2 v[20:21], v[20:21], off
.LBB38_18:
	s_or_b64 exec, exec, s[18:19]
	v_or_b32_e32 v1, 0x240, v0
	v_cmp_gt_u32_e64 s[18:19], s42, v1
	v_pk_mov_b32 v[22:23], s[46:47], s[46:47] op_sel:[0,1]
	s_and_saveexec_b64 s[20:21], s[18:19]
	s_cbranch_execz .LBB38_20
; %bb.19:
	v_add_co_u32_e32 v22, vcc, 0x1000, v4
	v_addc_co_u32_e32 v23, vcc, 0, v5, vcc
	global_load_dwordx2 v[22:23], v[22:23], off offset:512
.LBB38_20:
	s_or_b64 exec, exec, s[20:21]
	v_or_b32_e32 v1, 0x280, v0
	v_cmp_gt_u32_e64 s[20:21], s42, v1
	v_pk_mov_b32 v[24:25], s[46:47], s[46:47] op_sel:[0,1]
	s_and_saveexec_b64 s[22:23], s[20:21]
	s_cbranch_execz .LBB38_22
; %bb.21:
	v_add_co_u32_e32 v24, vcc, 0x1000, v4
	v_addc_co_u32_e32 v25, vcc, 0, v5, vcc
	global_load_dwordx2 v[24:25], v[24:25], off offset:1024
.LBB38_22:
	s_or_b64 exec, exec, s[22:23]
	v_or_b32_e32 v1, 0x2c0, v0
	v_cmp_gt_u32_e64 s[22:23], s42, v1
	v_pk_mov_b32 v[26:27], s[46:47], s[46:47] op_sel:[0,1]
	s_and_saveexec_b64 s[24:25], s[22:23]
	s_cbranch_execz .LBB38_24
; %bb.23:
	v_add_co_u32_e32 v26, vcc, 0x1000, v4
	v_addc_co_u32_e32 v27, vcc, 0, v5, vcc
	global_load_dwordx2 v[26:27], v[26:27], off offset:1536
.LBB38_24:
	s_or_b64 exec, exec, s[24:25]
	v_or_b32_e32 v1, 0x300, v0
	v_cmp_gt_u32_e64 s[24:25], s42, v1
	v_pk_mov_b32 v[28:29], s[46:47], s[46:47] op_sel:[0,1]
	s_and_saveexec_b64 s[26:27], s[24:25]
	s_cbranch_execz .LBB38_26
; %bb.25:
	v_add_co_u32_e32 v28, vcc, 0x1000, v4
	v_addc_co_u32_e32 v29, vcc, 0, v5, vcc
	global_load_dwordx2 v[28:29], v[28:29], off offset:2048
.LBB38_26:
	s_or_b64 exec, exec, s[26:27]
	v_or_b32_e32 v1, 0x340, v0
	v_cmp_gt_u32_e64 s[26:27], s42, v1
	v_pk_mov_b32 v[30:31], s[46:47], s[46:47] op_sel:[0,1]
	s_and_saveexec_b64 s[28:29], s[26:27]
	s_cbranch_execz .LBB38_28
; %bb.27:
	v_add_co_u32_e32 v30, vcc, 0x1000, v4
	v_addc_co_u32_e32 v31, vcc, 0, v5, vcc
	global_load_dwordx2 v[30:31], v[30:31], off offset:2560
.LBB38_28:
	s_or_b64 exec, exec, s[28:29]
	v_or_b32_e32 v1, 0x380, v0
	v_cmp_gt_u32_e64 s[28:29], s42, v1
	v_pk_mov_b32 v[32:33], s[46:47], s[46:47] op_sel:[0,1]
	s_and_saveexec_b64 s[30:31], s[28:29]
	s_cbranch_execz .LBB38_30
; %bb.29:
	v_add_co_u32_e32 v32, vcc, 0x1000, v4
	v_addc_co_u32_e32 v33, vcc, 0, v5, vcc
	global_load_dwordx2 v[32:33], v[32:33], off offset:3072
.LBB38_30:
	s_or_b64 exec, exec, s[30:31]
	v_or_b32_e32 v1, 0x3c0, v0
	v_cmp_gt_u32_e64 s[30:31], s42, v1
	v_pk_mov_b32 v[34:35], s[46:47], s[46:47] op_sel:[0,1]
	s_and_saveexec_b64 s[34:35], s[30:31]
	s_cbranch_execz .LBB38_32
; %bb.31:
	v_add_co_u32_e32 v34, vcc, 0x1000, v4
	v_addc_co_u32_e32 v35, vcc, 0, v5, vcc
	global_load_dwordx2 v[34:35], v[34:35], off offset:3584
.LBB38_32:
	s_or_b64 exec, exec, s[34:35]
	v_or_b32_e32 v1, 0x400, v0
	v_cmp_gt_u32_e64 s[34:35], s42, v1
	v_pk_mov_b32 v[36:37], s[46:47], s[46:47] op_sel:[0,1]
	s_and_saveexec_b64 s[36:37], s[34:35]
	s_cbranch_execz .LBB38_34
; %bb.33:
	v_add_co_u32_e32 v36, vcc, 0x2000, v4
	v_addc_co_u32_e32 v37, vcc, 0, v5, vcc
	global_load_dwordx2 v[36:37], v[36:37], off
.LBB38_34:
	s_or_b64 exec, exec, s[36:37]
	v_or_b32_e32 v1, 0x440, v0
	v_cmp_gt_u32_e64 s[36:37], s42, v1
	v_pk_mov_b32 v[38:39], s[46:47], s[46:47] op_sel:[0,1]
	s_and_saveexec_b64 s[38:39], s[36:37]
	s_cbranch_execz .LBB38_36
; %bb.35:
	v_add_co_u32_e32 v38, vcc, 0x2000, v4
	v_addc_co_u32_e32 v39, vcc, 0, v5, vcc
	global_load_dwordx2 v[38:39], v[38:39], off offset:512
.LBB38_36:
	s_or_b64 exec, exec, s[38:39]
	v_or_b32_e32 v1, 0x480, v0
	v_cmp_gt_u32_e64 s[38:39], s42, v1
	v_pk_mov_b32 v[40:41], s[46:47], s[46:47] op_sel:[0,1]
	s_and_saveexec_b64 s[40:41], s[38:39]
	s_cbranch_execz .LBB38_38
; %bb.37:
	v_add_co_u32_e32 v40, vcc, 0x2000, v4
	v_addc_co_u32_e32 v41, vcc, 0, v5, vcc
	global_load_dwordx2 v[40:41], v[40:41], off offset:1024
.LBB38_38:
	;; [unrolled: 11-line block ×4, first 2 shown]
	s_or_b64 exec, exec, s[46:47]
	s_movk_i32 s33, 0xa0
	v_mad_u32_u24 v1, v0, s33, v50
	s_waitcnt vmcnt(0)
	ds_write2st64_b64 v50, v[2:3], v[6:7] offset1:1
	ds_write2st64_b64 v50, v[8:9], v[10:11] offset0:2 offset1:3
	ds_write2st64_b64 v50, v[12:13], v[14:15] offset0:4 offset1:5
	;; [unrolled: 1-line block ×9, first 2 shown]
	ds_write_b64 v50, v[44:45] offset:10240
	s_waitcnt lgkmcnt(0)
	; wave barrier
	s_waitcnt lgkmcnt(0)
	ds_read2_b64 v[38:41], v1 offset1:1
	ds_read2_b64 v[34:37], v1 offset0:2 offset1:3
	ds_read2_b64 v[30:33], v1 offset0:4 offset1:5
	;; [unrolled: 1-line block ×9, first 2 shown]
	ds_read_b64 v[42:43], v1 offset:160
	s_waitcnt lgkmcnt(10)
	v_cmp_lt_u64_e32 vcc, v[38:39], v[40:41]
	v_cndmask_b32_e32 v45, v41, v39, vcc
	v_cndmask_b32_e32 v44, v40, v38, vcc
	s_waitcnt lgkmcnt(9)
	v_cmp_lt_u64_e32 vcc, v[44:45], v[34:35]
	v_cndmask_b32_e32 v45, v35, v45, vcc
	v_cndmask_b32_e32 v44, v34, v44, vcc
	v_cmp_lt_u64_e32 vcc, v[44:45], v[36:37]
	v_cndmask_b32_e32 v45, v37, v45, vcc
	v_cndmask_b32_e32 v44, v36, v44, vcc
	s_waitcnt lgkmcnt(8)
	v_cmp_lt_u64_e32 vcc, v[44:45], v[30:31]
	v_cndmask_b32_e32 v45, v31, v45, vcc
	v_cndmask_b32_e32 v44, v30, v44, vcc
	;; [unrolled: 7-line block ×10, first 2 shown]
	v_mbcnt_lo_u32_b32 v46, -1, 0
	v_mbcnt_hi_u32_b32 v51, -1, v46
	v_mov_b32_dpp v47, v45 row_shr:1 row_mask:0xf bank_mask:0xf
	v_mov_b32_dpp v46, v44 row_shr:1 row_mask:0xf bank_mask:0xf
	v_and_b32_e32 v52, 15, v51
	v_cmp_lt_u64_e32 vcc, v[46:47], v[44:45]
	v_cndmask_b32_e32 v46, v44, v46, vcc
	v_cndmask_b32_e32 v47, v45, v47, vcc
	v_cmp_eq_u32_e32 vcc, 0, v52
	v_cndmask_b32_e32 v47, v47, v45, vcc
	v_cndmask_b32_e32 v46, v46, v44, vcc
	v_and_b32_e32 v54, 16, v51
	v_mov_b32_dpp v49, v47 row_shr:2 row_mask:0xf bank_mask:0xf
	v_mov_b32_dpp v48, v46 row_shr:2 row_mask:0xf bank_mask:0xf
	v_cmp_lt_u64_e32 vcc, v[48:49], v[46:47]
	v_cndmask_b32_e32 v48, v46, v48, vcc
	v_cndmask_b32_e32 v49, v47, v49, vcc
	v_cmp_lt_u32_e32 vcc, 1, v52
	v_cndmask_b32_e32 v47, v47, v49, vcc
	v_cndmask_b32_e32 v46, v46, v48, vcc
	v_cmp_ne_u32_e64 s[46:47], 0, v51
	v_mov_b32_dpp v49, v47 row_shr:4 row_mask:0xf bank_mask:0xf
	v_mov_b32_dpp v48, v46 row_shr:4 row_mask:0xf bank_mask:0xf
	v_cmp_lt_u64_e32 vcc, v[48:49], v[46:47]
	v_cndmask_b32_e32 v48, v46, v48, vcc
	v_cndmask_b32_e32 v49, v47, v49, vcc
	v_cmp_lt_u32_e32 vcc, 3, v52
	v_cndmask_b32_e32 v47, v47, v49, vcc
	v_cndmask_b32_e32 v46, v46, v48, vcc
	s_nop 0
	v_mov_b32_dpp v49, v47 row_shr:8 row_mask:0xf bank_mask:0xf
	v_mov_b32_dpp v48, v46 row_shr:8 row_mask:0xf bank_mask:0xf
	v_cmp_lt_u64_e32 vcc, v[48:49], v[46:47]
	v_cndmask_b32_e32 v48, v46, v48, vcc
	v_cndmask_b32_e32 v49, v47, v49, vcc
	v_cmp_lt_u32_e32 vcc, 7, v52
	v_cndmask_b32_e32 v47, v47, v49, vcc
	v_cndmask_b32_e32 v46, v46, v48, vcc
	; wave barrier
	s_nop 0
	v_mov_b32_dpp v49, v47 row_bcast:15 row_mask:0xf bank_mask:0xf
	v_mov_b32_dpp v48, v46 row_bcast:15 row_mask:0xf bank_mask:0xf
	v_cmp_lt_u64_e32 vcc, v[48:49], v[46:47]
	v_cndmask_b32_e32 v52, v47, v49, vcc
	v_cndmask_b32_e32 v53, v46, v48, vcc
	v_cmp_eq_u32_e32 vcc, 0, v54
	v_cndmask_b32_e32 v49, v52, v47, vcc
	v_cndmask_b32_e32 v48, v53, v46, vcc
	s_nop 0
	v_mov_b32_dpp v49, v49 row_bcast:31 row_mask:0xf bank_mask:0xf
	v_mov_b32_dpp v48, v48 row_bcast:31 row_mask:0xf bank_mask:0xf
	s_and_saveexec_b64 s[48:49], s[46:47]
; %bb.43:
	v_cndmask_b32_e32 v45, v52, v47, vcc
	v_cndmask_b32_e32 v44, v53, v46, vcc
	v_cmp_lt_u32_e64 s[46:47], 31, v51
	v_cmp_lt_u64_e32 vcc, v[48:49], v[44:45]
	s_and_b64 vcc, s[46:47], vcc
	v_cndmask_b32_e32 v45, v45, v49, vcc
	v_cndmask_b32_e32 v44, v44, v48, vcc
; %bb.44:
	s_or_b64 exec, exec, s[48:49]
	v_cmp_eq_u32_e32 vcc, 63, v0
	s_and_saveexec_b64 s[46:47], vcc
	s_cbranch_execz .LBB38_46
; %bb.45:
	v_mov_b32_e32 v46, 0
	ds_write_b64 v46, v[44:45]
.LBB38_46:
	s_or_b64 exec, exec, s[46:47]
	v_add_u32_e32 v46, -1, v51
	v_and_b32_e32 v47, 64, v51
	v_cmp_lt_i32_e32 vcc, v46, v47
	v_cndmask_b32_e32 v46, v46, v51, vcc
	v_lshlrev_b32_e32 v46, 2, v46
	ds_bpermute_b32 v44, v46, v44
	ds_bpermute_b32 v45, v46, v45
	s_movk_i32 s33, 0xff60
	s_waitcnt lgkmcnt(0)
	; wave barrier
	s_waitcnt lgkmcnt(0)
	v_cmp_lt_u64_e32 vcc, v[44:45], v[38:39]
	v_cndmask_b32_e32 v44, v38, v44, vcc
	v_cndmask_b32_e32 v45, v39, v45, vcc
	v_cmp_eq_u32_e32 vcc, 0, v0
	v_cndmask_b32_e32 v39, v45, v39, vcc
	v_cndmask_b32_e32 v38, v44, v38, vcc
	v_cmp_lt_u64_e32 vcc, v[38:39], v[40:41]
	v_cndmask_b32_e32 v41, v41, v39, vcc
	v_cndmask_b32_e32 v40, v40, v38, vcc
	v_cmp_lt_u64_e32 vcc, v[40:41], v[34:35]
	;; [unrolled: 3-line block ×20, first 2 shown]
	v_cndmask_b32_e32 v43, v43, v5, vcc
	v_cndmask_b32_e32 v42, v42, v4, vcc
	; wave barrier
	ds_write2_b64 v1, v[38:39], v[40:41] offset1:1
	ds_write2_b64 v1, v[34:35], v[36:37] offset0:2 offset1:3
	ds_write2_b64 v1, v[30:31], v[32:33] offset0:4 offset1:5
	;; [unrolled: 1-line block ×9, first 2 shown]
	ds_write_b64 v1, v[42:43] offset:160
	v_mad_i32_i24 v36, v0, s33, v1
	s_waitcnt lgkmcnt(0)
	; wave barrier
	s_waitcnt lgkmcnt(0)
	ds_read2st64_b64 v[32:35], v36 offset0:1 offset1:2
	ds_read2st64_b64 v[28:31], v36 offset0:3 offset1:4
	;; [unrolled: 1-line block ×7, first 2 shown]
	ds_read_b64 v[40:41], v50 offset:8192
	ds_read2st64_b64 v[8:11], v36 offset0:13 offset1:14
	ds_read2st64_b64 v[0:3], v36 offset0:18 offset1:19
	ds_read_b64 v[36:37], v36 offset:10240
	s_load_dwordx2 s[4:5], s[4:5], 0x18
	s_waitcnt lgkmcnt(0)
	v_mov_b32_e32 v39, s5
	v_add_co_u32_e32 v38, vcc, s4, v50
	v_addc_co_u32_e32 v39, vcc, 0, v39, vcc
	s_and_saveexec_b64 s[4:5], s[0:1]
	s_cbranch_execnz .LBB38_68
; %bb.47:
	s_or_b64 exec, exec, s[4:5]
	s_and_saveexec_b64 s[0:1], s[2:3]
	s_cbranch_execnz .LBB38_69
.LBB38_48:
	s_or_b64 exec, exec, s[0:1]
	s_and_saveexec_b64 s[0:1], s[44:45]
	s_cbranch_execnz .LBB38_70
.LBB38_49:
	s_or_b64 exec, exec, s[0:1]
	s_and_saveexec_b64 s[0:1], s[6:7]
	s_cbranch_execnz .LBB38_71
.LBB38_50:
	s_or_b64 exec, exec, s[0:1]
	s_and_saveexec_b64 s[0:1], s[8:9]
	s_cbranch_execnz .LBB38_72
.LBB38_51:
	s_or_b64 exec, exec, s[0:1]
	s_and_saveexec_b64 s[0:1], s[10:11]
	s_cbranch_execnz .LBB38_73
.LBB38_52:
	s_or_b64 exec, exec, s[0:1]
	s_and_saveexec_b64 s[0:1], s[12:13]
	s_cbranch_execnz .LBB38_74
.LBB38_53:
	s_or_b64 exec, exec, s[0:1]
	s_and_saveexec_b64 s[0:1], s[14:15]
	s_cbranch_execnz .LBB38_75
.LBB38_54:
	s_or_b64 exec, exec, s[0:1]
	s_and_saveexec_b64 s[0:1], s[16:17]
	s_cbranch_execnz .LBB38_76
.LBB38_55:
	s_or_b64 exec, exec, s[0:1]
	s_and_saveexec_b64 s[0:1], s[18:19]
	s_cbranch_execnz .LBB38_77
.LBB38_56:
	s_or_b64 exec, exec, s[0:1]
	s_and_saveexec_b64 s[0:1], s[20:21]
	s_cbranch_execnz .LBB38_78
.LBB38_57:
	s_or_b64 exec, exec, s[0:1]
	s_and_saveexec_b64 s[0:1], s[22:23]
	s_cbranch_execnz .LBB38_79
.LBB38_58:
	s_or_b64 exec, exec, s[0:1]
	s_and_saveexec_b64 s[0:1], s[24:25]
	s_cbranch_execnz .LBB38_80
.LBB38_59:
	s_or_b64 exec, exec, s[0:1]
	s_and_saveexec_b64 s[0:1], s[26:27]
	s_cbranch_execnz .LBB38_81
.LBB38_60:
	s_or_b64 exec, exec, s[0:1]
	s_and_saveexec_b64 s[0:1], s[28:29]
	s_cbranch_execnz .LBB38_82
.LBB38_61:
	s_or_b64 exec, exec, s[0:1]
	s_and_saveexec_b64 s[0:1], s[30:31]
	s_cbranch_execnz .LBB38_83
.LBB38_62:
	s_or_b64 exec, exec, s[0:1]
	s_and_saveexec_b64 s[0:1], s[34:35]
	s_cbranch_execnz .LBB38_84
.LBB38_63:
	s_or_b64 exec, exec, s[0:1]
	s_and_saveexec_b64 s[0:1], s[36:37]
	s_cbranch_execnz .LBB38_85
.LBB38_64:
	s_or_b64 exec, exec, s[0:1]
	s_and_saveexec_b64 s[0:1], s[38:39]
	s_cbranch_execnz .LBB38_86
.LBB38_65:
	s_or_b64 exec, exec, s[0:1]
	s_and_saveexec_b64 s[0:1], s[40:41]
	s_cbranch_execnz .LBB38_87
.LBB38_66:
	s_or_b64 exec, exec, s[0:1]
	s_and_saveexec_b64 s[0:1], s[42:43]
	s_cbranch_execnz .LBB38_88
.LBB38_67:
	s_endpgm
.LBB38_68:
	ds_read_b64 v[42:43], v50
	s_waitcnt lgkmcnt(0)
	global_store_dwordx2 v[38:39], v[42:43], off
	s_or_b64 exec, exec, s[4:5]
	s_and_saveexec_b64 s[0:1], s[2:3]
	s_cbranch_execz .LBB38_48
.LBB38_69:
	global_store_dwordx2 v[38:39], v[32:33], off offset:512
	s_or_b64 exec, exec, s[0:1]
	s_and_saveexec_b64 s[0:1], s[44:45]
	s_cbranch_execz .LBB38_49
.LBB38_70:
	global_store_dwordx2 v[38:39], v[34:35], off offset:1024
	s_or_b64 exec, exec, s[0:1]
	s_and_saveexec_b64 s[0:1], s[6:7]
	s_cbranch_execz .LBB38_50
.LBB38_71:
	global_store_dwordx2 v[38:39], v[28:29], off offset:1536
	s_or_b64 exec, exec, s[0:1]
	s_and_saveexec_b64 s[0:1], s[8:9]
	s_cbranch_execz .LBB38_51
.LBB38_72:
	global_store_dwordx2 v[38:39], v[30:31], off offset:2048
	s_or_b64 exec, exec, s[0:1]
	s_and_saveexec_b64 s[0:1], s[10:11]
	s_cbranch_execz .LBB38_52
.LBB38_73:
	global_store_dwordx2 v[38:39], v[24:25], off offset:2560
	s_or_b64 exec, exec, s[0:1]
	s_and_saveexec_b64 s[0:1], s[12:13]
	s_cbranch_execz .LBB38_53
.LBB38_74:
	global_store_dwordx2 v[38:39], v[26:27], off offset:3072
	s_or_b64 exec, exec, s[0:1]
	s_and_saveexec_b64 s[0:1], s[14:15]
	s_cbranch_execz .LBB38_54
.LBB38_75:
	global_store_dwordx2 v[38:39], v[20:21], off offset:3584
	s_or_b64 exec, exec, s[0:1]
	s_and_saveexec_b64 s[0:1], s[16:17]
	s_cbranch_execz .LBB38_55
.LBB38_76:
	v_add_co_u32_e32 v20, vcc, 0x1000, v38
	v_addc_co_u32_e32 v21, vcc, 0, v39, vcc
	global_store_dwordx2 v[20:21], v[22:23], off
	s_or_b64 exec, exec, s[0:1]
	s_and_saveexec_b64 s[0:1], s[18:19]
	s_cbranch_execz .LBB38_56
.LBB38_77:
	v_add_co_u32_e32 v20, vcc, 0x1000, v38
	v_addc_co_u32_e32 v21, vcc, 0, v39, vcc
	global_store_dwordx2 v[20:21], v[16:17], off offset:512
	s_or_b64 exec, exec, s[0:1]
	s_and_saveexec_b64 s[0:1], s[20:21]
	s_cbranch_execz .LBB38_57
.LBB38_78:
	v_add_co_u32_e32 v16, vcc, 0x1000, v38
	v_addc_co_u32_e32 v17, vcc, 0, v39, vcc
	global_store_dwordx2 v[16:17], v[18:19], off offset:1024
	s_or_b64 exec, exec, s[0:1]
	s_and_saveexec_b64 s[0:1], s[22:23]
	s_cbranch_execz .LBB38_58
.LBB38_79:
	v_add_co_u32_e32 v16, vcc, 0x1000, v38
	v_addc_co_u32_e32 v17, vcc, 0, v39, vcc
	global_store_dwordx2 v[16:17], v[12:13], off offset:1536
	s_or_b64 exec, exec, s[0:1]
	s_and_saveexec_b64 s[0:1], s[24:25]
	s_cbranch_execz .LBB38_59
.LBB38_80:
	v_add_co_u32_e32 v12, vcc, 0x1000, v38
	v_addc_co_u32_e32 v13, vcc, 0, v39, vcc
	global_store_dwordx2 v[12:13], v[14:15], off offset:2048
	s_or_b64 exec, exec, s[0:1]
	s_and_saveexec_b64 s[0:1], s[26:27]
	s_cbranch_execz .LBB38_60
.LBB38_81:
	v_add_co_u32_e32 v12, vcc, 0x1000, v38
	v_addc_co_u32_e32 v13, vcc, 0, v39, vcc
	global_store_dwordx2 v[12:13], v[8:9], off offset:2560
	s_or_b64 exec, exec, s[0:1]
	s_and_saveexec_b64 s[0:1], s[28:29]
	s_cbranch_execz .LBB38_61
.LBB38_82:
	v_add_co_u32_e32 v8, vcc, 0x1000, v38
	v_addc_co_u32_e32 v9, vcc, 0, v39, vcc
	global_store_dwordx2 v[8:9], v[10:11], off offset:3072
	s_or_b64 exec, exec, s[0:1]
	s_and_saveexec_b64 s[0:1], s[30:31]
	s_cbranch_execz .LBB38_62
.LBB38_83:
	v_add_co_u32_e32 v8, vcc, 0x1000, v38
	v_addc_co_u32_e32 v9, vcc, 0, v39, vcc
	global_store_dwordx2 v[8:9], v[4:5], off offset:3584
	s_or_b64 exec, exec, s[0:1]
	s_and_saveexec_b64 s[0:1], s[34:35]
	s_cbranch_execz .LBB38_63
.LBB38_84:
	v_add_co_u32_e32 v4, vcc, 0x2000, v38
	v_addc_co_u32_e32 v5, vcc, 0, v39, vcc
	global_store_dwordx2 v[4:5], v[40:41], off
	s_or_b64 exec, exec, s[0:1]
	s_and_saveexec_b64 s[0:1], s[36:37]
	s_cbranch_execz .LBB38_64
.LBB38_85:
	v_add_co_u32_e32 v4, vcc, 0x2000, v38
	v_addc_co_u32_e32 v5, vcc, 0, v39, vcc
	global_store_dwordx2 v[4:5], v[6:7], off offset:512
	s_or_b64 exec, exec, s[0:1]
	s_and_saveexec_b64 s[0:1], s[38:39]
	s_cbranch_execz .LBB38_65
.LBB38_86:
	v_add_co_u32_e32 v4, vcc, 0x2000, v38
	v_addc_co_u32_e32 v5, vcc, 0, v39, vcc
	global_store_dwordx2 v[4:5], v[0:1], off offset:1024
	s_or_b64 exec, exec, s[0:1]
	s_and_saveexec_b64 s[0:1], s[40:41]
	s_cbranch_execz .LBB38_66
.LBB38_87:
	v_add_co_u32_e32 v0, vcc, 0x2000, v38
	v_addc_co_u32_e32 v1, vcc, 0, v39, vcc
	global_store_dwordx2 v[0:1], v[2:3], off offset:1536
	s_or_b64 exec, exec, s[0:1]
	s_and_saveexec_b64 s[0:1], s[42:43]
	s_cbranch_execz .LBB38_67
.LBB38_88:
	v_add_co_u32_e32 v0, vcc, 0x2000, v38
	v_addc_co_u32_e32 v1, vcc, 0, v39, vcc
	global_store_dwordx2 v[0:1], v[36:37], off offset:2048
	s_endpgm
	.section	.rodata,"a",@progbits
	.p2align	6, 0x0
	.amdhsa_kernel _ZN7rocprim6detail18single_scan_kernelILb0ENS0_19wrapped_scan_configINS_14default_configEyEEPyS5_N6hipcub3MinEyyEEvT1_mT4_T2_T3_
		.amdhsa_group_segment_fixed_size 10752
		.amdhsa_private_segment_fixed_size 0
		.amdhsa_kernarg_size 36
		.amdhsa_user_sgpr_count 6
		.amdhsa_user_sgpr_private_segment_buffer 1
		.amdhsa_user_sgpr_dispatch_ptr 0
		.amdhsa_user_sgpr_queue_ptr 0
		.amdhsa_user_sgpr_kernarg_segment_ptr 1
		.amdhsa_user_sgpr_dispatch_id 0
		.amdhsa_user_sgpr_flat_scratch_init 0
		.amdhsa_user_sgpr_kernarg_preload_length 0
		.amdhsa_user_sgpr_kernarg_preload_offset 0
		.amdhsa_user_sgpr_private_segment_size 0
		.amdhsa_uses_dynamic_stack 0
		.amdhsa_system_sgpr_private_segment_wavefront_offset 0
		.amdhsa_system_sgpr_workgroup_id_x 1
		.amdhsa_system_sgpr_workgroup_id_y 0
		.amdhsa_system_sgpr_workgroup_id_z 0
		.amdhsa_system_sgpr_workgroup_info 0
		.amdhsa_system_vgpr_workitem_id 0
		.amdhsa_next_free_vgpr 55
		.amdhsa_next_free_sgpr 50
		.amdhsa_accum_offset 56
		.amdhsa_reserve_vcc 1
		.amdhsa_reserve_flat_scratch 0
		.amdhsa_float_round_mode_32 0
		.amdhsa_float_round_mode_16_64 0
		.amdhsa_float_denorm_mode_32 3
		.amdhsa_float_denorm_mode_16_64 3
		.amdhsa_dx10_clamp 1
		.amdhsa_ieee_mode 1
		.amdhsa_fp16_overflow 0
		.amdhsa_tg_split 0
		.amdhsa_exception_fp_ieee_invalid_op 0
		.amdhsa_exception_fp_denorm_src 0
		.amdhsa_exception_fp_ieee_div_zero 0
		.amdhsa_exception_fp_ieee_overflow 0
		.amdhsa_exception_fp_ieee_underflow 0
		.amdhsa_exception_fp_ieee_inexact 0
		.amdhsa_exception_int_div_zero 0
	.end_amdhsa_kernel
	.section	.text._ZN7rocprim6detail18single_scan_kernelILb0ENS0_19wrapped_scan_configINS_14default_configEyEEPyS5_N6hipcub3MinEyyEEvT1_mT4_T2_T3_,"axG",@progbits,_ZN7rocprim6detail18single_scan_kernelILb0ENS0_19wrapped_scan_configINS_14default_configEyEEPyS5_N6hipcub3MinEyyEEvT1_mT4_T2_T3_,comdat
.Lfunc_end38:
	.size	_ZN7rocprim6detail18single_scan_kernelILb0ENS0_19wrapped_scan_configINS_14default_configEyEEPyS5_N6hipcub3MinEyyEEvT1_mT4_T2_T3_, .Lfunc_end38-_ZN7rocprim6detail18single_scan_kernelILb0ENS0_19wrapped_scan_configINS_14default_configEyEEPyS5_N6hipcub3MinEyyEEvT1_mT4_T2_T3_
                                        ; -- End function
	.section	.AMDGPU.csdata,"",@progbits
; Kernel info:
; codeLenInByte = 3280
; NumSgprs: 54
; NumVgprs: 55
; NumAgprs: 0
; TotalNumVgprs: 55
; ScratchSize: 0
; MemoryBound: 0
; FloatMode: 240
; IeeeMode: 1
; LDSByteSize: 10752 bytes/workgroup (compile time only)
; SGPRBlocks: 6
; VGPRBlocks: 6
; NumSGPRsForWavesPerEU: 54
; NumVGPRsForWavesPerEU: 55
; AccumOffset: 56
; Occupancy: 2
; WaveLimiterHint : 0
; COMPUTE_PGM_RSRC2:SCRATCH_EN: 0
; COMPUTE_PGM_RSRC2:USER_SGPR: 6
; COMPUTE_PGM_RSRC2:TRAP_HANDLER: 0
; COMPUTE_PGM_RSRC2:TGID_X_EN: 1
; COMPUTE_PGM_RSRC2:TGID_Y_EN: 0
; COMPUTE_PGM_RSRC2:TGID_Z_EN: 0
; COMPUTE_PGM_RSRC2:TIDIG_COMP_CNT: 0
; COMPUTE_PGM_RSRC3_GFX90A:ACCUM_OFFSET: 13
; COMPUTE_PGM_RSRC3_GFX90A:TG_SPLIT: 0
	.section	.text._ZN7rocprim6detail31init_lookback_scan_state_kernelINS0_19lookback_scan_stateINS_5tupleIJibEEELb1ELb1EEEEEvT_jjPNS6_10value_typeE,"axG",@progbits,_ZN7rocprim6detail31init_lookback_scan_state_kernelINS0_19lookback_scan_stateINS_5tupleIJibEEELb1ELb1EEEEEvT_jjPNS6_10value_typeE,comdat
	.protected	_ZN7rocprim6detail31init_lookback_scan_state_kernelINS0_19lookback_scan_stateINS_5tupleIJibEEELb1ELb1EEEEEvT_jjPNS6_10value_typeE ; -- Begin function _ZN7rocprim6detail31init_lookback_scan_state_kernelINS0_19lookback_scan_stateINS_5tupleIJibEEELb1ELb1EEEEEvT_jjPNS6_10value_typeE
	.globl	_ZN7rocprim6detail31init_lookback_scan_state_kernelINS0_19lookback_scan_stateINS_5tupleIJibEEELb1ELb1EEEEEvT_jjPNS6_10value_typeE
	.p2align	8
	.type	_ZN7rocprim6detail31init_lookback_scan_state_kernelINS0_19lookback_scan_stateINS_5tupleIJibEEELb1ELb1EEEEEvT_jjPNS6_10value_typeE,@function
_ZN7rocprim6detail31init_lookback_scan_state_kernelINS0_19lookback_scan_stateINS_5tupleIJibEEELb1ELb1EEEEEvT_jjPNS6_10value_typeE: ; @_ZN7rocprim6detail31init_lookback_scan_state_kernelINS0_19lookback_scan_stateINS_5tupleIJibEEELb1ELb1EEEEEvT_jjPNS6_10value_typeE
; %bb.0:
	s_load_dword s7, s[4:5], 0x24
	s_load_dwordx2 s[8:9], s[4:5], 0x10
	s_load_dwordx4 s[0:3], s[4:5], 0x0
	s_waitcnt lgkmcnt(0)
	s_and_b32 s4, s7, 0xffff
	s_mul_i32 s6, s6, s4
	s_cmp_eq_u64 s[8:9], 0
	v_add_u32_e32 v0, s6, v0
	s_cbranch_scc1 .LBB39_10
; %bb.1:
	s_cmp_lt_u32 s3, s2
	s_cselect_b32 s4, s3, 0
	s_mov_b32 s7, 0
	v_cmp_eq_u32_e32 vcc, s4, v0
	s_and_saveexec_b64 s[4:5], vcc
	s_cbranch_execz .LBB39_9
; %bb.2:
	s_add_i32 s6, s3, 64
	s_lshl_b64 s[6:7], s[6:7], 4
	s_add_u32 s12, s0, s6
	s_addc_u32 s13, s1, s7
	v_pk_mov_b32 v[2:3], s[12:13], s[12:13] op_sel:[0,1]
	;;#ASMSTART
	global_load_dwordx4 v[2:5], v[2:3] off glc	
s_waitcnt vmcnt(0)
	;;#ASMEND
	v_mov_b32_e32 v7, 0
	v_and_b32_e32 v6, 0xff, v4
	s_mov_b64 s[10:11], 0
	v_cmp_eq_u64_e32 vcc, 0, v[6:7]
	s_and_saveexec_b64 s[6:7], vcc
	s_cbranch_execz .LBB39_8
; %bb.3:
	s_mov_b32 s3, 1
	v_pk_mov_b32 v[8:9], s[12:13], s[12:13] op_sel:[0,1]
.LBB39_4:                               ; =>This Loop Header: Depth=1
                                        ;     Child Loop BB39_5 Depth 2
	s_max_u32 s12, s3, 1
.LBB39_5:                               ;   Parent Loop BB39_4 Depth=1
                                        ; =>  This Inner Loop Header: Depth=2
	s_add_i32 s12, s12, -1
	s_cmp_eq_u32 s12, 0
	s_sleep 1
	s_cbranch_scc0 .LBB39_5
; %bb.6:                                ;   in Loop: Header=BB39_4 Depth=1
	s_cmp_lt_u32 s3, 32
	s_cselect_b64 s[12:13], -1, 0
	s_cmp_lg_u64 s[12:13], 0
	;;#ASMSTART
	global_load_dwordx4 v[2:5], v[8:9] off glc	
s_waitcnt vmcnt(0)
	;;#ASMEND
	v_and_b32_e32 v6, 0xff, v4
	s_addc_u32 s3, s3, 0
	v_cmp_ne_u64_e32 vcc, 0, v[6:7]
	s_or_b64 s[10:11], vcc, s[10:11]
	s_andn2_b64 exec, exec, s[10:11]
	s_cbranch_execnz .LBB39_4
; %bb.7:
	s_or_b64 exec, exec, s[10:11]
.LBB39_8:
	s_or_b64 exec, exec, s[6:7]
	v_mov_b32_e32 v1, 0
	global_store_dword v1, v2, s[8:9]
	global_store_byte v1, v3, s[8:9] offset:4
.LBB39_9:
	s_or_b64 exec, exec, s[4:5]
.LBB39_10:
	v_cmp_gt_u32_e32 vcc, s2, v0
	s_and_saveexec_b64 s[2:3], vcc
	s_cbranch_execnz .LBB39_13
; %bb.11:
	s_or_b64 exec, exec, s[2:3]
	v_cmp_gt_u32_e32 vcc, 64, v0
	s_and_saveexec_b64 s[2:3], vcc
	s_cbranch_execnz .LBB39_14
.LBB39_12:
	s_endpgm
.LBB39_13:
	v_add_u32_e32 v2, 64, v0
	v_mov_b32_e32 v3, 0
	v_lshlrev_b64 v[4:5], 4, v[2:3]
	v_mov_b32_e32 v1, s1
	v_add_co_u32_e32 v6, vcc, s0, v4
	v_addc_co_u32_e32 v7, vcc, v1, v5, vcc
	v_mov_b32_e32 v2, v3
	v_mov_b32_e32 v4, v3
	;; [unrolled: 1-line block ×3, first 2 shown]
	global_store_dwordx4 v[6:7], v[2:5], off
	s_or_b64 exec, exec, s[2:3]
	v_cmp_gt_u32_e32 vcc, 64, v0
	s_and_saveexec_b64 s[2:3], vcc
	s_cbranch_execz .LBB39_12
.LBB39_14:
	v_mov_b32_e32 v1, 0
	v_lshlrev_b64 v[2:3], 4, v[0:1]
	v_mov_b32_e32 v0, s1
	v_add_co_u32_e32 v4, vcc, s0, v2
	v_addc_co_u32_e32 v5, vcc, v0, v3, vcc
	v_mov_b32_e32 v2, 0xff
	v_mov_b32_e32 v0, v1
	;; [unrolled: 1-line block ×3, first 2 shown]
	global_store_dwordx4 v[4:5], v[0:3], off
	s_endpgm
	.section	.rodata,"a",@progbits
	.p2align	6, 0x0
	.amdhsa_kernel _ZN7rocprim6detail31init_lookback_scan_state_kernelINS0_19lookback_scan_stateINS_5tupleIJibEEELb1ELb1EEEEEvT_jjPNS6_10value_typeE
		.amdhsa_group_segment_fixed_size 0
		.amdhsa_private_segment_fixed_size 0
		.amdhsa_kernarg_size 280
		.amdhsa_user_sgpr_count 6
		.amdhsa_user_sgpr_private_segment_buffer 1
		.amdhsa_user_sgpr_dispatch_ptr 0
		.amdhsa_user_sgpr_queue_ptr 0
		.amdhsa_user_sgpr_kernarg_segment_ptr 1
		.amdhsa_user_sgpr_dispatch_id 0
		.amdhsa_user_sgpr_flat_scratch_init 0
		.amdhsa_user_sgpr_kernarg_preload_length 0
		.amdhsa_user_sgpr_kernarg_preload_offset 0
		.amdhsa_user_sgpr_private_segment_size 0
		.amdhsa_uses_dynamic_stack 0
		.amdhsa_system_sgpr_private_segment_wavefront_offset 0
		.amdhsa_system_sgpr_workgroup_id_x 1
		.amdhsa_system_sgpr_workgroup_id_y 0
		.amdhsa_system_sgpr_workgroup_id_z 0
		.amdhsa_system_sgpr_workgroup_info 0
		.amdhsa_system_vgpr_workitem_id 0
		.amdhsa_next_free_vgpr 10
		.amdhsa_next_free_sgpr 14
		.amdhsa_accum_offset 12
		.amdhsa_reserve_vcc 1
		.amdhsa_reserve_flat_scratch 0
		.amdhsa_float_round_mode_32 0
		.amdhsa_float_round_mode_16_64 0
		.amdhsa_float_denorm_mode_32 3
		.amdhsa_float_denorm_mode_16_64 3
		.amdhsa_dx10_clamp 1
		.amdhsa_ieee_mode 1
		.amdhsa_fp16_overflow 0
		.amdhsa_tg_split 0
		.amdhsa_exception_fp_ieee_invalid_op 0
		.amdhsa_exception_fp_denorm_src 0
		.amdhsa_exception_fp_ieee_div_zero 0
		.amdhsa_exception_fp_ieee_overflow 0
		.amdhsa_exception_fp_ieee_underflow 0
		.amdhsa_exception_fp_ieee_inexact 0
		.amdhsa_exception_int_div_zero 0
	.end_amdhsa_kernel
	.section	.text._ZN7rocprim6detail31init_lookback_scan_state_kernelINS0_19lookback_scan_stateINS_5tupleIJibEEELb1ELb1EEEEEvT_jjPNS6_10value_typeE,"axG",@progbits,_ZN7rocprim6detail31init_lookback_scan_state_kernelINS0_19lookback_scan_stateINS_5tupleIJibEEELb1ELb1EEEEEvT_jjPNS6_10value_typeE,comdat
.Lfunc_end39:
	.size	_ZN7rocprim6detail31init_lookback_scan_state_kernelINS0_19lookback_scan_stateINS_5tupleIJibEEELb1ELb1EEEEEvT_jjPNS6_10value_typeE, .Lfunc_end39-_ZN7rocprim6detail31init_lookback_scan_state_kernelINS0_19lookback_scan_stateINS_5tupleIJibEEELb1ELb1EEEEEvT_jjPNS6_10value_typeE
                                        ; -- End function
	.section	.AMDGPU.csdata,"",@progbits
; Kernel info:
; codeLenInByte = 412
; NumSgprs: 18
; NumVgprs: 10
; NumAgprs: 0
; TotalNumVgprs: 10
; ScratchSize: 0
; MemoryBound: 0
; FloatMode: 240
; IeeeMode: 1
; LDSByteSize: 0 bytes/workgroup (compile time only)
; SGPRBlocks: 2
; VGPRBlocks: 1
; NumSGPRsForWavesPerEU: 18
; NumVGPRsForWavesPerEU: 10
; AccumOffset: 12
; Occupancy: 8
; WaveLimiterHint : 0
; COMPUTE_PGM_RSRC2:SCRATCH_EN: 0
; COMPUTE_PGM_RSRC2:USER_SGPR: 6
; COMPUTE_PGM_RSRC2:TRAP_HANDLER: 0
; COMPUTE_PGM_RSRC2:TGID_X_EN: 1
; COMPUTE_PGM_RSRC2:TGID_Y_EN: 0
; COMPUTE_PGM_RSRC2:TGID_Z_EN: 0
; COMPUTE_PGM_RSRC2:TIDIG_COMP_CNT: 0
; COMPUTE_PGM_RSRC3_GFX90A:ACCUM_OFFSET: 2
; COMPUTE_PGM_RSRC3_GFX90A:TG_SPLIT: 0
	.section	.text._ZN7rocprim6detail31init_lookback_scan_state_kernelINS0_19lookback_scan_stateINS_5tupleIJibEEELb0ELb1EEEEEvT_jjPNS6_10value_typeE,"axG",@progbits,_ZN7rocprim6detail31init_lookback_scan_state_kernelINS0_19lookback_scan_stateINS_5tupleIJibEEELb0ELb1EEEEEvT_jjPNS6_10value_typeE,comdat
	.protected	_ZN7rocprim6detail31init_lookback_scan_state_kernelINS0_19lookback_scan_stateINS_5tupleIJibEEELb0ELb1EEEEEvT_jjPNS6_10value_typeE ; -- Begin function _ZN7rocprim6detail31init_lookback_scan_state_kernelINS0_19lookback_scan_stateINS_5tupleIJibEEELb0ELb1EEEEEvT_jjPNS6_10value_typeE
	.globl	_ZN7rocprim6detail31init_lookback_scan_state_kernelINS0_19lookback_scan_stateINS_5tupleIJibEEELb0ELb1EEEEEvT_jjPNS6_10value_typeE
	.p2align	8
	.type	_ZN7rocprim6detail31init_lookback_scan_state_kernelINS0_19lookback_scan_stateINS_5tupleIJibEEELb0ELb1EEEEEvT_jjPNS6_10value_typeE,@function
_ZN7rocprim6detail31init_lookback_scan_state_kernelINS0_19lookback_scan_stateINS_5tupleIJibEEELb0ELb1EEEEEvT_jjPNS6_10value_typeE: ; @_ZN7rocprim6detail31init_lookback_scan_state_kernelINS0_19lookback_scan_stateINS_5tupleIJibEEELb0ELb1EEEEEvT_jjPNS6_10value_typeE
; %bb.0:
	s_load_dword s7, s[4:5], 0x24
	s_load_dwordx2 s[8:9], s[4:5], 0x10
	s_load_dwordx4 s[0:3], s[4:5], 0x0
	s_waitcnt lgkmcnt(0)
	s_and_b32 s4, s7, 0xffff
	s_mul_i32 s6, s6, s4
	s_cmp_eq_u64 s[8:9], 0
	v_add_u32_e32 v0, s6, v0
	s_cbranch_scc1 .LBB40_8
; %bb.1:
	s_cmp_lt_u32 s3, s2
	s_cselect_b32 s4, s3, 0
	s_mov_b32 s7, 0
	v_cmp_eq_u32_e32 vcc, s4, v0
	s_and_saveexec_b64 s[4:5], vcc
	s_cbranch_execz .LBB40_7
; %bb.2:
	s_add_i32 s6, s3, 64
	s_lshl_b64 s[6:7], s[6:7], 4
	s_add_u32 s12, s0, s6
	s_addc_u32 s13, s1, s7
	v_pk_mov_b32 v[2:3], s[12:13], s[12:13] op_sel:[0,1]
	;;#ASMSTART
	global_load_dwordx4 v[2:5], v[2:3] off glc	
s_waitcnt vmcnt(0)
	;;#ASMEND
	v_mov_b32_e32 v7, 0
	v_and_b32_e32 v6, 0xff, v4
	s_mov_b64 s[10:11], 0
	v_cmp_eq_u64_e32 vcc, 0, v[6:7]
	s_and_saveexec_b64 s[6:7], vcc
	s_cbranch_execz .LBB40_6
; %bb.3:
	v_pk_mov_b32 v[8:9], s[12:13], s[12:13] op_sel:[0,1]
.LBB40_4:                               ; =>This Inner Loop Header: Depth=1
	;;#ASMSTART
	global_load_dwordx4 v[2:5], v[8:9] off glc	
s_waitcnt vmcnt(0)
	;;#ASMEND
	v_and_b32_e32 v6, 0xff, v4
	v_cmp_ne_u64_e32 vcc, 0, v[6:7]
	s_or_b64 s[10:11], vcc, s[10:11]
	s_andn2_b64 exec, exec, s[10:11]
	s_cbranch_execnz .LBB40_4
; %bb.5:
	s_or_b64 exec, exec, s[10:11]
.LBB40_6:
	s_or_b64 exec, exec, s[6:7]
	v_mov_b32_e32 v1, 0
	global_store_dword v1, v2, s[8:9]
	global_store_byte v1, v3, s[8:9] offset:4
.LBB40_7:
	s_or_b64 exec, exec, s[4:5]
.LBB40_8:
	v_cmp_gt_u32_e32 vcc, s2, v0
	s_and_saveexec_b64 s[2:3], vcc
	s_cbranch_execnz .LBB40_11
; %bb.9:
	s_or_b64 exec, exec, s[2:3]
	v_cmp_gt_u32_e32 vcc, 64, v0
	s_and_saveexec_b64 s[2:3], vcc
	s_cbranch_execnz .LBB40_12
.LBB40_10:
	s_endpgm
.LBB40_11:
	v_add_u32_e32 v2, 64, v0
	v_mov_b32_e32 v3, 0
	v_lshlrev_b64 v[4:5], 4, v[2:3]
	v_mov_b32_e32 v1, s1
	v_add_co_u32_e32 v6, vcc, s0, v4
	v_addc_co_u32_e32 v7, vcc, v1, v5, vcc
	v_mov_b32_e32 v2, v3
	v_mov_b32_e32 v4, v3
	;; [unrolled: 1-line block ×3, first 2 shown]
	global_store_dwordx4 v[6:7], v[2:5], off
	s_or_b64 exec, exec, s[2:3]
	v_cmp_gt_u32_e32 vcc, 64, v0
	s_and_saveexec_b64 s[2:3], vcc
	s_cbranch_execz .LBB40_10
.LBB40_12:
	v_mov_b32_e32 v1, 0
	v_lshlrev_b64 v[2:3], 4, v[0:1]
	v_mov_b32_e32 v0, s1
	v_add_co_u32_e32 v4, vcc, s0, v2
	v_addc_co_u32_e32 v5, vcc, v0, v3, vcc
	v_mov_b32_e32 v2, 0xff
	v_mov_b32_e32 v0, v1
	;; [unrolled: 1-line block ×3, first 2 shown]
	global_store_dwordx4 v[4:5], v[0:3], off
	s_endpgm
	.section	.rodata,"a",@progbits
	.p2align	6, 0x0
	.amdhsa_kernel _ZN7rocprim6detail31init_lookback_scan_state_kernelINS0_19lookback_scan_stateINS_5tupleIJibEEELb0ELb1EEEEEvT_jjPNS6_10value_typeE
		.amdhsa_group_segment_fixed_size 0
		.amdhsa_private_segment_fixed_size 0
		.amdhsa_kernarg_size 280
		.amdhsa_user_sgpr_count 6
		.amdhsa_user_sgpr_private_segment_buffer 1
		.amdhsa_user_sgpr_dispatch_ptr 0
		.amdhsa_user_sgpr_queue_ptr 0
		.amdhsa_user_sgpr_kernarg_segment_ptr 1
		.amdhsa_user_sgpr_dispatch_id 0
		.amdhsa_user_sgpr_flat_scratch_init 0
		.amdhsa_user_sgpr_kernarg_preload_length 0
		.amdhsa_user_sgpr_kernarg_preload_offset 0
		.amdhsa_user_sgpr_private_segment_size 0
		.amdhsa_uses_dynamic_stack 0
		.amdhsa_system_sgpr_private_segment_wavefront_offset 0
		.amdhsa_system_sgpr_workgroup_id_x 1
		.amdhsa_system_sgpr_workgroup_id_y 0
		.amdhsa_system_sgpr_workgroup_id_z 0
		.amdhsa_system_sgpr_workgroup_info 0
		.amdhsa_system_vgpr_workitem_id 0
		.amdhsa_next_free_vgpr 10
		.amdhsa_next_free_sgpr 14
		.amdhsa_accum_offset 12
		.amdhsa_reserve_vcc 1
		.amdhsa_reserve_flat_scratch 0
		.amdhsa_float_round_mode_32 0
		.amdhsa_float_round_mode_16_64 0
		.amdhsa_float_denorm_mode_32 3
		.amdhsa_float_denorm_mode_16_64 3
		.amdhsa_dx10_clamp 1
		.amdhsa_ieee_mode 1
		.amdhsa_fp16_overflow 0
		.amdhsa_tg_split 0
		.amdhsa_exception_fp_ieee_invalid_op 0
		.amdhsa_exception_fp_denorm_src 0
		.amdhsa_exception_fp_ieee_div_zero 0
		.amdhsa_exception_fp_ieee_overflow 0
		.amdhsa_exception_fp_ieee_underflow 0
		.amdhsa_exception_fp_ieee_inexact 0
		.amdhsa_exception_int_div_zero 0
	.end_amdhsa_kernel
	.section	.text._ZN7rocprim6detail31init_lookback_scan_state_kernelINS0_19lookback_scan_stateINS_5tupleIJibEEELb0ELb1EEEEEvT_jjPNS6_10value_typeE,"axG",@progbits,_ZN7rocprim6detail31init_lookback_scan_state_kernelINS0_19lookback_scan_stateINS_5tupleIJibEEELb0ELb1EEEEEvT_jjPNS6_10value_typeE,comdat
.Lfunc_end40:
	.size	_ZN7rocprim6detail31init_lookback_scan_state_kernelINS0_19lookback_scan_stateINS_5tupleIJibEEELb0ELb1EEEEEvT_jjPNS6_10value_typeE, .Lfunc_end40-_ZN7rocprim6detail31init_lookback_scan_state_kernelINS0_19lookback_scan_stateINS_5tupleIJibEEELb0ELb1EEEEEvT_jjPNS6_10value_typeE
                                        ; -- End function
	.section	.AMDGPU.csdata,"",@progbits
; Kernel info:
; codeLenInByte = 372
; NumSgprs: 18
; NumVgprs: 10
; NumAgprs: 0
; TotalNumVgprs: 10
; ScratchSize: 0
; MemoryBound: 0
; FloatMode: 240
; IeeeMode: 1
; LDSByteSize: 0 bytes/workgroup (compile time only)
; SGPRBlocks: 2
; VGPRBlocks: 1
; NumSGPRsForWavesPerEU: 18
; NumVGPRsForWavesPerEU: 10
; AccumOffset: 12
; Occupancy: 8
; WaveLimiterHint : 0
; COMPUTE_PGM_RSRC2:SCRATCH_EN: 0
; COMPUTE_PGM_RSRC2:USER_SGPR: 6
; COMPUTE_PGM_RSRC2:TRAP_HANDLER: 0
; COMPUTE_PGM_RSRC2:TGID_X_EN: 1
; COMPUTE_PGM_RSRC2:TGID_Y_EN: 0
; COMPUTE_PGM_RSRC2:TGID_Z_EN: 0
; COMPUTE_PGM_RSRC2:TIDIG_COMP_CNT: 0
; COMPUTE_PGM_RSRC3_GFX90A:ACCUM_OFFSET: 2
; COMPUTE_PGM_RSRC3_GFX90A:TG_SPLIT: 0
	.section	.text._ZN7rocprim6detail25device_scan_by_key_kernelILNS0_25lookback_scan_determinismE0ELb0ENS0_26wrapped_scan_by_key_configINS_14default_configEiiEEPiN6hipcub22TransformInputIteratorIiNS7_6CastOpIiEES6_lEEPliNS7_8EqualityENS7_3SumENS0_19lookback_scan_stateINS_5tupleIJibEEELb1ELb1EEEiEEvT2_T3_T4_T5_T6_T7_T8_mmmPKNSG_IJT9_bEEE,"axG",@progbits,_ZN7rocprim6detail25device_scan_by_key_kernelILNS0_25lookback_scan_determinismE0ELb0ENS0_26wrapped_scan_by_key_configINS_14default_configEiiEEPiN6hipcub22TransformInputIteratorIiNS7_6CastOpIiEES6_lEEPliNS7_8EqualityENS7_3SumENS0_19lookback_scan_stateINS_5tupleIJibEEELb1ELb1EEEiEEvT2_T3_T4_T5_T6_T7_T8_mmmPKNSG_IJT9_bEEE,comdat
	.protected	_ZN7rocprim6detail25device_scan_by_key_kernelILNS0_25lookback_scan_determinismE0ELb0ENS0_26wrapped_scan_by_key_configINS_14default_configEiiEEPiN6hipcub22TransformInputIteratorIiNS7_6CastOpIiEES6_lEEPliNS7_8EqualityENS7_3SumENS0_19lookback_scan_stateINS_5tupleIJibEEELb1ELb1EEEiEEvT2_T3_T4_T5_T6_T7_T8_mmmPKNSG_IJT9_bEEE ; -- Begin function _ZN7rocprim6detail25device_scan_by_key_kernelILNS0_25lookback_scan_determinismE0ELb0ENS0_26wrapped_scan_by_key_configINS_14default_configEiiEEPiN6hipcub22TransformInputIteratorIiNS7_6CastOpIiEES6_lEEPliNS7_8EqualityENS7_3SumENS0_19lookback_scan_stateINS_5tupleIJibEEELb1ELb1EEEiEEvT2_T3_T4_T5_T6_T7_T8_mmmPKNSG_IJT9_bEEE
	.globl	_ZN7rocprim6detail25device_scan_by_key_kernelILNS0_25lookback_scan_determinismE0ELb0ENS0_26wrapped_scan_by_key_configINS_14default_configEiiEEPiN6hipcub22TransformInputIteratorIiNS7_6CastOpIiEES6_lEEPliNS7_8EqualityENS7_3SumENS0_19lookback_scan_stateINS_5tupleIJibEEELb1ELb1EEEiEEvT2_T3_T4_T5_T6_T7_T8_mmmPKNSG_IJT9_bEEE
	.p2align	8
	.type	_ZN7rocprim6detail25device_scan_by_key_kernelILNS0_25lookback_scan_determinismE0ELb0ENS0_26wrapped_scan_by_key_configINS_14default_configEiiEEPiN6hipcub22TransformInputIteratorIiNS7_6CastOpIiEES6_lEEPliNS7_8EqualityENS7_3SumENS0_19lookback_scan_stateINS_5tupleIJibEEELb1ELb1EEEiEEvT2_T3_T4_T5_T6_T7_T8_mmmPKNSG_IJT9_bEEE,@function
_ZN7rocprim6detail25device_scan_by_key_kernelILNS0_25lookback_scan_determinismE0ELb0ENS0_26wrapped_scan_by_key_configINS_14default_configEiiEEPiN6hipcub22TransformInputIteratorIiNS7_6CastOpIiEES6_lEEPliNS7_8EqualityENS7_3SumENS0_19lookback_scan_stateINS_5tupleIJibEEELb1ELb1EEEiEEvT2_T3_T4_T5_T6_T7_T8_mmmPKNSG_IJT9_bEEE: ; @_ZN7rocprim6detail25device_scan_by_key_kernelILNS0_25lookback_scan_determinismE0ELb0ENS0_26wrapped_scan_by_key_configINS_14default_configEiiEEPiN6hipcub22TransformInputIteratorIiNS7_6CastOpIiEES6_lEEPliNS7_8EqualityENS7_3SumENS0_19lookback_scan_stateINS_5tupleIJibEEELb1ELb1EEEiEEvT2_T3_T4_T5_T6_T7_T8_mmmPKNSG_IJT9_bEEE
; %bb.0:
	s_endpgm
	.section	.rodata,"a",@progbits
	.p2align	6, 0x0
	.amdhsa_kernel _ZN7rocprim6detail25device_scan_by_key_kernelILNS0_25lookback_scan_determinismE0ELb0ENS0_26wrapped_scan_by_key_configINS_14default_configEiiEEPiN6hipcub22TransformInputIteratorIiNS7_6CastOpIiEES6_lEEPliNS7_8EqualityENS7_3SumENS0_19lookback_scan_stateINS_5tupleIJibEEELb1ELb1EEEiEEvT2_T3_T4_T5_T6_T7_T8_mmmPKNSG_IJT9_bEEE
		.amdhsa_group_segment_fixed_size 0
		.amdhsa_private_segment_fixed_size 0
		.amdhsa_kernarg_size 80
		.amdhsa_user_sgpr_count 6
		.amdhsa_user_sgpr_private_segment_buffer 1
		.amdhsa_user_sgpr_dispatch_ptr 0
		.amdhsa_user_sgpr_queue_ptr 0
		.amdhsa_user_sgpr_kernarg_segment_ptr 1
		.amdhsa_user_sgpr_dispatch_id 0
		.amdhsa_user_sgpr_flat_scratch_init 0
		.amdhsa_user_sgpr_kernarg_preload_length 0
		.amdhsa_user_sgpr_kernarg_preload_offset 0
		.amdhsa_user_sgpr_private_segment_size 0
		.amdhsa_uses_dynamic_stack 0
		.amdhsa_system_sgpr_private_segment_wavefront_offset 0
		.amdhsa_system_sgpr_workgroup_id_x 1
		.amdhsa_system_sgpr_workgroup_id_y 0
		.amdhsa_system_sgpr_workgroup_id_z 0
		.amdhsa_system_sgpr_workgroup_info 0
		.amdhsa_system_vgpr_workitem_id 0
		.amdhsa_next_free_vgpr 1
		.amdhsa_next_free_sgpr 0
		.amdhsa_accum_offset 4
		.amdhsa_reserve_vcc 0
		.amdhsa_reserve_flat_scratch 0
		.amdhsa_float_round_mode_32 0
		.amdhsa_float_round_mode_16_64 0
		.amdhsa_float_denorm_mode_32 3
		.amdhsa_float_denorm_mode_16_64 3
		.amdhsa_dx10_clamp 1
		.amdhsa_ieee_mode 1
		.amdhsa_fp16_overflow 0
		.amdhsa_tg_split 0
		.amdhsa_exception_fp_ieee_invalid_op 0
		.amdhsa_exception_fp_denorm_src 0
		.amdhsa_exception_fp_ieee_div_zero 0
		.amdhsa_exception_fp_ieee_overflow 0
		.amdhsa_exception_fp_ieee_underflow 0
		.amdhsa_exception_fp_ieee_inexact 0
		.amdhsa_exception_int_div_zero 0
	.end_amdhsa_kernel
	.section	.text._ZN7rocprim6detail25device_scan_by_key_kernelILNS0_25lookback_scan_determinismE0ELb0ENS0_26wrapped_scan_by_key_configINS_14default_configEiiEEPiN6hipcub22TransformInputIteratorIiNS7_6CastOpIiEES6_lEEPliNS7_8EqualityENS7_3SumENS0_19lookback_scan_stateINS_5tupleIJibEEELb1ELb1EEEiEEvT2_T3_T4_T5_T6_T7_T8_mmmPKNSG_IJT9_bEEE,"axG",@progbits,_ZN7rocprim6detail25device_scan_by_key_kernelILNS0_25lookback_scan_determinismE0ELb0ENS0_26wrapped_scan_by_key_configINS_14default_configEiiEEPiN6hipcub22TransformInputIteratorIiNS7_6CastOpIiEES6_lEEPliNS7_8EqualityENS7_3SumENS0_19lookback_scan_stateINS_5tupleIJibEEELb1ELb1EEEiEEvT2_T3_T4_T5_T6_T7_T8_mmmPKNSG_IJT9_bEEE,comdat
.Lfunc_end41:
	.size	_ZN7rocprim6detail25device_scan_by_key_kernelILNS0_25lookback_scan_determinismE0ELb0ENS0_26wrapped_scan_by_key_configINS_14default_configEiiEEPiN6hipcub22TransformInputIteratorIiNS7_6CastOpIiEES6_lEEPliNS7_8EqualityENS7_3SumENS0_19lookback_scan_stateINS_5tupleIJibEEELb1ELb1EEEiEEvT2_T3_T4_T5_T6_T7_T8_mmmPKNSG_IJT9_bEEE, .Lfunc_end41-_ZN7rocprim6detail25device_scan_by_key_kernelILNS0_25lookback_scan_determinismE0ELb0ENS0_26wrapped_scan_by_key_configINS_14default_configEiiEEPiN6hipcub22TransformInputIteratorIiNS7_6CastOpIiEES6_lEEPliNS7_8EqualityENS7_3SumENS0_19lookback_scan_stateINS_5tupleIJibEEELb1ELb1EEEiEEvT2_T3_T4_T5_T6_T7_T8_mmmPKNSG_IJT9_bEEE
                                        ; -- End function
	.section	.AMDGPU.csdata,"",@progbits
; Kernel info:
; codeLenInByte = 4
; NumSgprs: 4
; NumVgprs: 0
; NumAgprs: 0
; TotalNumVgprs: 0
; ScratchSize: 0
; MemoryBound: 0
; FloatMode: 240
; IeeeMode: 1
; LDSByteSize: 0 bytes/workgroup (compile time only)
; SGPRBlocks: 0
; VGPRBlocks: 0
; NumSGPRsForWavesPerEU: 4
; NumVGPRsForWavesPerEU: 1
; AccumOffset: 4
; Occupancy: 8
; WaveLimiterHint : 0
; COMPUTE_PGM_RSRC2:SCRATCH_EN: 0
; COMPUTE_PGM_RSRC2:USER_SGPR: 6
; COMPUTE_PGM_RSRC2:TRAP_HANDLER: 0
; COMPUTE_PGM_RSRC2:TGID_X_EN: 1
; COMPUTE_PGM_RSRC2:TGID_Y_EN: 0
; COMPUTE_PGM_RSRC2:TGID_Z_EN: 0
; COMPUTE_PGM_RSRC2:TIDIG_COMP_CNT: 0
; COMPUTE_PGM_RSRC3_GFX90A:ACCUM_OFFSET: 0
; COMPUTE_PGM_RSRC3_GFX90A:TG_SPLIT: 0
	.section	.text._ZN7rocprim6detail25device_scan_by_key_kernelILNS0_25lookback_scan_determinismE0ELb0ENS0_26wrapped_scan_by_key_configINS_14default_configEiiEEPiN6hipcub22TransformInputIteratorIiNS7_6CastOpIiEES6_lEEPliNS7_8EqualityENS7_3SumENS0_19lookback_scan_stateINS_5tupleIJibEEELb0ELb1EEEiEEvT2_T3_T4_T5_T6_T7_T8_mmmPKNSG_IJT9_bEEE,"axG",@progbits,_ZN7rocprim6detail25device_scan_by_key_kernelILNS0_25lookback_scan_determinismE0ELb0ENS0_26wrapped_scan_by_key_configINS_14default_configEiiEEPiN6hipcub22TransformInputIteratorIiNS7_6CastOpIiEES6_lEEPliNS7_8EqualityENS7_3SumENS0_19lookback_scan_stateINS_5tupleIJibEEELb0ELb1EEEiEEvT2_T3_T4_T5_T6_T7_T8_mmmPKNSG_IJT9_bEEE,comdat
	.protected	_ZN7rocprim6detail25device_scan_by_key_kernelILNS0_25lookback_scan_determinismE0ELb0ENS0_26wrapped_scan_by_key_configINS_14default_configEiiEEPiN6hipcub22TransformInputIteratorIiNS7_6CastOpIiEES6_lEEPliNS7_8EqualityENS7_3SumENS0_19lookback_scan_stateINS_5tupleIJibEEELb0ELb1EEEiEEvT2_T3_T4_T5_T6_T7_T8_mmmPKNSG_IJT9_bEEE ; -- Begin function _ZN7rocprim6detail25device_scan_by_key_kernelILNS0_25lookback_scan_determinismE0ELb0ENS0_26wrapped_scan_by_key_configINS_14default_configEiiEEPiN6hipcub22TransformInputIteratorIiNS7_6CastOpIiEES6_lEEPliNS7_8EqualityENS7_3SumENS0_19lookback_scan_stateINS_5tupleIJibEEELb0ELb1EEEiEEvT2_T3_T4_T5_T6_T7_T8_mmmPKNSG_IJT9_bEEE
	.globl	_ZN7rocprim6detail25device_scan_by_key_kernelILNS0_25lookback_scan_determinismE0ELb0ENS0_26wrapped_scan_by_key_configINS_14default_configEiiEEPiN6hipcub22TransformInputIteratorIiNS7_6CastOpIiEES6_lEEPliNS7_8EqualityENS7_3SumENS0_19lookback_scan_stateINS_5tupleIJibEEELb0ELb1EEEiEEvT2_T3_T4_T5_T6_T7_T8_mmmPKNSG_IJT9_bEEE
	.p2align	8
	.type	_ZN7rocprim6detail25device_scan_by_key_kernelILNS0_25lookback_scan_determinismE0ELb0ENS0_26wrapped_scan_by_key_configINS_14default_configEiiEEPiN6hipcub22TransformInputIteratorIiNS7_6CastOpIiEES6_lEEPliNS7_8EqualityENS7_3SumENS0_19lookback_scan_stateINS_5tupleIJibEEELb0ELb1EEEiEEvT2_T3_T4_T5_T6_T7_T8_mmmPKNSG_IJT9_bEEE,@function
_ZN7rocprim6detail25device_scan_by_key_kernelILNS0_25lookback_scan_determinismE0ELb0ENS0_26wrapped_scan_by_key_configINS_14default_configEiiEEPiN6hipcub22TransformInputIteratorIiNS7_6CastOpIiEES6_lEEPliNS7_8EqualityENS7_3SumENS0_19lookback_scan_stateINS_5tupleIJibEEELb0ELb1EEEiEEvT2_T3_T4_T5_T6_T7_T8_mmmPKNSG_IJT9_bEEE: ; @_ZN7rocprim6detail25device_scan_by_key_kernelILNS0_25lookback_scan_determinismE0ELb0ENS0_26wrapped_scan_by_key_configINS_14default_configEiiEEPiN6hipcub22TransformInputIteratorIiNS7_6CastOpIiEES6_lEEPliNS7_8EqualityENS7_3SumENS0_19lookback_scan_stateINS_5tupleIJibEEELb0ELb1EEEiEEvT2_T3_T4_T5_T6_T7_T8_mmmPKNSG_IJT9_bEEE
; %bb.0:
	s_load_dwordx4 s[0:3], s[4:5], 0x0
	s_load_dwordx8 s[40:47], s[4:5], 0x28
	s_load_dwordx2 s[48:49], s[4:5], 0x48
	s_mul_i32 s38, s6, 0xe00
	s_mov_b32 s39, 0
	s_lshl_b64 s[8:9], s[38:39], 2
	s_waitcnt lgkmcnt(0)
	s_add_u32 s50, s0, s8
	s_addc_u32 s51, s1, s9
	s_add_u32 s36, s2, s8
	s_addc_u32 s37, s3, s9
	;; [unrolled: 2-line block ×3, first 2 shown]
	s_add_u32 s2, s46, -1
	s_addc_u32 s3, s47, -1
	v_pk_mov_b32 v[2:3], s[2:3], s[2:3] op_sel:[0,1]
	v_cmp_ge_u64_e64 s[0:1], s[0:1], v[2:3]
	s_mov_b64 s[16:17], -1
	s_and_b64 vcc, exec, s[0:1]
	s_mul_i32 s33, s2, 0xfffff200
	v_lshlrev_b32_e32 v1, 2, v0
	s_cbranch_vccz .LBB42_74
; %bb.1:
	s_load_dword s43, s[50:51], 0x0
	s_add_i32 s7, s33, s42
	v_mov_b32_e32 v3, s51
	v_add_co_u32_e32 v2, vcc, s50, v1
	v_addc_co_u32_e32 v3, vcc, 0, v3, vcc
	v_cmp_gt_u32_e64 s[2:3], s7, v0
	s_waitcnt lgkmcnt(0)
	v_mov_b32_e32 v4, s43
	s_and_saveexec_b64 s[8:9], s[2:3]
	s_cbranch_execz .LBB42_3
; %bb.2:
	global_load_dword v4, v[2:3], off
.LBB42_3:
	s_or_b64 exec, exec, s[8:9]
	v_or_b32_e32 v5, 0x100, v0
	v_cmp_gt_u32_e64 s[34:35], s7, v5
	v_mov_b32_e32 v5, s43
	s_and_saveexec_b64 s[8:9], s[34:35]
	s_cbranch_execz .LBB42_5
; %bb.4:
	global_load_dword v5, v[2:3], off offset:1024
.LBB42_5:
	s_or_b64 exec, exec, s[8:9]
	v_or_b32_e32 v6, 0x200, v0
	v_cmp_gt_u32_e64 s[8:9], s7, v6
	v_mov_b32_e32 v6, s43
	s_and_saveexec_b64 s[10:11], s[8:9]
	s_cbranch_execz .LBB42_7
; %bb.6:
	global_load_dword v6, v[2:3], off offset:2048
.LBB42_7:
	;; [unrolled: 9-line block ×3, first 2 shown]
	s_or_b64 exec, exec, s[12:13]
	v_or_b32_e32 v8, 0x400, v0
	v_cmp_gt_u32_e64 s[12:13], s7, v8
	v_mov_b32_e32 v8, s43
	s_and_saveexec_b64 s[14:15], s[12:13]
	s_cbranch_execz .LBB42_11
; %bb.10:
	v_add_co_u32_e32 v8, vcc, 0x1000, v2
	v_addc_co_u32_e32 v9, vcc, 0, v3, vcc
	global_load_dword v8, v[8:9], off
.LBB42_11:
	s_or_b64 exec, exec, s[14:15]
	v_or_b32_e32 v9, 0x500, v0
	v_cmp_gt_u32_e64 s[14:15], s7, v9
	v_mov_b32_e32 v9, s43
	s_and_saveexec_b64 s[16:17], s[14:15]
	s_cbranch_execz .LBB42_13
; %bb.12:
	v_add_co_u32_e32 v10, vcc, 0x1000, v2
	v_addc_co_u32_e32 v11, vcc, 0, v3, vcc
	global_load_dword v9, v[10:11], off offset:1024
.LBB42_13:
	s_or_b64 exec, exec, s[16:17]
	v_or_b32_e32 v10, 0x600, v0
	v_cmp_gt_u32_e64 s[16:17], s7, v10
	v_mov_b32_e32 v10, s43
	s_and_saveexec_b64 s[18:19], s[16:17]
	s_cbranch_execz .LBB42_15
; %bb.14:
	v_add_co_u32_e32 v10, vcc, 0x1000, v2
	v_addc_co_u32_e32 v11, vcc, 0, v3, vcc
	global_load_dword v10, v[10:11], off offset:2048
.LBB42_15:
	;; [unrolled: 11-line block ×3, first 2 shown]
	s_or_b64 exec, exec, s[20:21]
	v_or_b32_e32 v12, 0x800, v0
	v_cmp_gt_u32_e64 s[20:21], s7, v12
	v_mov_b32_e32 v12, s43
	s_and_saveexec_b64 s[22:23], s[20:21]
	s_cbranch_execz .LBB42_19
; %bb.18:
	v_add_co_u32_e32 v12, vcc, 0x2000, v2
	v_addc_co_u32_e32 v13, vcc, 0, v3, vcc
	global_load_dword v12, v[12:13], off
.LBB42_19:
	s_or_b64 exec, exec, s[22:23]
	v_or_b32_e32 v13, 0x900, v0
	v_cmp_gt_u32_e64 s[22:23], s7, v13
	v_mov_b32_e32 v13, s43
	s_and_saveexec_b64 s[24:25], s[22:23]
	s_cbranch_execz .LBB42_21
; %bb.20:
	v_add_co_u32_e32 v14, vcc, 0x2000, v2
	v_addc_co_u32_e32 v15, vcc, 0, v3, vcc
	global_load_dword v13, v[14:15], off offset:1024
.LBB42_21:
	s_or_b64 exec, exec, s[24:25]
	v_or_b32_e32 v14, 0xa00, v0
	v_cmp_gt_u32_e64 s[24:25], s7, v14
	v_mov_b32_e32 v14, s43
	s_and_saveexec_b64 s[26:27], s[24:25]
	s_cbranch_execz .LBB42_23
; %bb.22:
	v_add_co_u32_e32 v14, vcc, 0x2000, v2
	v_addc_co_u32_e32 v15, vcc, 0, v3, vcc
	global_load_dword v14, v[14:15], off offset:2048
.LBB42_23:
	;; [unrolled: 11-line block ×3, first 2 shown]
	s_or_b64 exec, exec, s[28:29]
	v_or_b32_e32 v16, 0xc00, v0
	v_cmp_gt_u32_e64 s[28:29], s7, v16
	v_mov_b32_e32 v16, s43
	s_and_saveexec_b64 s[30:31], s[28:29]
	s_cbranch_execz .LBB42_27
; %bb.26:
	v_add_co_u32_e32 v16, vcc, 0x3000, v2
	v_addc_co_u32_e32 v17, vcc, 0, v3, vcc
	global_load_dword v16, v[16:17], off
.LBB42_27:
	s_or_b64 exec, exec, s[30:31]
	v_or_b32_e32 v17, 0xd00, v0
	v_cmp_gt_u32_e64 s[30:31], s7, v17
	v_mov_b32_e32 v17, s43
	s_and_saveexec_b64 s[46:47], s[30:31]
	s_cbranch_execz .LBB42_29
; %bb.28:
	v_add_co_u32_e32 v2, vcc, 0x3000, v2
	v_addc_co_u32_e32 v3, vcc, 0, v3, vcc
	global_load_dword v17, v[2:3], off offset:1024
.LBB42_29:
	s_or_b64 exec, exec, s[46:47]
	s_sub_u32 s46, 0, s6
	s_subb_u32 s47, 0, 0
	s_cmp_eq_u64 s[46:47], s[44:45]
	s_cselect_b32 s46, 0, -4
	s_cselect_b32 s43, 0, -1
	s_add_u32 s46, s50, s46
	v_mad_u32_u24 v42, v0, 52, v1
	s_addc_u32 s47, s51, s43
	s_waitcnt vmcnt(0)
	ds_write2st64_b32 v1, v4, v5 offset1:4
	ds_write2st64_b32 v1, v6, v7 offset0:8 offset1:12
	ds_write2st64_b32 v1, v8, v9 offset0:16 offset1:20
	;; [unrolled: 1-line block ×6, first 2 shown]
	s_waitcnt lgkmcnt(0)
	s_barrier
	ds_read2_b64 v[34:37], v42 offset1:1
	ds_read2_b64 v[30:33], v42 offset0:2 offset1:3
	ds_read2_b64 v[26:29], v42 offset0:4 offset1:5
	ds_read_b64 v[40:41], v42 offset:48
	s_load_dword s43, s[46:47], 0x0
	s_movk_i32 s46, 0xffcc
	v_mad_i32_i24 v2, v0, s46, v42
	v_cmp_ne_u32_e32 vcc, 0, v0
	s_waitcnt lgkmcnt(0)
	ds_write_b32 v2, v41 offset:14336
	v_mov_b32_e32 v44, s43
	s_waitcnt lgkmcnt(0)
	s_barrier
	s_and_saveexec_b64 s[46:47], vcc
	s_cbranch_execz .LBB42_31
; %bb.30:
	v_mul_i32_i24_e32 v2, 0xffffffcc, v0
	v_add_u32_e32 v2, v42, v2
	ds_read_b32 v44, v2 offset:14332
.LBB42_31:
	s_or_b64 exec, exec, s[46:47]
	v_mov_b32_e32 v3, s37
	v_add_co_u32_e32 v2, vcc, s36, v1
	v_addc_co_u32_e32 v3, vcc, 0, v3, vcc
	s_waitcnt lgkmcnt(0)
	s_barrier
	s_waitcnt lgkmcnt(0)
                                        ; implicit-def: $vgpr4
	s_and_saveexec_b64 s[46:47], s[2:3]
	s_cbranch_execz .LBB42_119
; %bb.32:
	global_load_dword v4, v[2:3], off
	s_or_b64 exec, exec, s[46:47]
                                        ; implicit-def: $vgpr5
	s_and_saveexec_b64 s[2:3], s[34:35]
	s_cbranch_execnz .LBB42_120
.LBB42_33:
	s_or_b64 exec, exec, s[2:3]
                                        ; implicit-def: $vgpr6
	s_and_saveexec_b64 s[2:3], s[8:9]
	s_cbranch_execz .LBB42_121
.LBB42_34:
	global_load_dword v6, v[2:3], off offset:2048
	s_or_b64 exec, exec, s[2:3]
                                        ; implicit-def: $vgpr7
	s_and_saveexec_b64 s[2:3], s[10:11]
	s_cbranch_execnz .LBB42_122
.LBB42_35:
	s_or_b64 exec, exec, s[2:3]
                                        ; implicit-def: $vgpr8
	s_and_saveexec_b64 s[2:3], s[12:13]
	s_cbranch_execz .LBB42_123
.LBB42_36:
	v_add_co_u32_e32 v8, vcc, 0x1000, v2
	v_addc_co_u32_e32 v9, vcc, 0, v3, vcc
	global_load_dword v8, v[8:9], off
	s_or_b64 exec, exec, s[2:3]
                                        ; implicit-def: $vgpr9
	s_and_saveexec_b64 s[2:3], s[14:15]
	s_cbranch_execnz .LBB42_124
.LBB42_37:
	s_or_b64 exec, exec, s[2:3]
                                        ; implicit-def: $vgpr10
	s_and_saveexec_b64 s[2:3], s[16:17]
	s_cbranch_execz .LBB42_125
.LBB42_38:
	v_add_co_u32_e32 v10, vcc, 0x1000, v2
	v_addc_co_u32_e32 v11, vcc, 0, v3, vcc
	global_load_dword v10, v[10:11], off offset:2048
	s_or_b64 exec, exec, s[2:3]
                                        ; implicit-def: $vgpr11
	s_and_saveexec_b64 s[2:3], s[18:19]
	s_cbranch_execnz .LBB42_126
.LBB42_39:
	s_or_b64 exec, exec, s[2:3]
                                        ; implicit-def: $vgpr12
	s_and_saveexec_b64 s[2:3], s[20:21]
	s_cbranch_execz .LBB42_127
.LBB42_40:
	v_add_co_u32_e32 v12, vcc, 0x2000, v2
	v_addc_co_u32_e32 v13, vcc, 0, v3, vcc
	global_load_dword v12, v[12:13], off
	s_or_b64 exec, exec, s[2:3]
                                        ; implicit-def: $vgpr13
	s_and_saveexec_b64 s[2:3], s[22:23]
	s_cbranch_execnz .LBB42_128
.LBB42_41:
	s_or_b64 exec, exec, s[2:3]
                                        ; implicit-def: $vgpr14
	s_and_saveexec_b64 s[2:3], s[24:25]
	s_cbranch_execz .LBB42_129
.LBB42_42:
	v_add_co_u32_e32 v14, vcc, 0x2000, v2
	v_addc_co_u32_e32 v15, vcc, 0, v3, vcc
	global_load_dword v14, v[14:15], off offset:2048
	s_or_b64 exec, exec, s[2:3]
                                        ; implicit-def: $vgpr15
	s_and_saveexec_b64 s[2:3], s[26:27]
	s_cbranch_execnz .LBB42_130
.LBB42_43:
	s_or_b64 exec, exec, s[2:3]
                                        ; implicit-def: $vgpr16
	s_and_saveexec_b64 s[2:3], s[28:29]
	s_cbranch_execz .LBB42_45
.LBB42_44:
	v_add_co_u32_e32 v16, vcc, 0x3000, v2
	v_addc_co_u32_e32 v17, vcc, 0, v3, vcc
	global_load_dword v16, v[16:17], off
.LBB42_45:
	s_or_b64 exec, exec, s[2:3]
	v_mul_u32_u24_e32 v46, 14, v0
                                        ; implicit-def: $vgpr17
	s_and_saveexec_b64 s[2:3], s[30:31]
	s_cbranch_execz .LBB42_47
; %bb.46:
	v_add_co_u32_e32 v2, vcc, 0x3000, v2
	v_addc_co_u32_e32 v3, vcc, 0, v3, vcc
	global_load_dword v17, v[2:3], off offset:1024
.LBB42_47:
	s_or_b64 exec, exec, s[2:3]
	s_mov_b32 s8, 0
	s_mov_b32 s9, s8
	s_waitcnt vmcnt(0)
	ds_write2st64_b32 v1, v4, v5 offset1:4
	ds_write2st64_b32 v1, v6, v7 offset0:8 offset1:12
	ds_write2st64_b32 v1, v8, v9 offset0:16 offset1:20
	ds_write2st64_b32 v1, v10, v11 offset0:24 offset1:28
	ds_write2st64_b32 v1, v12, v13 offset0:32 offset1:36
	ds_write2st64_b32 v1, v14, v15 offset0:40 offset1:44
	ds_write2st64_b32 v1, v16, v17 offset0:48 offset1:52
	s_mov_b32 s10, s8
	s_mov_b32 s11, s8
	;; [unrolled: 1-line block ×6, first 2 shown]
	v_pk_mov_b32 v[2:3], s[8:9], s[8:9] op_sel:[0,1]
	v_pk_mov_b32 v[8:9], s[14:15], s[14:15] op_sel:[0,1]
	;; [unrolled: 1-line block ×6, first 2 shown]
	v_cmp_gt_u32_e32 vcc, s7, v46
	s_mov_b64 s[16:17], 0
	v_pk_mov_b32 v[38:39], 0, 0
	s_mov_b64 s[22:23], 0
	v_pk_mov_b32 v[14:15], v[6:7], v[6:7] op_sel:[0,1]
	v_pk_mov_b32 v[12:13], v[4:5], v[4:5] op_sel:[0,1]
	;; [unrolled: 1-line block ×6, first 2 shown]
	s_waitcnt lgkmcnt(0)
	s_barrier
	s_waitcnt lgkmcnt(0)
                                        ; implicit-def: $sgpr20_sgpr21
                                        ; implicit-def: $vgpr43
	s_and_saveexec_b64 s[18:19], vcc
	s_cbranch_execz .LBB42_73
; %bb.48:
	v_or_b32_e32 v2, 1, v46
	ds_read_b32 v38, v42
	v_cmp_ne_u32_e32 vcc, v44, v34
	v_cndmask_b32_e64 v39, 0, 1, vcc
	v_cmp_gt_u32_e32 vcc, s7, v2
	v_pk_mov_b32 v[2:3], s[8:9], s[8:9] op_sel:[0,1]
	v_pk_mov_b32 v[8:9], s[14:15], s[14:15] op_sel:[0,1]
	;; [unrolled: 1-line block ×6, first 2 shown]
	s_mov_b64 s[2:3], 0
	v_pk_mov_b32 v[14:15], v[6:7], v[6:7] op_sel:[0,1]
	v_pk_mov_b32 v[12:13], v[4:5], v[4:5] op_sel:[0,1]
	;; [unrolled: 1-line block ×6, first 2 shown]
                                        ; implicit-def: $sgpr8_sgpr9
                                        ; implicit-def: $vgpr43
	s_and_saveexec_b64 s[20:21], vcc
	s_cbranch_execz .LBB42_72
; %bb.49:
	ds_read2_b32 v[44:45], v42 offset0:1 offset1:2
	s_mov_b32 s8, 0
	s_mov_b32 s14, s8
	s_mov_b32 s15, s8
	s_mov_b32 s9, s8
	s_mov_b32 s10, s8
	s_mov_b32 s11, s8
	s_mov_b32 s12, s8
	s_mov_b32 s13, s8
	v_pk_mov_b32 v[16:17], s[14:15], s[14:15] op_sel:[0,1]
	v_add_u32_e32 v2, 2, v46
	v_cmp_ne_u32_e32 vcc, v34, v35
	v_mov_b32_e32 v6, 0
	v_pk_mov_b32 v[14:15], s[12:13], s[12:13] op_sel:[0,1]
	v_pk_mov_b32 v[12:13], s[10:11], s[10:11] op_sel:[0,1]
	;; [unrolled: 1-line block ×4, first 2 shown]
	v_cndmask_b32_e64 v3, 0, 1, vcc
	v_cmp_gt_u32_e32 vcc, s7, v2
	s_waitcnt lgkmcnt(0)
	v_mov_b32_e32 v2, v44
	v_mov_b32_e32 v4, v6
	;; [unrolled: 1-line block ×6, first 2 shown]
	v_pk_mov_b32 v[22:23], v[14:15], v[14:15] op_sel:[0,1]
	v_pk_mov_b32 v[20:21], v[12:13], v[12:13] op_sel:[0,1]
	;; [unrolled: 1-line block ×3, first 2 shown]
                                        ; implicit-def: $sgpr24_sgpr25
                                        ; implicit-def: $vgpr43
	s_and_saveexec_b64 s[22:23], vcc
	s_cbranch_execz .LBB42_71
; %bb.50:
	v_pk_mov_b32 v[16:17], s[14:15], s[14:15] op_sel:[0,1]
	v_add_u32_e32 v2, 3, v46
	v_cmp_ne_u32_e32 vcc, v35, v36
	v_pk_mov_b32 v[14:15], s[12:13], s[12:13] op_sel:[0,1]
	v_pk_mov_b32 v[12:13], s[10:11], s[10:11] op_sel:[0,1]
	;; [unrolled: 1-line block ×4, first 2 shown]
	v_cndmask_b32_e64 v5, 0, 1, vcc
	v_cmp_gt_u32_e32 vcc, s7, v2
	v_mov_b32_e32 v2, v44
	v_mov_b32_e32 v4, v45
	;; [unrolled: 1-line block ×5, first 2 shown]
	v_pk_mov_b32 v[22:23], v[14:15], v[14:15] op_sel:[0,1]
	v_pk_mov_b32 v[20:21], v[12:13], v[12:13] op_sel:[0,1]
	;; [unrolled: 1-line block ×3, first 2 shown]
                                        ; implicit-def: $sgpr8_sgpr9
                                        ; implicit-def: $vgpr43
	s_and_saveexec_b64 s[24:25], vcc
	s_cbranch_execz .LBB42_70
; %bb.51:
	ds_read2_b32 v[34:35], v42 offset0:3 offset1:4
	s_mov_b32 s8, 0
	s_mov_b32 s14, s8
	;; [unrolled: 1-line block ×8, first 2 shown]
	v_pk_mov_b32 v[16:17], s[14:15], s[14:15] op_sel:[0,1]
	v_add_u32_e32 v6, 4, v46
	v_cmp_ne_u32_e32 vcc, v36, v37
	v_pk_mov_b32 v[14:15], s[12:13], s[12:13] op_sel:[0,1]
	v_pk_mov_b32 v[12:13], s[10:11], s[10:11] op_sel:[0,1]
	;; [unrolled: 1-line block ×4, first 2 shown]
	v_cndmask_b32_e64 v7, 0, 1, vcc
	v_cmp_gt_u32_e32 vcc, s7, v6
	s_waitcnt lgkmcnt(0)
	v_mov_b32_e32 v6, v34
	v_mov_b32_e32 v8, s8
	;; [unrolled: 1-line block ×3, first 2 shown]
	v_pk_mov_b32 v[22:23], v[14:15], v[14:15] op_sel:[0,1]
	v_pk_mov_b32 v[20:21], v[12:13], v[12:13] op_sel:[0,1]
	;; [unrolled: 1-line block ×3, first 2 shown]
                                        ; implicit-def: $sgpr28_sgpr29
                                        ; implicit-def: $vgpr43
	s_and_saveexec_b64 s[26:27], vcc
	s_cbranch_execz .LBB42_69
; %bb.52:
	v_pk_mov_b32 v[16:17], s[14:15], s[14:15] op_sel:[0,1]
	v_add_u32_e32 v8, 5, v46
	v_cmp_ne_u32_e32 vcc, v37, v30
	v_pk_mov_b32 v[14:15], s[12:13], s[12:13] op_sel:[0,1]
	v_pk_mov_b32 v[12:13], s[10:11], s[10:11] op_sel:[0,1]
	;; [unrolled: 1-line block ×4, first 2 shown]
	v_cndmask_b32_e64 v9, 0, 1, vcc
	v_cmp_gt_u32_e32 vcc, s7, v8
	v_mov_b32_e32 v8, v35
	v_pk_mov_b32 v[22:23], v[14:15], v[14:15] op_sel:[0,1]
	v_pk_mov_b32 v[20:21], v[12:13], v[12:13] op_sel:[0,1]
	;; [unrolled: 1-line block ×3, first 2 shown]
                                        ; implicit-def: $sgpr8_sgpr9
                                        ; implicit-def: $vgpr43
	s_and_saveexec_b64 s[28:29], vcc
	s_cbranch_execz .LBB42_68
; %bb.53:
	ds_read2_b32 v[34:35], v42 offset0:5 offset1:6
	s_mov_b32 s8, 0
	s_mov_b32 s14, s8
	;; [unrolled: 1-line block ×3, first 2 shown]
	v_add_u32_e32 v10, 6, v46
	v_cmp_ne_u32_e32 vcc, v30, v31
	v_mov_b32_e32 v14, 0
	s_mov_b32 s9, s8
	s_mov_b32 s10, s8
	s_mov_b32 s11, s8
	s_mov_b32 s12, s8
	s_mov_b32 s13, s8
	v_pk_mov_b32 v[24:25], s[14:15], s[14:15] op_sel:[0,1]
	v_cndmask_b32_e64 v11, 0, 1, vcc
	v_cmp_gt_u32_e32 vcc, s7, v10
	s_waitcnt lgkmcnt(0)
	v_mov_b32_e32 v10, v34
	v_mov_b32_e32 v12, v14
	;; [unrolled: 1-line block ×6, first 2 shown]
	v_pk_mov_b32 v[22:23], s[12:13], s[12:13] op_sel:[0,1]
	v_pk_mov_b32 v[20:21], s[10:11], s[10:11] op_sel:[0,1]
	;; [unrolled: 1-line block ×3, first 2 shown]
                                        ; implicit-def: $sgpr34_sgpr35
                                        ; implicit-def: $vgpr43
	s_and_saveexec_b64 s[30:31], vcc
	s_cbranch_execz .LBB42_67
; %bb.54:
	v_add_u32_e32 v10, 7, v46
	v_cmp_ne_u32_e32 vcc, v31, v32
	v_pk_mov_b32 v[24:25], s[14:15], s[14:15] op_sel:[0,1]
	v_cndmask_b32_e64 v13, 0, 1, vcc
	v_cmp_gt_u32_e32 vcc, s7, v10
	v_mov_b32_e32 v10, v34
	v_mov_b32_e32 v12, v35
	;; [unrolled: 1-line block ×5, first 2 shown]
	v_pk_mov_b32 v[22:23], s[12:13], s[12:13] op_sel:[0,1]
	v_pk_mov_b32 v[20:21], s[10:11], s[10:11] op_sel:[0,1]
	;; [unrolled: 1-line block ×3, first 2 shown]
                                        ; implicit-def: $sgpr8_sgpr9
                                        ; implicit-def: $vgpr43
	s_and_saveexec_b64 s[34:35], vcc
	s_cbranch_execz .LBB42_66
; %bb.55:
	ds_read2_b32 v[30:31], v42 offset0:7 offset1:8
	s_mov_b32 s8, 0
	s_mov_b32 s14, s8
	;; [unrolled: 1-line block ×3, first 2 shown]
	v_add_u32_e32 v14, 8, v46
	v_cmp_ne_u32_e32 vcc, v32, v33
	s_mov_b32 s9, s8
	s_mov_b32 s10, s8
	;; [unrolled: 1-line block ×5, first 2 shown]
	v_pk_mov_b32 v[24:25], s[14:15], s[14:15] op_sel:[0,1]
	v_cndmask_b32_e64 v15, 0, 1, vcc
	v_cmp_gt_u32_e32 vcc, s7, v14
	s_waitcnt lgkmcnt(0)
	v_mov_b32_e32 v14, v30
	v_mov_b32_e32 v16, s8
	;; [unrolled: 1-line block ×3, first 2 shown]
	v_pk_mov_b32 v[22:23], s[12:13], s[12:13] op_sel:[0,1]
	v_pk_mov_b32 v[20:21], s[10:11], s[10:11] op_sel:[0,1]
	;; [unrolled: 1-line block ×3, first 2 shown]
                                        ; implicit-def: $sgpr52_sgpr53
                                        ; implicit-def: $vgpr43
	s_and_saveexec_b64 s[46:47], vcc
	s_cbranch_execz .LBB42_65
; %bb.56:
	v_add_u32_e32 v16, 9, v46
	v_cmp_ne_u32_e32 vcc, v33, v26
	v_pk_mov_b32 v[24:25], s[14:15], s[14:15] op_sel:[0,1]
	v_cndmask_b32_e64 v17, 0, 1, vcc
	v_cmp_gt_u32_e32 vcc, s7, v16
	v_mov_b32_e32 v16, v31
	v_pk_mov_b32 v[22:23], s[12:13], s[12:13] op_sel:[0,1]
	v_pk_mov_b32 v[20:21], s[10:11], s[10:11] op_sel:[0,1]
	;; [unrolled: 1-line block ×3, first 2 shown]
                                        ; implicit-def: $sgpr10_sgpr11
                                        ; implicit-def: $vgpr43
	s_and_saveexec_b64 s[8:9], vcc
	s_cbranch_execz .LBB42_64
; %bb.57:
	ds_read2_b32 v[30:31], v42 offset0:9 offset1:10
	v_add_u32_e32 v18, 10, v46
	v_cmp_ne_u32_e32 vcc, v26, v27
	v_mov_b32_e32 v22, 0
	v_cndmask_b32_e64 v19, 0, 1, vcc
	v_cmp_gt_u32_e32 vcc, s7, v18
	s_waitcnt lgkmcnt(0)
	v_mov_b32_e32 v18, v30
	v_mov_b32_e32 v20, v22
	v_mov_b32_e32 v21, v22
	v_mov_b32_e32 v23, v22
	v_mov_b32_e32 v24, v22
	v_mov_b32_e32 v25, v22
                                        ; implicit-def: $sgpr12_sgpr13
                                        ; implicit-def: $vgpr43
	s_and_saveexec_b64 s[10:11], vcc
	s_cbranch_execz .LBB42_63
; %bb.58:
	v_add_u32_e32 v18, 11, v46
	v_cmp_ne_u32_e32 vcc, v27, v28
	v_cndmask_b32_e64 v21, 0, 1, vcc
	v_cmp_gt_u32_e32 vcc, s7, v18
	s_mov_b32 s43, 0
	v_mov_b32_e32 v18, v30
	v_mov_b32_e32 v20, v31
	;; [unrolled: 1-line block ×5, first 2 shown]
                                        ; implicit-def: $sgpr14_sgpr15
                                        ; implicit-def: $vgpr43
	s_and_saveexec_b64 s[12:13], vcc
	s_cbranch_execz .LBB42_62
; %bb.59:
	ds_read2_b32 v[26:27], v42 offset0:11 offset1:12
	v_add_u32_e32 v22, 12, v46
	v_cmp_ne_u32_e32 vcc, v28, v29
	v_cndmask_b32_e64 v23, 0, 1, vcc
	v_cmp_gt_u32_e32 vcc, s7, v22
	s_waitcnt lgkmcnt(0)
	v_mov_b32_e32 v22, v26
	v_mov_b32_e32 v24, s43
	;; [unrolled: 1-line block ×3, first 2 shown]
                                        ; implicit-def: $sgpr14_sgpr15
                                        ; implicit-def: $vgpr43
	s_and_saveexec_b64 s[52:53], vcc
	s_xor_b64 s[52:53], exec, s[52:53]
	s_cbranch_execz .LBB42_61
; %bb.60:
	ds_read_b32 v43, v42 offset:52
	v_add_u32_e32 v24, 13, v46
	v_cmp_ne_u32_e64 s[2:3], v29, v40
	v_cmp_ne_u32_e32 vcc, v40, v41
	v_cndmask_b32_e64 v25, 0, 1, s[2:3]
	v_cmp_gt_u32_e64 s[2:3], s7, v24
	v_mov_b32_e32 v24, v27
	s_and_b64 s[14:15], vcc, exec
	s_and_b64 s[2:3], s[2:3], exec
.LBB42_61:
	s_or_b64 exec, exec, s[52:53]
	s_and_b64 s[14:15], s[14:15], exec
	s_and_b64 s[2:3], s[2:3], exec
.LBB42_62:
	s_or_b64 exec, exec, s[12:13]
	s_and_b64 s[12:13], s[14:15], exec
	s_and_b64 s[2:3], s[2:3], exec
.LBB42_63:
	s_or_b64 exec, exec, s[10:11]
	s_and_b64 s[10:11], s[12:13], exec
	s_and_b64 s[2:3], s[2:3], exec
.LBB42_64:
	s_or_b64 exec, exec, s[8:9]
	s_and_b64 s[52:53], s[10:11], exec
	s_and_b64 s[2:3], s[2:3], exec
.LBB42_65:
	s_or_b64 exec, exec, s[46:47]
	s_and_b64 s[8:9], s[52:53], exec
	s_and_b64 s[2:3], s[2:3], exec
.LBB42_66:
	s_or_b64 exec, exec, s[34:35]
	s_and_b64 s[34:35], s[8:9], exec
	s_and_b64 s[2:3], s[2:3], exec
.LBB42_67:
	s_or_b64 exec, exec, s[30:31]
	s_and_b64 s[8:9], s[34:35], exec
	s_and_b64 s[2:3], s[2:3], exec
.LBB42_68:
	s_or_b64 exec, exec, s[28:29]
	s_and_b64 s[28:29], s[8:9], exec
	s_and_b64 s[2:3], s[2:3], exec
.LBB42_69:
	s_or_b64 exec, exec, s[26:27]
	s_and_b64 s[8:9], s[28:29], exec
	s_and_b64 s[2:3], s[2:3], exec
.LBB42_70:
	s_or_b64 exec, exec, s[24:25]
	s_and_b64 s[24:25], s[8:9], exec
	s_and_b64 s[2:3], s[2:3], exec
.LBB42_71:
	s_or_b64 exec, exec, s[22:23]
	s_and_b64 s[8:9], s[24:25], exec
	s_and_b64 s[2:3], s[2:3], exec
.LBB42_72:
	s_or_b64 exec, exec, s[20:21]
	s_and_b64 s[20:21], s[8:9], exec
	s_and_b64 s[22:23], s[2:3], exec
.LBB42_73:
	s_or_b64 exec, exec, s[18:19]
	s_and_b64 vcc, exec, s[16:17]
	v_cmp_ne_u32_e64 s[2:3], 0, v0
	s_cbranch_vccnz .LBB42_75
	s_branch .LBB42_78
.LBB42_74:
	s_mov_b64 s[22:23], 0
                                        ; implicit-def: $sgpr20_sgpr21
                                        ; implicit-def: $vgpr2_vgpr3_vgpr4_vgpr5_vgpr6_vgpr7_vgpr8_vgpr9
                                        ; implicit-def: $vgpr10_vgpr11_vgpr12_vgpr13_vgpr14_vgpr15_vgpr16_vgpr17
                                        ; implicit-def: $vgpr18_vgpr19_vgpr20_vgpr21_vgpr22_vgpr23_vgpr24_vgpr25
                                        ; implicit-def: $vgpr43
                                        ; implicit-def: $vgpr38_vgpr39
	s_and_b64 vcc, exec, s[16:17]
	v_cmp_ne_u32_e64 s[2:3], 0, v0
	s_cbranch_vccz .LBB42_78
.LBB42_75:
	v_mov_b32_e32 v2, s51
	v_add_co_u32_e32 v6, vcc, s50, v1
	v_addc_co_u32_e32 v7, vcc, 0, v2, vcc
	v_add_co_u32_e32 v2, vcc, 0x1000, v6
	v_addc_co_u32_e32 v3, vcc, 0, v7, vcc
	;; [unrolled: 2-line block ×3, first 2 shown]
	global_load_dword v9, v1, s[50:51]
	global_load_dword v10, v1, s[50:51] offset:1024
	global_load_dword v11, v1, s[50:51] offset:2048
	;; [unrolled: 1-line block ×3, first 2 shown]
	global_load_dword v13, v[2:3], off
	global_load_dword v14, v[2:3], off offset:1024
	global_load_dword v15, v[2:3], off offset:2048
	;; [unrolled: 1-line block ×3, first 2 shown]
	global_load_dword v17, v[4:5], off
	global_load_dword v18, v[4:5], off offset:1024
	global_load_dword v19, v[4:5], off offset:2048
	;; [unrolled: 1-line block ×3, first 2 shown]
	v_add_co_u32_e32 v2, vcc, 0x3000, v6
	v_addc_co_u32_e32 v3, vcc, 0, v7, vcc
	global_load_dword v4, v[2:3], off
	global_load_dword v5, v[2:3], off offset:1024
	s_sub_u32 s8, 0, s6
	s_subb_u32 s9, 0, 0
	s_cmp_eq_u64 s[8:9], s[44:45]
	s_cselect_b32 s8, 0, -4
	s_cselect_b32 s9, 0, -1
	s_add_u32 s8, s50, s8
	v_mad_u32_u24 v8, v0, 52, v1
	s_addc_u32 s9, s51, s9
	s_movk_i32 s12, 0xffcc
	s_movk_i32 s11, 0x1000
	;; [unrolled: 1-line block ×4, first 2 shown]
	v_mad_i32_i24 v22, v0, s12, v8
	s_waitcnt vmcnt(12)
	ds_write2st64_b32 v1, v9, v10 offset1:4
	s_waitcnt vmcnt(10)
	ds_write2st64_b32 v1, v11, v12 offset0:8 offset1:12
	s_waitcnt vmcnt(8)
	ds_write2st64_b32 v1, v13, v14 offset0:16 offset1:20
	;; [unrolled: 2-line block ×6, first 2 shown]
	s_waitcnt lgkmcnt(0)
	s_barrier
	ds_read2_b64 v[18:21], v8 offset0:4 offset1:5
	ds_read_b64 v[6:7], v8 offset:48
	ds_read2_b64 v[2:5], v8 offset1:1
	ds_read2_b64 v[10:13], v8 offset0:2 offset1:3
	s_load_dword s8, s[8:9], 0x0
	s_waitcnt lgkmcnt(0)
	ds_write_b32 v22, v7 offset:14336
	s_waitcnt lgkmcnt(0)
	v_mov_b32_e32 v9, s8
	s_barrier
	s_and_saveexec_b64 s[8:9], s[2:3]
	s_cbranch_execz .LBB42_77
; %bb.76:
	v_mul_i32_i24_e32 v9, 0xffffffcc, v0
	v_add_u32_e32 v9, v8, v9
	ds_read_b32 v9, v9 offset:14332
.LBB42_77:
	s_or_b64 exec, exec, s[8:9]
	v_mov_b32_e32 v14, s37
	v_add_co_u32_e32 v22, vcc, s36, v1
	v_addc_co_u32_e32 v23, vcc, 0, v14, vcc
	v_add_co_u32_e32 v14, vcc, s11, v22
	v_addc_co_u32_e32 v15, vcc, 0, v23, vcc
	;; [unrolled: 2-line block ×3, first 2 shown]
	s_waitcnt lgkmcnt(0)
	s_barrier
	global_load_dword v24, v1, s[36:37] offset:1024
	global_load_dword v26, v1, s[36:37] offset:2048
	;; [unrolled: 1-line block ×3, first 2 shown]
	global_load_dword v28, v[14:15], off offset:1024
	global_load_dword v29, v[14:15], off offset:2048
	global_load_dword v30, v[14:15], off offset:3072
	global_load_dword v31, v[16:17], off offset:-4096
	global_load_dword v32, v[16:17], off
	global_load_dword v33, v[16:17], off offset:1024
	global_load_dword v34, v[16:17], off offset:2048
	global_load_dword v35, v1, s[36:37]
	global_load_dword v36, v[16:17], off offset:3072
	v_add_co_u32_e32 v14, vcc, s7, v22
	v_addc_co_u32_e32 v15, vcc, 0, v23, vcc
	global_load_dword v16, v[14:15], off
	global_load_dword v22, v[14:15], off offset:1024
	v_cmp_ne_u32_e32 vcc, v9, v2
	v_cndmask_b32_e64 v39, 0, 1, vcc
	v_cmp_ne_u32_e32 vcc, v5, v10
	v_cndmask_b32_e64 v9, 0, 1, vcc
	v_cmp_ne_u32_e32 vcc, v4, v5
	v_cmp_ne_u32_e64 s[20:21], v6, v7
	v_cndmask_b32_e64 v7, 0, 1, vcc
	v_cmp_ne_u32_e32 vcc, v3, v4
	v_cndmask_b32_e64 v5, 0, 1, vcc
	v_cmp_ne_u32_e32 vcc, v2, v3
	;; [unrolled: 2-line block ×10, first 2 shown]
	v_cndmask_b32_e64 v19, 0, 1, vcc
	s_mov_b64 s[22:23], -1
                                        ; implicit-def: $sgpr16_sgpr17
	s_waitcnt vmcnt(3)
	ds_write2st64_b32 v1, v35, v24 offset1:4
	ds_write2st64_b32 v1, v26, v27 offset0:8 offset1:12
	ds_write2st64_b32 v1, v29, v30 offset0:24 offset1:28
	;; [unrolled: 1-line block ×4, first 2 shown]
	s_waitcnt vmcnt(2)
	ds_write2st64_b32 v1, v34, v36 offset0:40 offset1:44
	s_waitcnt vmcnt(0)
	ds_write2st64_b32 v1, v16, v22 offset0:48 offset1:52
	s_waitcnt lgkmcnt(0)
	s_barrier
	ds_read2_b32 v[42:43], v8 offset1:13
	ds_read2_b32 v[26:27], v8 offset0:7 offset1:8
	ds_read2_b32 v[28:29], v8 offset0:5 offset1:6
	ds_read2_b32 v[30:31], v8 offset0:3 offset1:4
	ds_read2_b32 v[32:33], v8 offset0:1 offset1:2
	ds_read2_b32 v[34:35], v8 offset0:11 offset1:12
	ds_read2_b32 v[36:37], v8 offset0:9 offset1:10
	s_waitcnt lgkmcnt(6)
	v_mov_b32_e32 v38, v42
	s_waitcnt lgkmcnt(4)
	v_mov_b32_e32 v10, v28
	;; [unrolled: 2-line block ×4, first 2 shown]
	v_mov_b32_e32 v4, v33
	v_mov_b32_e32 v8, v31
	;; [unrolled: 1-line block ×5, first 2 shown]
	s_waitcnt lgkmcnt(0)
	v_mov_b32_e32 v18, v36
	v_mov_b32_e32 v20, v37
	;; [unrolled: 1-line block ×4, first 2 shown]
.LBB42_78:
	v_pk_mov_b32 v[34:35], s[16:17], s[16:17] op_sel:[0,1]
	s_and_saveexec_b64 s[2:3], s[22:23]
	s_cbranch_execz .LBB42_80
; %bb.79:
	v_cndmask_b32_e64 v35, 0, 1, s[20:21]
	s_waitcnt lgkmcnt(0)
	v_mov_b32_e32 v34, v43
.LBB42_80:
	s_or_b64 exec, exec, s[2:3]
	s_mov_b32 s28, 0
	s_cmp_lg_u32 s6, 0
	v_mbcnt_lo_u32_b32 v1, -1, 0
	s_waitcnt lgkmcnt(0)
	s_barrier
	s_cbranch_scc0 .LBB42_131
; %bb.81:
	s_mov_b32 s29, 1
	v_cmp_gt_u64_e64 s[2:3], s[28:29], v[2:3]
	v_cndmask_b32_e64 v27, 0, v38, s[2:3]
	v_add_u32_e32 v27, v27, v2
	v_cmp_gt_u64_e64 s[34:35], s[28:29], v[4:5]
	v_cndmask_b32_e64 v27, 0, v27, s[34:35]
	v_add_u32_e32 v27, v27, v4
	;; [unrolled: 3-line block ×13, first 2 shown]
	v_or3_b32 v27, v35, v25, v23
	v_or3_b32 v27, v27, v21, v19
	;; [unrolled: 1-line block ×6, first 2 shown]
	v_mov_b32_e32 v26, 0
	v_and_b32_e32 v27, 1, v27
	v_cmp_eq_u64_e32 vcc, 0, v[26:27]
	v_cndmask_b32_e32 v27, 1, v39, vcc
	v_and_b32_e32 v29, 0xff, v27
	v_mbcnt_hi_u32_b32 v44, -1, v1
	v_mov_b32_dpp v26, v28 row_shr:1 row_mask:0xf bank_mask:0xf
	v_mov_b32_dpp v31, v29 row_shr:1 row_mask:0xf bank_mask:0xf
	v_cmp_eq_u16_e32 vcc, 0, v29
	v_and_b32_e32 v32, 1, v27
	v_and_b32_e32 v30, 15, v44
	v_cndmask_b32_e32 v26, 0, v26, vcc
	v_and_b32_e32 v31, 1, v31
	v_cmp_eq_u32_e32 vcc, 1, v32
	v_cndmask_b32_e64 v31, v31, 1, vcc
	v_cmp_eq_u32_e32 vcc, 0, v30
	v_and_b32_e32 v32, 0xffff, v31
	v_cndmask_b32_e64 v26, v26, 0, vcc
	v_add_u32_e32 v26, v26, v28
	v_cndmask_b32_e32 v28, v32, v29, vcc
	v_cndmask_b32_e32 v27, v31, v27, vcc
	v_mov_b32_dpp v32, v26 row_shr:2 row_mask:0xf bank_mask:0xf
	v_mov_b32_dpp v33, v28 row_shr:2 row_mask:0xf bank_mask:0xf
	v_cmp_lt_u32_e32 vcc, 1, v30
	v_mov_b32_e32 v29, v28
	s_and_saveexec_b64 s[30:31], vcc
; %bb.82:
	v_and_b32_e32 v27, 1, v31
	v_and_b32_e32 v28, 1, v33
	v_cmp_eq_u32_e32 vcc, 1, v27
	v_cndmask_b32_e64 v27, v28, 1, vcc
	v_cmp_eq_u16_e32 vcc, 0, v31
	v_cndmask_b32_e32 v28, 0, v32, vcc
	v_and_b32_e32 v29, 0xffff, v27
	v_add_u32_e32 v26, v28, v26
	v_mov_b32_e32 v28, v27
; %bb.83:
	s_or_b64 exec, exec, s[30:31]
	v_mov_b32_dpp v31, v26 row_shr:4 row_mask:0xf bank_mask:0xf
	v_mov_b32_dpp v32, v29 row_shr:4 row_mask:0xf bank_mask:0xf
	v_cmp_lt_u32_e32 vcc, 3, v30
	s_and_saveexec_b64 s[30:31], vcc
; %bb.84:
	v_and_b32_e32 v27, 1, v28
	v_and_b32_e32 v29, 1, v32
	v_cmp_eq_u32_e32 vcc, 1, v27
	v_cndmask_b32_e64 v27, v29, 1, vcc
	v_cmp_eq_u16_e32 vcc, 0, v28
	v_cndmask_b32_e32 v28, 0, v31, vcc
	v_and_b32_e32 v29, 0xffff, v27
	v_add_u32_e32 v26, v28, v26
	v_mov_b32_e32 v28, v27
; %bb.85:
	s_or_b64 exec, exec, s[30:31]
	v_mov_b32_dpp v31, v26 row_shr:8 row_mask:0xf bank_mask:0xf
	v_mov_b32_dpp v32, v29 row_shr:8 row_mask:0xf bank_mask:0xf
	v_cmp_lt_u32_e32 vcc, 7, v30
	s_and_saveexec_b64 s[30:31], vcc
; %bb.86:
	v_and_b32_e32 v27, 1, v28
	v_and_b32_e32 v29, 1, v32
	v_cmp_eq_u32_e32 vcc, 1, v27
	v_cndmask_b32_e64 v27, v29, 1, vcc
	v_cmp_eq_u16_e32 vcc, 0, v28
	v_cndmask_b32_e32 v28, 0, v31, vcc
	v_and_b32_e32 v29, 0xffff, v27
	v_add_u32_e32 v26, v28, v26
	v_mov_b32_e32 v28, v27
; %bb.87:
	s_or_b64 exec, exec, s[30:31]
	v_and_b32_e32 v32, 16, v44
	v_mov_b32_dpp v30, v26 row_bcast:15 row_mask:0xf bank_mask:0xf
	v_mov_b32_dpp v31, v29 row_bcast:15 row_mask:0xf bank_mask:0xf
	v_cmp_ne_u32_e32 vcc, 0, v32
	s_and_saveexec_b64 s[30:31], vcc
; %bb.88:
	v_and_b32_e32 v27, 1, v28
	v_and_b32_e32 v29, 1, v31
	v_cmp_eq_u32_e32 vcc, 1, v27
	v_cndmask_b32_e64 v27, v29, 1, vcc
	v_cmp_eq_u16_e32 vcc, 0, v28
	v_cndmask_b32_e32 v28, 0, v30, vcc
	v_and_b32_e32 v29, 0xffff, v27
	v_add_u32_e32 v26, v28, v26
	v_mov_b32_e32 v28, v27
; %bb.89:
	s_or_b64 exec, exec, s[30:31]
	v_mov_b32_e32 v31, 0
	v_mov_b32_dpp v29, v29 row_bcast:31 row_mask:0xf bank_mask:0xf
	v_cmp_eq_u16_sdwa s[30:31], v28, v31 src0_sel:BYTE_0 src1_sel:DWORD
	v_and_b32_e32 v28, 1, v28
	v_and_b32_e32 v29, 1, v29
	v_cmp_eq_u32_e32 vcc, 1, v28
	v_cndmask_b32_e64 v28, v29, 1, vcc
	v_cmp_lt_u32_e32 vcc, 31, v44
	v_mov_b32_dpp v30, v26 row_bcast:31 row_mask:0xf bank_mask:0xf
	v_cndmask_b32_e32 v29, v27, v28, vcc
	s_and_b64 vcc, vcc, s[30:31]
	v_cndmask_b32_e32 v27, 0, v30, vcc
	v_add_u32_e32 v28, v27, v26
	v_or_b32_e32 v26, 63, v0
	v_lshrrev_b32_e32 v30, 6, v0
	v_cmp_eq_u32_e32 vcc, v26, v0
	s_and_saveexec_b64 s[30:31], vcc
	s_cbranch_execz .LBB42_91
; %bb.90:
	v_lshlrev_b32_e32 v26, 3, v30
	ds_write_b32 v26, v28
	ds_write_b8 v26, v29 offset:4
.LBB42_91:
	s_or_b64 exec, exec, s[30:31]
	v_cmp_gt_u32_e32 vcc, 4, v0
	s_waitcnt lgkmcnt(0)
	s_barrier
	s_and_saveexec_b64 s[30:31], vcc
	s_cbranch_execz .LBB42_97
; %bb.92:
	v_lshlrev_b32_e32 v31, 3, v0
	ds_read_b64 v[26:27], v31
	v_and_b32_e32 v32, 3, v44
	v_cmp_ne_u32_e32 vcc, 0, v32
	s_waitcnt lgkmcnt(0)
	v_mov_b32_dpp v36, v26 row_shr:1 row_mask:0xf bank_mask:0xf
	v_mov_b32_dpp v37, v27 row_shr:1 row_mask:0xf bank_mask:0xf
	v_mov_b32_e32 v33, v27
	s_and_saveexec_b64 s[36:37], vcc
	s_cbranch_execz .LBB42_94
; %bb.93:
	v_and_b32_e32 v33, 1, v27
	v_and_b32_e32 v37, 1, v37
	v_cmp_eq_u32_e32 vcc, 1, v33
	v_mov_b32_e32 v33, 0
	v_cndmask_b32_e64 v37, v37, 1, vcc
	v_cmp_eq_u16_sdwa vcc, v27, v33 src0_sel:BYTE_0 src1_sel:DWORD
	v_cndmask_b32_e32 v33, 0, v36, vcc
	v_add_u32_e32 v26, v33, v26
	v_and_b32_e32 v33, 0xffff, v37
	s_movk_i32 s7, 0xff00
	v_and_or_b32 v33, v27, s7, v33
	v_mov_b32_e32 v27, v37
.LBB42_94:
	s_or_b64 exec, exec, s[36:37]
	v_mov_b32_dpp v36, v26 row_shr:2 row_mask:0xf bank_mask:0xf
	v_mov_b32_dpp v37, v33 row_shr:2 row_mask:0xf bank_mask:0xf
	v_cmp_lt_u32_e32 vcc, 1, v32
	s_and_saveexec_b64 s[36:37], vcc
; %bb.95:
	v_and_b32_e32 v27, 1, v33
	v_and_b32_e32 v32, 1, v37
	v_cmp_eq_u32_e32 vcc, 1, v27
	v_cndmask_b32_e64 v27, v32, 1, vcc
	v_mov_b32_e32 v32, 0
	v_cmp_eq_u32_sdwa vcc, v33, v32 src0_sel:BYTE_0 src1_sel:DWORD
	v_cndmask_b32_e32 v32, 0, v36, vcc
	v_add_u32_e32 v26, v32, v26
; %bb.96:
	s_or_b64 exec, exec, s[36:37]
	ds_write_b32 v31, v26
	ds_write_b8 v31, v27 offset:4
.LBB42_97:
	s_or_b64 exec, exec, s[30:31]
	v_cmp_gt_u32_e32 vcc, 64, v0
	v_cmp_lt_u32_e64 s[30:31], 63, v0
	v_mov_b32_e32 v42, 0
	v_mov_b32_e32 v43, 0
	s_waitcnt lgkmcnt(0)
	s_barrier
	s_and_saveexec_b64 s[36:37], s[30:31]
	s_cbranch_execz .LBB42_99
; %bb.98:
	v_lshl_add_u32 v26, v30, 3, -8
	ds_read_b32 v42, v26
	ds_read_u8 v43, v26 offset:4
	v_mov_b32_e32 v27, 0
	v_and_b32_e32 v30, 1, v29
	v_cmp_eq_u16_sdwa s[30:31], v29, v27 src0_sel:BYTE_0 src1_sel:DWORD
	s_waitcnt lgkmcnt(1)
	v_cndmask_b32_e64 v26, 0, v42, s[30:31]
	v_cmp_eq_u32_e64 s[30:31], 1, v30
	v_add_u32_e32 v28, v26, v28
	s_waitcnt lgkmcnt(0)
	v_cndmask_b32_e64 v29, v43, 1, s[30:31]
.LBB42_99:
	s_or_b64 exec, exec, s[36:37]
	v_and_b32_e32 v26, 0xff, v29
	v_add_u32_e32 v27, -1, v44
	v_and_b32_e32 v29, 64, v44
	v_cmp_lt_i32_e64 s[30:31], v27, v29
	v_cndmask_b32_e64 v27, v27, v44, s[30:31]
	v_lshlrev_b32_e32 v27, 2, v27
	ds_bpermute_b32 v45, v27, v28
	ds_bpermute_b32 v46, v27, v26
	v_cmp_eq_u32_e64 s[30:31], 0, v44
	s_and_saveexec_b64 s[44:45], vcc
	s_cbranch_execz .LBB42_118
; %bb.100:
	v_mov_b32_e32 v29, 0
	ds_read_b64 v[26:27], v29 offset:24
	s_waitcnt lgkmcnt(0)
	v_readfirstlane_b32 s7, v27
	s_and_saveexec_b64 s[36:37], s[30:31]
	s_cbranch_execz .LBB42_102
; %bb.101:
	s_add_i32 s46, s6, 64
	s_mov_b32 s47, 0
	s_lshl_b64 s[50:51], s[46:47], 4
	s_add_u32 s50, s40, s50
	s_addc_u32 s51, s41, s51
	s_and_b32 s53, s7, 0xff000000
	s_mov_b32 s52, s47
	s_and_b32 s55, s7, 0xff0000
	s_mov_b32 s54, s47
	s_or_b64 s[52:53], s[54:55], s[52:53]
	s_and_b32 s55, s7, 0xff00
	s_or_b64 s[52:53], s[52:53], s[54:55]
	s_and_b32 s55, s7, 0xff
	s_or_b64 s[46:47], s[52:53], s[54:55]
	v_mov_b32_e32 v27, s47
	v_mov_b32_e32 v28, 1
	v_pk_mov_b32 v[30:31], s[50:51], s[50:51] op_sel:[0,1]
	;;#ASMSTART
	global_store_dwordx4 v[30:31], v[26:29] off	
s_waitcnt vmcnt(0)
	;;#ASMEND
.LBB42_102:
	s_or_b64 exec, exec, s[36:37]
	v_xad_u32 v36, v44, -1, s6
	v_add_u32_e32 v28, 64, v36
	v_lshlrev_b64 v[30:31], 4, v[28:29]
	v_mov_b32_e32 v27, s41
	v_add_co_u32_e32 v40, vcc, s40, v30
	v_addc_co_u32_e32 v41, vcc, v27, v31, vcc
	;;#ASMSTART
	global_load_dwordx4 v[30:33], v[40:41] off glc	
s_waitcnt vmcnt(0)
	;;#ASMEND
	v_cmp_eq_u16_sdwa s[46:47], v32, v29 src0_sel:BYTE_0 src1_sel:DWORD
	s_and_saveexec_b64 s[36:37], s[46:47]
	s_cbranch_execz .LBB42_106
; %bb.103:
	s_mov_b64 s[46:47], 0
	v_mov_b32_e32 v27, 0
.LBB42_104:                             ; =>This Inner Loop Header: Depth=1
	;;#ASMSTART
	global_load_dwordx4 v[30:33], v[40:41] off glc	
s_waitcnt vmcnt(0)
	;;#ASMEND
	v_cmp_ne_u16_sdwa s[50:51], v32, v27 src0_sel:BYTE_0 src1_sel:DWORD
	s_or_b64 s[46:47], s[50:51], s[46:47]
	s_andn2_b64 exec, exec, s[46:47]
	s_cbranch_execnz .LBB42_104
; %bb.105:
	s_or_b64 exec, exec, s[46:47]
.LBB42_106:
	s_or_b64 exec, exec, s[36:37]
	v_mov_b32_e32 v27, 2
	v_cmp_eq_u16_sdwa s[36:37], v32, v27 src0_sel:BYTE_0 src1_sel:DWORD
	v_lshlrev_b64 v[28:29], v44, -1
	v_and_b32_e32 v33, s37, v29
	v_or_b32_e32 v33, 0x80000000, v33
	v_and_b32_e32 v37, s36, v28
	v_ffbl_b32_e32 v33, v33
	v_and_b32_e32 v57, 63, v44
	v_add_u32_e32 v33, 32, v33
	v_ffbl_b32_e32 v37, v37
	v_cmp_ne_u32_e32 vcc, 63, v57
	v_min_u32_e32 v33, v37, v33
	v_addc_co_u32_e32 v37, vcc, 0, v44, vcc
	v_and_b32_e32 v41, 0xff, v31
	v_lshlrev_b32_e32 v47, 2, v37
	ds_bpermute_b32 v37, v47, v41
	ds_bpermute_b32 v49, v47, v30
	s_mov_b32 s46, 0
	v_and_b32_e32 v31, 1, v31
	v_mov_b32_e32 v40, v30
	s_mov_b32 s47, 1
	s_waitcnt lgkmcnt(1)
	v_and_b32_e32 v37, 1, v37
	v_cmp_eq_u32_e32 vcc, 1, v31
	v_add_u32_e32 v48, 1, v44
	v_cndmask_b32_e64 v31, v37, 1, vcc
	v_cmp_gt_u64_e32 vcc, s[46:47], v[40:41]
	v_and_b32_e32 v37, 0xffff, v31
	s_waitcnt lgkmcnt(0)
	v_cndmask_b32_e32 v40, 0, v49, vcc
	v_cmp_gt_u32_e32 vcc, v48, v33
	v_cndmask_b32_e32 v31, v31, v41, vcc
	v_cndmask_b32_e64 v40, v40, 0, vcc
	v_cndmask_b32_e32 v37, v37, v41, vcc
	v_cmp_gt_u32_e32 vcc, 62, v57
	v_cndmask_b32_e64 v41, 0, 1, vcc
	v_lshlrev_b32_e32 v41, 1, v41
	v_add_lshl_u32 v49, v41, v44, 2
	ds_bpermute_b32 v41, v49, v37
	v_add_u32_e32 v30, v40, v30
	ds_bpermute_b32 v40, v49, v30
	v_and_b32_e32 v51, 1, v31
	v_cmp_eq_u32_e32 vcc, 1, v51
	s_waitcnt lgkmcnt(1)
	v_and_b32_e32 v41, 1, v41
	v_add_u32_e32 v50, 2, v44
	v_cndmask_b32_e64 v41, v41, 1, vcc
	v_cmp_eq_u16_e32 vcc, 0, v31
	v_and_b32_e32 v51, 0xffff, v41
	s_waitcnt lgkmcnt(0)
	v_cndmask_b32_e32 v40, 0, v40, vcc
	v_cmp_gt_u32_e32 vcc, v50, v33
	v_cndmask_b32_e32 v31, v41, v31, vcc
	v_cndmask_b32_e64 v40, v40, 0, vcc
	v_cndmask_b32_e32 v37, v51, v37, vcc
	v_cmp_gt_u32_e32 vcc, 60, v57
	v_cndmask_b32_e64 v41, 0, 1, vcc
	v_lshlrev_b32_e32 v41, 2, v41
	v_add_lshl_u32 v51, v41, v44, 2
	ds_bpermute_b32 v41, v51, v37
	v_add_u32_e32 v30, v40, v30
	ds_bpermute_b32 v40, v51, v30
	v_and_b32_e32 v53, 1, v31
	v_cmp_eq_u32_e32 vcc, 1, v53
	s_waitcnt lgkmcnt(1)
	v_and_b32_e32 v41, 1, v41
	v_add_u32_e32 v52, 4, v44
	v_cndmask_b32_e64 v41, v41, 1, vcc
	v_cmp_eq_u16_e32 vcc, 0, v31
	v_and_b32_e32 v53, 0xffff, v41
	s_waitcnt lgkmcnt(0)
	v_cndmask_b32_e32 v40, 0, v40, vcc
	v_cmp_gt_u32_e32 vcc, v52, v33
	v_cndmask_b32_e32 v31, v41, v31, vcc
	v_cndmask_b32_e64 v40, v40, 0, vcc
	v_cndmask_b32_e32 v37, v53, v37, vcc
	v_cmp_gt_u32_e32 vcc, 56, v57
	v_cndmask_b32_e64 v41, 0, 1, vcc
	v_lshlrev_b32_e32 v41, 3, v41
	v_add_lshl_u32 v53, v41, v44, 2
	ds_bpermute_b32 v41, v53, v37
	v_add_u32_e32 v30, v40, v30
	ds_bpermute_b32 v40, v53, v30
	v_and_b32_e32 v55, 1, v31
	v_cmp_eq_u32_e32 vcc, 1, v55
	s_waitcnt lgkmcnt(1)
	v_and_b32_e32 v41, 1, v41
	v_add_u32_e32 v54, 8, v44
	v_cndmask_b32_e64 v41, v41, 1, vcc
	v_cmp_eq_u16_e32 vcc, 0, v31
	v_and_b32_e32 v55, 0xffff, v41
	s_waitcnt lgkmcnt(0)
	v_cndmask_b32_e32 v40, 0, v40, vcc
	v_cmp_gt_u32_e32 vcc, v54, v33
	v_cndmask_b32_e32 v31, v41, v31, vcc
	v_cndmask_b32_e64 v40, v40, 0, vcc
	v_cndmask_b32_e32 v41, v55, v37, vcc
	v_cmp_gt_u32_e32 vcc, 48, v57
	v_cndmask_b32_e64 v37, 0, 1, vcc
	v_lshlrev_b32_e32 v37, 4, v37
	v_add_lshl_u32 v55, v37, v44, 2
	ds_bpermute_b32 v37, v55, v41
	v_add_u32_e32 v30, v40, v30
	ds_bpermute_b32 v40, v55, v30
	v_and_b32_e32 v58, 1, v31
	v_cmp_eq_u32_e32 vcc, 1, v58
	s_waitcnt lgkmcnt(1)
	v_and_b32_e32 v37, 1, v37
	v_cndmask_b32_e64 v58, v37, 1, vcc
	v_mov_b32_e32 v37, 0
	v_add_u32_e32 v56, 16, v44
	v_cmp_eq_u16_sdwa vcc, v31, v37 src0_sel:BYTE_0 src1_sel:DWORD
	s_waitcnt lgkmcnt(0)
	v_cndmask_b32_e32 v40, 0, v40, vcc
	v_cmp_gt_u32_e32 vcc, v56, v33
	v_cndmask_b32_e64 v40, v40, 0, vcc
	v_cmp_gt_u32_e64 s[36:37], 32, v57
	v_add_u32_e32 v30, v40, v30
	v_cndmask_b32_e64 v40, 0, 1, s[36:37]
	v_and_b32_e32 v59, 0xffff, v58
	v_lshlrev_b32_e32 v40, 5, v40
	v_cndmask_b32_e32 v31, v58, v31, vcc
	v_add_lshl_u32 v58, v40, v44, 2
	v_cndmask_b32_e32 v41, v59, v41, vcc
	ds_bpermute_b32 v40, v58, v30
	ds_bpermute_b32 v41, v58, v41
	v_add_u32_e32 v59, 32, v44
	v_cmp_eq_u16_sdwa vcc, v31, v37 src0_sel:BYTE_0 src1_sel:DWORD
	v_and_b32_e32 v44, 1, v31
	s_waitcnt lgkmcnt(1)
	v_cndmask_b32_e32 v40, 0, v40, vcc
	s_waitcnt lgkmcnt(0)
	v_and_b32_e32 v41, 1, v41
	v_cmp_eq_u32_e32 vcc, 1, v44
	v_cndmask_b32_e64 v41, v41, 1, vcc
	v_cmp_gt_u32_e32 vcc, v59, v33
	v_cndmask_b32_e64 v33, v40, 0, vcc
	v_cndmask_b32_e32 v31, v41, v31, vcc
	v_add_u32_e32 v30, v33, v30
	s_branch .LBB42_108
.LBB42_107:                             ;   in Loop: Header=BB42_108 Depth=1
	s_or_b64 exec, exec, s[36:37]
	v_cmp_eq_u16_sdwa s[36:37], v32, v27 src0_sel:BYTE_0 src1_sel:DWORD
	v_and_b32_e32 v33, s37, v29
	v_and_b32_e32 v41, 0xff, v31
	v_or_b32_e32 v33, 0x80000000, v33
	v_and_b32_e32 v60, s36, v28
	v_ffbl_b32_e32 v33, v33
	ds_bpermute_b32 v61, v47, v41
	v_add_u32_e32 v33, 32, v33
	v_ffbl_b32_e32 v60, v60
	v_min_u32_e32 v33, v60, v33
	ds_bpermute_b32 v60, v47, v30
	v_and_b32_e32 v31, 1, v31
	v_mov_b32_e32 v40, v30
	s_waitcnt lgkmcnt(1)
	v_and_b32_e32 v61, 1, v61
	v_cmp_eq_u32_e32 vcc, 1, v31
	v_cndmask_b32_e64 v31, v61, 1, vcc
	v_cmp_gt_u64_e32 vcc, s[46:47], v[40:41]
	v_and_b32_e32 v61, 0xffff, v31
	s_waitcnt lgkmcnt(0)
	v_cndmask_b32_e32 v40, 0, v60, vcc
	v_cmp_gt_u32_e32 vcc, v48, v33
	v_cndmask_b32_e32 v31, v31, v41, vcc
	v_cndmask_b32_e32 v41, v61, v41, vcc
	ds_bpermute_b32 v60, v49, v41
	v_cndmask_b32_e64 v40, v40, 0, vcc
	v_add_u32_e32 v30, v40, v30
	ds_bpermute_b32 v40, v49, v30
	v_and_b32_e32 v61, 1, v31
	s_waitcnt lgkmcnt(1)
	v_and_b32_e32 v60, 1, v60
	v_cmp_eq_u32_e32 vcc, 1, v61
	v_cndmask_b32_e64 v60, v60, 1, vcc
	v_cmp_eq_u16_e32 vcc, 0, v31
	v_and_b32_e32 v61, 0xffff, v60
	s_waitcnt lgkmcnt(0)
	v_cndmask_b32_e32 v40, 0, v40, vcc
	v_cmp_gt_u32_e32 vcc, v50, v33
	v_cndmask_b32_e32 v41, v61, v41, vcc
	v_cndmask_b32_e32 v31, v60, v31, vcc
	ds_bpermute_b32 v60, v51, v41
	v_cndmask_b32_e64 v40, v40, 0, vcc
	v_add_u32_e32 v30, v40, v30
	ds_bpermute_b32 v40, v51, v30
	v_and_b32_e32 v61, 1, v31
	s_waitcnt lgkmcnt(1)
	v_and_b32_e32 v60, 1, v60
	v_cmp_eq_u32_e32 vcc, 1, v61
	v_cndmask_b32_e64 v60, v60, 1, vcc
	v_cmp_eq_u16_e32 vcc, 0, v31
	;; [unrolled: 16-line block ×3, first 2 shown]
	v_and_b32_e32 v61, 0xffff, v60
	s_waitcnt lgkmcnt(0)
	v_cndmask_b32_e32 v40, 0, v40, vcc
	v_cmp_gt_u32_e32 vcc, v54, v33
	v_cndmask_b32_e32 v41, v61, v41, vcc
	v_cndmask_b32_e32 v31, v60, v31, vcc
	ds_bpermute_b32 v60, v55, v41
	v_cndmask_b32_e64 v40, v40, 0, vcc
	v_add_u32_e32 v30, v40, v30
	ds_bpermute_b32 v40, v55, v30
	v_and_b32_e32 v61, 1, v31
	s_waitcnt lgkmcnt(1)
	v_and_b32_e32 v60, 1, v60
	v_cmp_eq_u32_e32 vcc, 1, v61
	v_cndmask_b32_e64 v60, v60, 1, vcc
	v_cmp_eq_u16_sdwa vcc, v31, v37 src0_sel:BYTE_0 src1_sel:DWORD
	s_waitcnt lgkmcnt(0)
	v_cndmask_b32_e32 v40, 0, v40, vcc
	v_cmp_gt_u32_e32 vcc, v56, v33
	v_cndmask_b32_e64 v40, v40, 0, vcc
	v_cndmask_b32_e32 v31, v60, v31, vcc
	v_add_u32_e32 v30, v40, v30
	v_and_b32_e32 v60, 0xffff, v60
	ds_bpermute_b32 v40, v58, v30
	v_cndmask_b32_e32 v41, v60, v41, vcc
	ds_bpermute_b32 v41, v58, v41
	v_cmp_eq_u16_sdwa vcc, v31, v37 src0_sel:BYTE_0 src1_sel:DWORD
	v_and_b32_e32 v60, 1, v31
	s_waitcnt lgkmcnt(1)
	v_cndmask_b32_e32 v40, 0, v40, vcc
	v_cmp_eq_u32_e32 vcc, 1, v60
	s_waitcnt lgkmcnt(0)
	v_cndmask_b32_e64 v41, v41, 1, vcc
	v_cmp_gt_u32_e32 vcc, v59, v33
	v_cndmask_b32_e64 v33, v40, 0, vcc
	v_cndmask_b32_e32 v31, v41, v31, vcc
	v_add_u32_e32 v30, v33, v30
	v_cmp_eq_u16_sdwa vcc, v44, v37 src0_sel:BYTE_0 src1_sel:DWORD
	v_and_b32_e32 v33, 1, v44
	v_cndmask_b32_e32 v30, 0, v30, vcc
	v_and_b32_e32 v31, 1, v31
	v_cmp_eq_u32_e32 vcc, 1, v33
	v_subrev_u32_e32 v36, 64, v36
	v_add_u32_e32 v30, v30, v57
	v_cndmask_b32_e64 v31, v31, 1, vcc
.LBB42_108:                             ; =>This Loop Header: Depth=1
                                        ;     Child Loop BB42_111 Depth 2
	v_cmp_ne_u16_sdwa s[36:37], v32, v27 src0_sel:BYTE_0 src1_sel:DWORD
	v_mov_b32_e32 v44, v31
	v_cndmask_b32_e64 v31, 0, 1, s[36:37]
	;;#ASMSTART
	;;#ASMEND
	v_cmp_ne_u32_e32 vcc, 0, v31
	s_cmp_lg_u64 vcc, exec
	v_mov_b32_e32 v57, v30
	s_cbranch_scc1 .LBB42_113
; %bb.109:                              ;   in Loop: Header=BB42_108 Depth=1
	v_lshlrev_b64 v[30:31], 4, v[36:37]
	v_mov_b32_e32 v32, s41
	v_add_co_u32_e32 v40, vcc, s40, v30
	v_addc_co_u32_e32 v41, vcc, v32, v31, vcc
	;;#ASMSTART
	global_load_dwordx4 v[30:33], v[40:41] off glc	
s_waitcnt vmcnt(0)
	;;#ASMEND
	v_cmp_eq_u16_sdwa s[50:51], v32, v37 src0_sel:BYTE_0 src1_sel:DWORD
	s_and_saveexec_b64 s[36:37], s[50:51]
	s_cbranch_execz .LBB42_107
; %bb.110:                              ;   in Loop: Header=BB42_108 Depth=1
	s_mov_b64 s[50:51], 0
.LBB42_111:                             ;   Parent Loop BB42_108 Depth=1
                                        ; =>  This Inner Loop Header: Depth=2
	;;#ASMSTART
	global_load_dwordx4 v[30:33], v[40:41] off glc	
s_waitcnt vmcnt(0)
	;;#ASMEND
	v_cmp_ne_u16_sdwa s[52:53], v32, v37 src0_sel:BYTE_0 src1_sel:DWORD
	s_or_b64 s[50:51], s[52:53], s[50:51]
	s_andn2_b64 exec, exec, s[50:51]
	s_cbranch_execnz .LBB42_111
; %bb.112:                              ;   in Loop: Header=BB42_108 Depth=1
	s_or_b64 exec, exec, s[50:51]
	s_branch .LBB42_107
.LBB42_113:                             ;   in Loop: Header=BB42_108 Depth=1
                                        ; implicit-def: $vgpr31
                                        ; implicit-def: $vgpr30
                                        ; implicit-def: $vgpr32
	s_cbranch_execz .LBB42_108
; %bb.114:
	s_and_saveexec_b64 s[36:37], s[30:31]
	s_cbranch_execz .LBB42_116
; %bb.115:
	s_and_b32 s43, s7, 0xff
	s_cmp_eq_u32 s43, 0
	s_cselect_b64 vcc, -1, 0
	s_bitcmp1_b32 s7, 0
	s_mov_b32 s47, 0
	s_cselect_b64 s[50:51], -1, 0
	s_add_i32 s46, s6, 64
	s_lshl_b64 s[6:7], s[46:47], 4
	v_cndmask_b32_e32 v27, 0, v57, vcc
	s_add_u32 s6, s40, s6
	v_add_u32_e32 v26, v27, v26
	v_and_b32_e32 v27, 1, v44
	s_addc_u32 s7, s41, s7
	v_mov_b32_e32 v29, 0
	v_cndmask_b32_e64 v27, v27, 1, s[50:51]
	v_mov_b32_e32 v28, 2
	v_pk_mov_b32 v[30:31], s[6:7], s[6:7] op_sel:[0,1]
	;;#ASMSTART
	global_store_dwordx4 v[30:31], v[26:29] off	
s_waitcnt vmcnt(0)
	;;#ASMEND
.LBB42_116:
	s_or_b64 exec, exec, s[36:37]
	v_cmp_eq_u32_e32 vcc, 0, v0
	s_and_b64 exec, exec, vcc
	s_cbranch_execz .LBB42_118
; %bb.117:
	v_mov_b32_e32 v26, 0
	ds_write_b32 v26, v57 offset:24
	ds_write_b8 v26, v44 offset:28
.LBB42_118:
	s_or_b64 exec, exec, s[44:45]
	s_mov_b32 s6, 0
	v_mov_b32_e32 v28, 0
	s_mov_b32 s7, 1
	s_waitcnt lgkmcnt(0)
	v_cndmask_b32_e64 v26, v46, v43, s[30:31]
	v_cndmask_b32_e64 v27, v45, v42, s[30:31]
	s_barrier
	ds_read_b32 v29, v28 offset:24
	v_cmp_gt_u64_e32 vcc, s[6:7], v[38:39]
	v_and_b32_e32 v30, 1, v39
	v_cndmask_b32_e32 v27, 0, v27, vcc
	v_and_b32_e32 v26, 1, v26
	v_cmp_eq_u32_e32 vcc, 1, v30
	v_cndmask_b32_e64 v26, v26, 1, vcc
	v_cmp_eq_u32_e32 vcc, 0, v0
	v_cndmask_b32_e32 v26, v26, v39, vcc
	v_cndmask_b32_e64 v27, v27, 0, vcc
	v_cmp_eq_u16_sdwa vcc, v26, v28 src0_sel:BYTE_0 src1_sel:DWORD
	s_waitcnt lgkmcnt(0)
	v_cndmask_b32_e32 v26, 0, v29, vcc
	v_add3_u32 v42, v27, v38, v26
	v_cndmask_b32_e64 v26, 0, v42, s[2:3]
	v_add_u32_e32 v26, v26, v2
	v_cndmask_b32_e64 v27, 0, v26, s[34:35]
	v_add_u32_e32 v27, v27, v4
	v_cndmask_b32_e64 v28, 0, v27, s[8:9]
	v_add_u32_e32 v28, v28, v6
	v_cndmask_b32_e64 v29, 0, v28, s[10:11]
	v_add_u32_e32 v29, v29, v8
	v_cndmask_b32_e64 v30, 0, v29, s[12:13]
	v_add_u32_e32 v30, v30, v10
	v_cndmask_b32_e64 v31, 0, v30, s[14:15]
	v_add_u32_e32 v31, v31, v12
	v_cndmask_b32_e64 v32, 0, v31, s[16:17]
	v_add_u32_e32 v32, v32, v14
	v_cndmask_b32_e64 v33, 0, v32, s[18:19]
	v_add_u32_e32 v33, v33, v16
	v_cndmask_b32_e64 v36, 0, v33, s[20:21]
	v_add_u32_e32 v36, v36, v18
	v_cndmask_b32_e64 v37, 0, v36, s[22:23]
	v_add_u32_e32 v37, v37, v20
	v_cndmask_b32_e64 v40, 0, v37, s[24:25]
	v_add_u32_e32 v40, v40, v22
	v_cndmask_b32_e64 v41, 0, v40, s[26:27]
	v_add_u32_e32 v41, v41, v24
	v_cndmask_b32_e64 v43, 0, v41, s[28:29]
	v_add_u32_e32 v44, v43, v34
	s_branch .LBB42_157
.LBB42_119:
	s_or_b64 exec, exec, s[46:47]
                                        ; implicit-def: $vgpr5
	s_and_saveexec_b64 s[2:3], s[34:35]
	s_cbranch_execz .LBB42_33
.LBB42_120:
	global_load_dword v5, v[2:3], off offset:1024
	s_or_b64 exec, exec, s[2:3]
                                        ; implicit-def: $vgpr6
	s_and_saveexec_b64 s[2:3], s[8:9]
	s_cbranch_execnz .LBB42_34
.LBB42_121:
	s_or_b64 exec, exec, s[2:3]
                                        ; implicit-def: $vgpr7
	s_and_saveexec_b64 s[2:3], s[10:11]
	s_cbranch_execz .LBB42_35
.LBB42_122:
	global_load_dword v7, v[2:3], off offset:3072
	s_or_b64 exec, exec, s[2:3]
                                        ; implicit-def: $vgpr8
	s_and_saveexec_b64 s[2:3], s[12:13]
	s_cbranch_execnz .LBB42_36
.LBB42_123:
	s_or_b64 exec, exec, s[2:3]
                                        ; implicit-def: $vgpr9
	s_and_saveexec_b64 s[2:3], s[14:15]
	s_cbranch_execz .LBB42_37
.LBB42_124:
	v_add_co_u32_e32 v10, vcc, 0x1000, v2
	v_addc_co_u32_e32 v11, vcc, 0, v3, vcc
	global_load_dword v9, v[10:11], off offset:1024
	s_or_b64 exec, exec, s[2:3]
                                        ; implicit-def: $vgpr10
	s_and_saveexec_b64 s[2:3], s[16:17]
	s_cbranch_execnz .LBB42_38
.LBB42_125:
	s_or_b64 exec, exec, s[2:3]
                                        ; implicit-def: $vgpr11
	s_and_saveexec_b64 s[2:3], s[18:19]
	s_cbranch_execz .LBB42_39
.LBB42_126:
	v_add_co_u32_e32 v12, vcc, 0x1000, v2
	v_addc_co_u32_e32 v13, vcc, 0, v3, vcc
	global_load_dword v11, v[12:13], off offset:3072
	s_or_b64 exec, exec, s[2:3]
                                        ; implicit-def: $vgpr12
	s_and_saveexec_b64 s[2:3], s[20:21]
	s_cbranch_execnz .LBB42_40
.LBB42_127:
	s_or_b64 exec, exec, s[2:3]
                                        ; implicit-def: $vgpr13
	s_and_saveexec_b64 s[2:3], s[22:23]
	s_cbranch_execz .LBB42_41
.LBB42_128:
	v_add_co_u32_e32 v14, vcc, 0x2000, v2
	v_addc_co_u32_e32 v15, vcc, 0, v3, vcc
	global_load_dword v13, v[14:15], off offset:1024
	s_or_b64 exec, exec, s[2:3]
                                        ; implicit-def: $vgpr14
	s_and_saveexec_b64 s[2:3], s[24:25]
	s_cbranch_execnz .LBB42_42
.LBB42_129:
	s_or_b64 exec, exec, s[2:3]
                                        ; implicit-def: $vgpr15
	s_and_saveexec_b64 s[2:3], s[26:27]
	s_cbranch_execz .LBB42_43
.LBB42_130:
	v_add_co_u32_e32 v16, vcc, 0x2000, v2
	v_addc_co_u32_e32 v17, vcc, 0, v3, vcc
	global_load_dword v15, v[16:17], off offset:3072
	s_or_b64 exec, exec, s[2:3]
                                        ; implicit-def: $vgpr16
	s_and_saveexec_b64 s[2:3], s[28:29]
	s_cbranch_execz .LBB42_45
	s_branch .LBB42_44
.LBB42_131:
                                        ; implicit-def: $vgpr42_vgpr43
                                        ; implicit-def: $vgpr44
                                        ; implicit-def: $vgpr40_vgpr41
                                        ; implicit-def: $vgpr36_vgpr37
                                        ; implicit-def: $vgpr32_vgpr33
                                        ; implicit-def: $vgpr30_vgpr31
                                        ; implicit-def: $vgpr28_vgpr29
                                        ; implicit-def: $vgpr26_vgpr27
	s_cbranch_execz .LBB42_157
; %bb.132:
	s_cmp_lg_u64 s[48:49], 0
	s_cselect_b64 s[6:7], -1, 0
	v_cmp_eq_u32_e32 vcc, 0, v0
	s_mov_b32 s30, 0
	v_cmp_ne_u32_e64 s[2:3], 0, v0
	s_and_b64 s[6:7], vcc, s[6:7]
	s_and_saveexec_b64 s[8:9], s[6:7]
	s_cbranch_execz .LBB42_134
; %bb.133:
	v_mov_b32_e32 v26, 0
	global_load_ubyte v28, v26, s[48:49] offset:4
	s_load_dword s6, s[48:49], 0x0
	s_mov_b32 s31, 1
	v_and_b32_e32 v27, 1, v39
	s_waitcnt lgkmcnt(0)
	v_mov_b32_e32 v29, s6
	v_cmp_gt_u64_e64 s[6:7], s[30:31], v[38:39]
	v_cndmask_b32_e64 v29, 0, v29, s[6:7]
	v_cmp_eq_u64_e64 s[6:7], 0, v[26:27]
	v_add_u32_e32 v38, v29, v38
	s_waitcnt vmcnt(0)
	v_and_b32_e32 v28, 1, v28
	v_cndmask_b32_e64 v39, 1, v28, s[6:7]
.LBB42_134:
	s_or_b64 exec, exec, s[8:9]
	s_mov_b32 s31, 1
	v_cmp_gt_u64_e64 s[6:7], s[30:31], v[2:3]
	v_cndmask_b32_e64 v26, 0, v38, s[6:7]
	v_add_u32_e32 v26, v26, v2
	v_cmp_gt_u64_e64 s[8:9], s[30:31], v[4:5]
	v_cndmask_b32_e64 v27, 0, v26, s[8:9]
	v_add_u32_e32 v27, v27, v4
	;; [unrolled: 3-line block ×11, first 2 shown]
	v_cmp_gt_u64_e64 s[28:29], s[30:31], v[24:25]
	v_mov_b32_e32 v42, 0
	v_cndmask_b32_e64 v41, 0, v40, s[28:29]
	v_or3_b32 v7, v23, v15, v7
	v_add_u32_e32 v41, v41, v24
	v_cmp_gt_u64_e64 s[30:31], s[30:31], v[34:35]
	v_or3_b32 v9, v25, v17, v9
	v_and_b32_e32 v51, 1, v7
	v_mov_b32_e32 v50, v42
	v_cndmask_b32_e64 v43, 0, v41, s[30:31]
	v_or3_b32 v3, v19, v11, v3
	v_and_b32_e32 v49, 1, v9
	v_mov_b32_e32 v48, v42
	v_cmp_ne_u64_e64 s[36:37], 0, v[50:51]
	v_add_u32_e32 v44, v43, v34
	v_or3_b32 v5, v21, v13, v5
	v_and_b32_e32 v43, 1, v3
	v_cndmask_b32_e64 v3, 0, 1, s[36:37]
	v_cmp_ne_u64_e64 s[36:37], 0, v[48:49]
	v_and_b32_e32 v47, 1, v5
	v_mov_b32_e32 v46, v42
	v_cndmask_b32_e64 v5, 0, 1, s[36:37]
	v_lshlrev_b16_e32 v3, 2, v3
	v_lshlrev_b16_e32 v5, 3, v5
	v_cmp_ne_u64_e64 s[36:37], 0, v[46:47]
	v_or_b32_e32 v3, v5, v3
	v_cndmask_b32_e64 v5, 0, 1, s[36:37]
	v_cmp_ne_u64_e64 s[36:37], 0, v[42:43]
	v_lshlrev_b16_e32 v5, 1, v5
	v_cndmask_b32_e64 v7, 0, 1, s[36:37]
	v_or_b32_e32 v5, v7, v5
	v_and_b32_e32 v5, 3, v5
	v_or_b32_e32 v3, v5, v3
	v_and_b32_e32 v35, 1, v35
	v_and_b32_e32 v3, 15, v3
	v_cmp_eq_u32_e64 s[34:35], 1, v35
	v_cmp_ne_u16_e64 s[36:37], 0, v3
	s_or_b64 s[34:35], s[34:35], s[36:37]
	v_cndmask_b32_e64 v5, v39, 1, s[34:35]
	v_and_b32_e32 v7, 0xff, v5
	v_mbcnt_hi_u32_b32 v1, -1, v1
	v_mov_b32_dpp v3, v44 row_shr:1 row_mask:0xf bank_mask:0xf
	v_mov_b32_dpp v9, v7 row_shr:1 row_mask:0xf bank_mask:0xf
	v_cmp_eq_u16_e64 s[34:35], 0, v7
	v_and_b32_e32 v13, 1, v5
	v_and_b32_e32 v11, 15, v1
	v_cndmask_b32_e64 v3, 0, v3, s[34:35]
	v_and_b32_e32 v9, 1, v9
	v_cmp_eq_u32_e64 s[34:35], 1, v13
	v_cndmask_b32_e64 v13, v9, 1, s[34:35]
	v_cmp_eq_u32_e64 s[34:35], 0, v11
	v_and_b32_e32 v9, 0xffff, v13
	v_cndmask_b32_e64 v3, v3, 0, s[34:35]
	v_add_u32_e32 v3, v44, v3
	v_cndmask_b32_e64 v7, v9, v7, s[34:35]
	v_cndmask_b32_e64 v5, v13, v5, s[34:35]
	v_mov_b32_dpp v15, v3 row_shr:2 row_mask:0xf bank_mask:0xf
	v_mov_b32_dpp v17, v7 row_shr:2 row_mask:0xf bank_mask:0xf
	v_cmp_lt_u32_e64 s[34:35], 1, v11
	v_mov_b32_e32 v9, v7
	s_and_saveexec_b64 s[36:37], s[34:35]
; %bb.135:
	v_and_b32_e32 v5, 1, v13
	v_and_b32_e32 v7, 1, v17
	v_cmp_eq_u32_e64 s[34:35], 1, v5
	v_cndmask_b32_e64 v5, v7, 1, s[34:35]
	v_cmp_eq_u16_e64 s[34:35], 0, v13
	v_cndmask_b32_e64 v7, 0, v15, s[34:35]
	v_and_b32_e32 v9, 0xffff, v5
	v_add_u32_e32 v3, v3, v7
	v_mov_b32_e32 v7, v5
; %bb.136:
	s_or_b64 exec, exec, s[36:37]
	v_mov_b32_dpp v13, v3 row_shr:4 row_mask:0xf bank_mask:0xf
	v_mov_b32_dpp v15, v9 row_shr:4 row_mask:0xf bank_mask:0xf
	v_cmp_lt_u32_e64 s[34:35], 3, v11
	s_and_saveexec_b64 s[36:37], s[34:35]
; %bb.137:
	v_and_b32_e32 v5, 1, v7
	v_and_b32_e32 v9, 1, v15
	v_cmp_eq_u32_e64 s[34:35], 1, v5
	v_cndmask_b32_e64 v5, v9, 1, s[34:35]
	v_cmp_eq_u16_e64 s[34:35], 0, v7
	v_cndmask_b32_e64 v7, 0, v13, s[34:35]
	v_and_b32_e32 v9, 0xffff, v5
	v_add_u32_e32 v3, v7, v3
	v_mov_b32_e32 v7, v5
; %bb.138:
	s_or_b64 exec, exec, s[36:37]
	v_mov_b32_dpp v13, v3 row_shr:8 row_mask:0xf bank_mask:0xf
	v_mov_b32_dpp v15, v9 row_shr:8 row_mask:0xf bank_mask:0xf
	v_cmp_lt_u32_e64 s[34:35], 7, v11
	s_and_saveexec_b64 s[36:37], s[34:35]
; %bb.139:
	v_and_b32_e32 v5, 1, v7
	v_and_b32_e32 v9, 1, v15
	v_cmp_eq_u32_e64 s[34:35], 1, v5
	v_cndmask_b32_e64 v5, v9, 1, s[34:35]
	v_cmp_eq_u16_e64 s[34:35], 0, v7
	v_cndmask_b32_e64 v7, 0, v13, s[34:35]
	v_and_b32_e32 v9, 0xffff, v5
	v_add_u32_e32 v3, v7, v3
	v_mov_b32_e32 v7, v5
; %bb.140:
	s_or_b64 exec, exec, s[36:37]
	v_and_b32_e32 v15, 16, v1
	v_mov_b32_dpp v11, v3 row_bcast:15 row_mask:0xf bank_mask:0xf
	v_mov_b32_dpp v13, v9 row_bcast:15 row_mask:0xf bank_mask:0xf
	v_cmp_ne_u32_e64 s[34:35], 0, v15
	s_and_saveexec_b64 s[36:37], s[34:35]
; %bb.141:
	v_and_b32_e32 v5, 1, v7
	v_and_b32_e32 v9, 1, v13
	v_cmp_eq_u32_e64 s[34:35], 1, v5
	v_cndmask_b32_e64 v5, v9, 1, s[34:35]
	v_cmp_eq_u16_e64 s[34:35], 0, v7
	v_cndmask_b32_e64 v7, 0, v11, s[34:35]
	v_and_b32_e32 v9, 0xffff, v5
	v_add_u32_e32 v3, v7, v3
	v_mov_b32_e32 v7, v5
; %bb.142:
	s_or_b64 exec, exec, s[36:37]
	v_mov_b32_e32 v13, 0
	v_mov_b32_dpp v9, v9 row_bcast:31 row_mask:0xf bank_mask:0xf
	v_cmp_eq_u16_sdwa s[36:37], v7, v13 src0_sel:BYTE_0 src1_sel:DWORD
	v_and_b32_e32 v7, 1, v7
	v_and_b32_e32 v9, 1, v9
	v_cmp_eq_u32_e64 s[34:35], 1, v7
	v_cndmask_b32_e64 v7, v9, 1, s[34:35]
	v_cmp_lt_u32_e64 s[34:35], 31, v1
	v_mov_b32_dpp v11, v3 row_bcast:31 row_mask:0xf bank_mask:0xf
	v_cndmask_b32_e64 v5, v5, v7, s[34:35]
	s_and_b64 s[34:35], s[34:35], s[36:37]
	v_cndmask_b32_e64 v7, 0, v11, s[34:35]
	v_or_b32_e32 v9, 63, v0
	v_add_u32_e32 v3, v7, v3
	v_lshrrev_b32_e32 v7, 6, v0
	v_cmp_eq_u32_e64 s[34:35], v9, v0
	s_and_saveexec_b64 s[36:37], s[34:35]
	s_cbranch_execz .LBB42_144
; %bb.143:
	v_lshlrev_b32_e32 v9, 3, v7
	ds_write_b32 v9, v3
	ds_write_b8 v9, v5 offset:4
.LBB42_144:
	s_or_b64 exec, exec, s[36:37]
	v_cmp_gt_u32_e64 s[34:35], 4, v0
	s_waitcnt lgkmcnt(0)
	s_barrier
	s_and_saveexec_b64 s[36:37], s[34:35]
	s_cbranch_execz .LBB42_150
; %bb.145:
	v_lshlrev_b32_e32 v9, 3, v0
	ds_read_b64 v[42:43], v9
	v_and_b32_e32 v11, 3, v1
	v_cmp_ne_u32_e64 s[34:35], 0, v11
	s_waitcnt lgkmcnt(0)
	v_mov_b32_dpp v15, v42 row_shr:1 row_mask:0xf bank_mask:0xf
	v_mov_b32_dpp v17, v43 row_shr:1 row_mask:0xf bank_mask:0xf
	v_mov_b32_e32 v13, v43
	s_and_saveexec_b64 s[44:45], s[34:35]
	s_cbranch_execz .LBB42_147
; %bb.146:
	v_and_b32_e32 v13, 1, v43
	v_and_b32_e32 v17, 1, v17
	v_cmp_eq_u32_e64 s[34:35], 1, v13
	v_mov_b32_e32 v13, 0
	v_cndmask_b32_e64 v17, v17, 1, s[34:35]
	v_cmp_eq_u16_sdwa s[34:35], v43, v13 src0_sel:BYTE_0 src1_sel:DWORD
	v_cndmask_b32_e64 v13, 0, v15, s[34:35]
	v_add_u32_e32 v42, v13, v42
	v_and_b32_e32 v13, 0xffff, v17
	s_movk_i32 s34, 0xff00
	v_and_or_b32 v13, v43, s34, v13
	v_mov_b32_e32 v43, v17
.LBB42_147:
	s_or_b64 exec, exec, s[44:45]
	v_mov_b32_dpp v15, v42 row_shr:2 row_mask:0xf bank_mask:0xf
	v_mov_b32_dpp v17, v13 row_shr:2 row_mask:0xf bank_mask:0xf
	v_cmp_lt_u32_e64 s[34:35], 1, v11
	s_and_saveexec_b64 s[44:45], s[34:35]
; %bb.148:
	v_and_b32_e32 v11, 1, v13
	v_and_b32_e32 v17, 1, v17
	v_cmp_eq_u32_e64 s[34:35], 1, v11
	v_mov_b32_e32 v11, 0
	v_cndmask_b32_e64 v43, v17, 1, s[34:35]
	v_cmp_eq_u32_sdwa s[34:35], v13, v11 src0_sel:BYTE_0 src1_sel:DWORD
	v_cndmask_b32_e64 v11, 0, v15, s[34:35]
	v_add_u32_e32 v42, v11, v42
; %bb.149:
	s_or_b64 exec, exec, s[44:45]
	ds_write_b32 v9, v42
	ds_write_b8 v9, v43 offset:4
.LBB42_150:
	s_or_b64 exec, exec, s[36:37]
	v_cmp_lt_u32_e64 s[34:35], 63, v0
	v_mov_b32_e32 v9, 0
	s_waitcnt lgkmcnt(0)
	s_barrier
	s_and_saveexec_b64 s[36:37], s[34:35]
	s_cbranch_execz .LBB42_152
; %bb.151:
	v_lshl_add_u32 v7, v7, 3, -8
	ds_read_b32 v9, v7
	v_mov_b32_e32 v7, 0
	v_cmp_eq_u16_sdwa s[34:35], v5, v7 src0_sel:BYTE_0 src1_sel:DWORD
	s_waitcnt lgkmcnt(0)
	v_cndmask_b32_e64 v5, 0, v9, s[34:35]
	v_add_u32_e32 v3, v5, v3
.LBB42_152:
	s_or_b64 exec, exec, s[36:37]
	v_add_u32_e32 v5, -1, v1
	v_and_b32_e32 v7, 64, v1
	v_cmp_lt_i32_e64 s[34:35], v5, v7
	v_cndmask_b32_e64 v5, v5, v1, s[34:35]
	v_lshlrev_b32_e32 v5, 2, v5
	ds_bpermute_b32 v3, v5, v3
	s_and_saveexec_b64 s[34:35], s[2:3]
	s_cbranch_execz .LBB42_154
; %bb.153:
	s_mov_b32 s36, 0
	s_mov_b32 s37, 1
	v_cmp_eq_u32_e64 s[2:3], 0, v1
	s_waitcnt lgkmcnt(0)
	v_cndmask_b32_e64 v1, v3, v9, s[2:3]
	v_cmp_gt_u64_e64 s[2:3], s[36:37], v[38:39]
	v_cndmask_b32_e64 v1, 0, v1, s[2:3]
	v_add_u32_e32 v38, v1, v38
	v_cndmask_b32_e64 v1, 0, v38, s[6:7]
	v_add_u32_e32 v26, v1, v2
	;; [unrolled: 2-line block ×14, first 2 shown]
.LBB42_154:
	s_or_b64 exec, exec, s[34:35]
	s_and_saveexec_b64 s[2:3], vcc
	s_cbranch_execz .LBB42_156
; %bb.155:
	v_mov_b32_e32 v5, 0
	ds_read_b32 v2, v5 offset:24
	s_waitcnt lgkmcnt(1)
	ds_read_u8 v3, v5 offset:28
	s_add_u32 s6, s40, 0x400
	s_addc_u32 s7, s41, 0
	v_mov_b32_e32 v4, 2
	v_pk_mov_b32 v[6:7], s[6:7], s[6:7] op_sel:[0,1]
	s_waitcnt lgkmcnt(0)
	;;#ASMSTART
	global_store_dwordx4 v[6:7], v[2:5] off	
s_waitcnt vmcnt(0)
	;;#ASMEND
.LBB42_156:
	s_or_b64 exec, exec, s[2:3]
	v_pk_mov_b32 v[42:43], v[38:39], v[38:39] op_sel:[0,1]
.LBB42_157:
	s_load_dwordx2 s[2:3], s[4:5], 0x18
	s_lshl_b64 s[4:5], s[38:39], 3
	v_mul_u32_u24_e32 v2, 14, v0
	v_lshlrev_b32_e32 v18, 3, v0
	s_waitcnt lgkmcnt(0)
	s_add_u32 s2, s2, s4
	s_addc_u32 s3, s3, s5
	s_and_b64 vcc, exec, s[0:1]
	s_cbranch_vccz .LBB42_185
; %bb.158:
	v_lshlrev_b32_e32 v19, 2, v2
	s_movk_i32 s0, 0xffcc
	v_mad_i32_i24 v3, v0, s0, v19
	s_barrier
	ds_write2_b32 v19, v26, v27 offset0:1 offset1:2
	ds_write2_b32 v19, v28, v29 offset0:3 offset1:4
	;; [unrolled: 1-line block ×6, first 2 shown]
	ds_write2_b32 v19, v42, v44 offset1:13
	s_waitcnt lgkmcnt(0)
	s_barrier
	ds_read2st64_b32 v[16:17], v3 offset0:4 offset1:8
	ds_read2st64_b32 v[14:15], v3 offset0:12 offset1:16
	;; [unrolled: 1-line block ×6, first 2 shown]
	ds_read_b32 v3, v3 offset:13312
	v_mov_b32_e32 v7, s3
	v_add_co_u32_e32 v6, vcc, s2, v18
	s_add_i32 s33, s33, s42
	v_addc_co_u32_e32 v7, vcc, 0, v7, vcc
	v_mov_b32_e32 v1, 0
	v_cmp_gt_u32_e32 vcc, s33, v0
	s_and_saveexec_b64 s[0:1], vcc
	s_cbranch_execz .LBB42_160
; %bb.159:
	v_mul_i32_i24_e32 v20, 0xffffffcc, v0
	v_add_u32_e32 v19, v19, v20
	ds_read_b32 v20, v19
	s_waitcnt lgkmcnt(0)
	v_ashrrev_i32_e32 v21, 31, v20
	global_store_dwordx2 v[6:7], v[20:21], off
.LBB42_160:
	s_or_b64 exec, exec, s[0:1]
	v_or_b32_e32 v19, 0x100, v0
	v_cmp_gt_u32_e32 vcc, s33, v19
	s_and_saveexec_b64 s[0:1], vcc
	s_cbranch_execz .LBB42_162
; %bb.161:
	s_waitcnt lgkmcnt(6)
	v_ashrrev_i32_e32 v21, 31, v16
	v_mov_b32_e32 v20, v16
	global_store_dwordx2 v[6:7], v[20:21], off offset:2048
.LBB42_162:
	s_or_b64 exec, exec, s[0:1]
	s_waitcnt lgkmcnt(6)
	v_or_b32_e32 v16, 0x200, v0
	v_cmp_gt_u32_e32 vcc, s33, v16
	s_and_saveexec_b64 s[0:1], vcc
	s_cbranch_execz .LBB42_164
; %bb.163:
	v_add_co_u32_e32 v16, vcc, 0x1000, v6
	v_ashrrev_i32_e32 v21, 31, v17
	v_mov_b32_e32 v20, v17
	v_addc_co_u32_e32 v17, vcc, 0, v7, vcc
	global_store_dwordx2 v[16:17], v[20:21], off
.LBB42_164:
	s_or_b64 exec, exec, s[0:1]
	v_or_b32_e32 v16, 0x300, v0
	v_cmp_gt_u32_e32 vcc, s33, v16
	s_and_saveexec_b64 s[0:1], vcc
	s_cbranch_execz .LBB42_166
; %bb.165:
	v_add_co_u32_e32 v20, vcc, 0x1000, v6
	s_waitcnt lgkmcnt(5)
	v_ashrrev_i32_e32 v17, 31, v14
	v_mov_b32_e32 v16, v14
	v_addc_co_u32_e32 v21, vcc, 0, v7, vcc
	global_store_dwordx2 v[20:21], v[16:17], off offset:2048
.LBB42_166:
	s_or_b64 exec, exec, s[0:1]
	s_waitcnt lgkmcnt(5)
	v_or_b32_e32 v14, 0x400, v0
	v_cmp_gt_u32_e32 vcc, s33, v14
	s_and_saveexec_b64 s[0:1], vcc
	s_cbranch_execz .LBB42_168
; %bb.167:
	v_add_co_u32_e32 v14, vcc, 0x2000, v6
	v_ashrrev_i32_e32 v17, 31, v15
	v_mov_b32_e32 v16, v15
	v_addc_co_u32_e32 v15, vcc, 0, v7, vcc
	global_store_dwordx2 v[14:15], v[16:17], off
.LBB42_168:
	s_or_b64 exec, exec, s[0:1]
	v_or_b32_e32 v14, 0x500, v0
	v_cmp_gt_u32_e32 vcc, s33, v14
	s_and_saveexec_b64 s[0:1], vcc
	s_cbranch_execz .LBB42_170
; %bb.169:
	v_add_co_u32_e32 v16, vcc, 0x2000, v6
	s_waitcnt lgkmcnt(4)
	v_ashrrev_i32_e32 v15, 31, v12
	v_mov_b32_e32 v14, v12
	v_addc_co_u32_e32 v17, vcc, 0, v7, vcc
	global_store_dwordx2 v[16:17], v[14:15], off offset:2048
.LBB42_170:
	;; [unrolled: 26-line block ×5, first 2 shown]
	s_or_b64 exec, exec, s[0:1]
	s_waitcnt lgkmcnt(1)
	v_or_b32_e32 v4, 0xc00, v0
	v_cmp_gt_u32_e32 vcc, s33, v4
	s_and_saveexec_b64 s[0:1], vcc
	s_cbranch_execz .LBB42_184
; %bb.183:
	v_add_co_u32_e32 v4, vcc, 0x6000, v6
	v_ashrrev_i32_e32 v9, 31, v5
	v_mov_b32_e32 v8, v5
	v_addc_co_u32_e32 v5, vcc, 0, v7, vcc
	global_store_dwordx2 v[4:5], v[8:9], off
.LBB42_184:
	s_or_b64 exec, exec, s[0:1]
	v_or_b32_e32 v4, 0xd00, v0
	v_cmp_gt_u32_e64 s[0:1], s33, v4
	s_branch .LBB42_187
.LBB42_185:
	s_mov_b64 s[0:1], 0
                                        ; implicit-def: $vgpr3
	s_cbranch_execz .LBB42_187
; %bb.186:
	v_lshlrev_b32_e32 v1, 2, v2
	s_movk_i32 s4, 0xffcc
	v_mad_i32_i24 v19, v0, s4, v1
	s_waitcnt lgkmcnt(0)
	s_barrier
	ds_write2_b32 v1, v26, v27 offset0:1 offset1:2
	ds_write2_b32 v1, v28, v29 offset0:3 offset1:4
	;; [unrolled: 1-line block ×6, first 2 shown]
	ds_write2_b32 v1, v42, v44 offset1:13
	s_waitcnt lgkmcnt(0)
	s_barrier
	ds_read2st64_b32 v[2:3], v19 offset1:4
	ds_read2st64_b32 v[6:7], v19 offset0:8 offset1:12
	ds_read2st64_b32 v[14:15], v19 offset0:24 offset1:28
	;; [unrolled: 1-line block ×3, first 2 shown]
	s_movk_i32 s4, 0x1000
	s_waitcnt lgkmcnt(3)
	v_ashrrev_i32_e32 v5, 31, v2
	v_mov_b32_e32 v4, v2
	v_ashrrev_i32_e32 v9, 31, v3
	v_mov_b32_e32 v8, v3
	ds_read2st64_b32 v[2:3], v19 offset0:16 offset1:20
	s_waitcnt lgkmcnt(3)
	v_ashrrev_i32_e32 v11, 31, v6
	v_mov_b32_e32 v10, v6
	v_ashrrev_i32_e32 v13, 31, v7
	v_mov_b32_e32 v12, v7
	s_waitcnt lgkmcnt(0)
	v_ashrrev_i32_e32 v7, 31, v2
	v_mov_b32_e32 v6, v2
	v_ashrrev_i32_e32 v17, 31, v3
	v_mov_b32_e32 v16, v3
	ds_read2st64_b32 v[2:3], v19 offset0:32 offset1:36
	v_ashrrev_i32_e32 v21, 31, v14
	v_mov_b32_e32 v20, v14
	v_ashrrev_i32_e32 v23, 31, v15
	v_mov_b32_e32 v22, v15
	s_waitcnt lgkmcnt(0)
	v_ashrrev_i32_e32 v15, 31, v2
	v_mov_b32_e32 v14, v2
	v_ashrrev_i32_e32 v27, 31, v3
	v_mov_b32_e32 v26, v3
	ds_read2st64_b32 v[2:3], v19 offset0:48 offset1:52
	v_ashrrev_i32_e32 v29, 31, v24
	v_mov_b32_e32 v28, v24
	v_ashrrev_i32_e32 v31, 31, v25
	v_mov_b32_e32 v30, v25
	s_waitcnt lgkmcnt(0)
	v_ashrrev_i32_e32 v25, 31, v2
	v_mov_b32_e32 v24, v2
	v_mov_b32_e32 v2, s3
	v_add_co_u32_e32 v19, vcc, s2, v18
	v_addc_co_u32_e32 v2, vcc, 0, v2, vcc
	global_store_dwordx2 v18, v[4:5], s[2:3]
	global_store_dwordx2 v18, v[8:9], s[2:3] offset:2048
	v_add_co_u32_e32 v4, vcc, s4, v19
	v_addc_co_u32_e32 v5, vcc, 0, v2, vcc
	s_movk_i32 s4, 0x2000
	v_add_co_u32_e32 v8, vcc, s4, v19
	v_addc_co_u32_e32 v9, vcc, 0, v2, vcc
	s_movk_i32 s4, 0x3000
	global_store_dwordx2 v[8:9], v[10:11], off offset:-4096
	global_store_dwordx2 v[4:5], v[12:13], off offset:2048
	global_store_dwordx2 v[8:9], v[6:7], off
	global_store_dwordx2 v[8:9], v[16:17], off offset:2048
	v_add_co_u32_e32 v4, vcc, s4, v19
	v_addc_co_u32_e32 v5, vcc, 0, v2, vcc
	s_movk_i32 s4, 0x4000
	v_add_co_u32_e32 v6, vcc, s4, v19
	v_addc_co_u32_e32 v7, vcc, 0, v2, vcc
	global_store_dwordx2 v[6:7], v[20:21], off offset:-4096
	global_store_dwordx2 v[4:5], v[22:23], off offset:2048
	global_store_dwordx2 v[6:7], v[14:15], off
	global_store_dwordx2 v[6:7], v[26:27], off offset:2048
	v_add_co_u32_e32 v4, vcc, 0x5000, v19
	v_addc_co_u32_e32 v5, vcc, 0, v2, vcc
	global_store_dwordx2 v[4:5], v[28:29], off
	global_store_dwordx2 v[4:5], v[30:31], off offset:2048
	v_add_co_u32_e32 v4, vcc, 0x6000, v19
	v_mov_b32_e32 v1, 0
	v_addc_co_u32_e32 v5, vcc, 0, v2, vcc
	s_or_b64 s[0:1], s[0:1], exec
	global_store_dwordx2 v[4:5], v[24:25], off
.LBB42_187:
	s_and_saveexec_b64 s[4:5], s[0:1]
	s_cbranch_execz .LBB42_189
; %bb.188:
	v_lshlrev_b64 v[0:1], 3, v[0:1]
	v_mov_b32_e32 v2, s3
	v_add_co_u32_e32 v4, vcc, s2, v0
	v_addc_co_u32_e32 v5, vcc, v2, v1, vcc
	v_add_co_u32_e32 v2, vcc, 0x6000, v4
	s_waitcnt lgkmcnt(0)
	v_ashrrev_i32_e32 v1, 31, v3
	v_mov_b32_e32 v0, v3
	v_addc_co_u32_e32 v3, vcc, 0, v5, vcc
	global_store_dwordx2 v[2:3], v[0:1], off offset:2048
	s_endpgm
.LBB42_189:
	s_endpgm
	.section	.rodata,"a",@progbits
	.p2align	6, 0x0
	.amdhsa_kernel _ZN7rocprim6detail25device_scan_by_key_kernelILNS0_25lookback_scan_determinismE0ELb0ENS0_26wrapped_scan_by_key_configINS_14default_configEiiEEPiN6hipcub22TransformInputIteratorIiNS7_6CastOpIiEES6_lEEPliNS7_8EqualityENS7_3SumENS0_19lookback_scan_stateINS_5tupleIJibEEELb0ELb1EEEiEEvT2_T3_T4_T5_T6_T7_T8_mmmPKNSG_IJT9_bEEE
		.amdhsa_group_segment_fixed_size 16384
		.amdhsa_private_segment_fixed_size 0
		.amdhsa_kernarg_size 80
		.amdhsa_user_sgpr_count 6
		.amdhsa_user_sgpr_private_segment_buffer 1
		.amdhsa_user_sgpr_dispatch_ptr 0
		.amdhsa_user_sgpr_queue_ptr 0
		.amdhsa_user_sgpr_kernarg_segment_ptr 1
		.amdhsa_user_sgpr_dispatch_id 0
		.amdhsa_user_sgpr_flat_scratch_init 0
		.amdhsa_user_sgpr_kernarg_preload_length 0
		.amdhsa_user_sgpr_kernarg_preload_offset 0
		.amdhsa_user_sgpr_private_segment_size 0
		.amdhsa_uses_dynamic_stack 0
		.amdhsa_system_sgpr_private_segment_wavefront_offset 0
		.amdhsa_system_sgpr_workgroup_id_x 1
		.amdhsa_system_sgpr_workgroup_id_y 0
		.amdhsa_system_sgpr_workgroup_id_z 0
		.amdhsa_system_sgpr_workgroup_info 0
		.amdhsa_system_vgpr_workitem_id 0
		.amdhsa_next_free_vgpr 62
		.amdhsa_next_free_sgpr 56
		.amdhsa_accum_offset 64
		.amdhsa_reserve_vcc 1
		.amdhsa_reserve_flat_scratch 0
		.amdhsa_float_round_mode_32 0
		.amdhsa_float_round_mode_16_64 0
		.amdhsa_float_denorm_mode_32 3
		.amdhsa_float_denorm_mode_16_64 3
		.amdhsa_dx10_clamp 1
		.amdhsa_ieee_mode 1
		.amdhsa_fp16_overflow 0
		.amdhsa_tg_split 0
		.amdhsa_exception_fp_ieee_invalid_op 0
		.amdhsa_exception_fp_denorm_src 0
		.amdhsa_exception_fp_ieee_div_zero 0
		.amdhsa_exception_fp_ieee_overflow 0
		.amdhsa_exception_fp_ieee_underflow 0
		.amdhsa_exception_fp_ieee_inexact 0
		.amdhsa_exception_int_div_zero 0
	.end_amdhsa_kernel
	.section	.text._ZN7rocprim6detail25device_scan_by_key_kernelILNS0_25lookback_scan_determinismE0ELb0ENS0_26wrapped_scan_by_key_configINS_14default_configEiiEEPiN6hipcub22TransformInputIteratorIiNS7_6CastOpIiEES6_lEEPliNS7_8EqualityENS7_3SumENS0_19lookback_scan_stateINS_5tupleIJibEEELb0ELb1EEEiEEvT2_T3_T4_T5_T6_T7_T8_mmmPKNSG_IJT9_bEEE,"axG",@progbits,_ZN7rocprim6detail25device_scan_by_key_kernelILNS0_25lookback_scan_determinismE0ELb0ENS0_26wrapped_scan_by_key_configINS_14default_configEiiEEPiN6hipcub22TransformInputIteratorIiNS7_6CastOpIiEES6_lEEPliNS7_8EqualityENS7_3SumENS0_19lookback_scan_stateINS_5tupleIJibEEELb0ELb1EEEiEEvT2_T3_T4_T5_T6_T7_T8_mmmPKNSG_IJT9_bEEE,comdat
.Lfunc_end42:
	.size	_ZN7rocprim6detail25device_scan_by_key_kernelILNS0_25lookback_scan_determinismE0ELb0ENS0_26wrapped_scan_by_key_configINS_14default_configEiiEEPiN6hipcub22TransformInputIteratorIiNS7_6CastOpIiEES6_lEEPliNS7_8EqualityENS7_3SumENS0_19lookback_scan_stateINS_5tupleIJibEEELb0ELb1EEEiEEvT2_T3_T4_T5_T6_T7_T8_mmmPKNSG_IJT9_bEEE, .Lfunc_end42-_ZN7rocprim6detail25device_scan_by_key_kernelILNS0_25lookback_scan_determinismE0ELb0ENS0_26wrapped_scan_by_key_configINS_14default_configEiiEEPiN6hipcub22TransformInputIteratorIiNS7_6CastOpIiEES6_lEEPliNS7_8EqualityENS7_3SumENS0_19lookback_scan_stateINS_5tupleIJibEEELb0ELb1EEEiEEvT2_T3_T4_T5_T6_T7_T8_mmmPKNSG_IJT9_bEEE
                                        ; -- End function
	.section	.AMDGPU.csdata,"",@progbits
; Kernel info:
; codeLenInByte = 11024
; NumSgprs: 60
; NumVgprs: 62
; NumAgprs: 0
; TotalNumVgprs: 62
; ScratchSize: 0
; MemoryBound: 0
; FloatMode: 240
; IeeeMode: 1
; LDSByteSize: 16384 bytes/workgroup (compile time only)
; SGPRBlocks: 7
; VGPRBlocks: 7
; NumSGPRsForWavesPerEU: 60
; NumVGPRsForWavesPerEU: 62
; AccumOffset: 64
; Occupancy: 4
; WaveLimiterHint : 1
; COMPUTE_PGM_RSRC2:SCRATCH_EN: 0
; COMPUTE_PGM_RSRC2:USER_SGPR: 6
; COMPUTE_PGM_RSRC2:TRAP_HANDLER: 0
; COMPUTE_PGM_RSRC2:TGID_X_EN: 1
; COMPUTE_PGM_RSRC2:TGID_Y_EN: 0
; COMPUTE_PGM_RSRC2:TGID_Z_EN: 0
; COMPUTE_PGM_RSRC2:TIDIG_COMP_CNT: 0
; COMPUTE_PGM_RSRC3_GFX90A:ACCUM_OFFSET: 15
; COMPUTE_PGM_RSRC3_GFX90A:TG_SPLIT: 0
	.section	.text._ZN7rocprim6detail31init_lookback_scan_state_kernelINS0_19lookback_scan_stateINS_5tupleIJ6__halfbEEELb1ELb1EEEEEvT_jjPNS7_10value_typeE,"axG",@progbits,_ZN7rocprim6detail31init_lookback_scan_state_kernelINS0_19lookback_scan_stateINS_5tupleIJ6__halfbEEELb1ELb1EEEEEvT_jjPNS7_10value_typeE,comdat
	.protected	_ZN7rocprim6detail31init_lookback_scan_state_kernelINS0_19lookback_scan_stateINS_5tupleIJ6__halfbEEELb1ELb1EEEEEvT_jjPNS7_10value_typeE ; -- Begin function _ZN7rocprim6detail31init_lookback_scan_state_kernelINS0_19lookback_scan_stateINS_5tupleIJ6__halfbEEELb1ELb1EEEEEvT_jjPNS7_10value_typeE
	.globl	_ZN7rocprim6detail31init_lookback_scan_state_kernelINS0_19lookback_scan_stateINS_5tupleIJ6__halfbEEELb1ELb1EEEEEvT_jjPNS7_10value_typeE
	.p2align	8
	.type	_ZN7rocprim6detail31init_lookback_scan_state_kernelINS0_19lookback_scan_stateINS_5tupleIJ6__halfbEEELb1ELb1EEEEEvT_jjPNS7_10value_typeE,@function
_ZN7rocprim6detail31init_lookback_scan_state_kernelINS0_19lookback_scan_stateINS_5tupleIJ6__halfbEEELb1ELb1EEEEEvT_jjPNS7_10value_typeE: ; @_ZN7rocprim6detail31init_lookback_scan_state_kernelINS0_19lookback_scan_stateINS_5tupleIJ6__halfbEEELb1ELb1EEEEEvT_jjPNS7_10value_typeE
; %bb.0:
	s_load_dword s7, s[4:5], 0x24
	s_load_dwordx2 s[8:9], s[4:5], 0x10
	s_load_dwordx4 s[0:3], s[4:5], 0x0
	s_waitcnt lgkmcnt(0)
	s_and_b32 s4, s7, 0xffff
	s_mul_i32 s6, s6, s4
	s_cmp_eq_u64 s[8:9], 0
	v_add_u32_e32 v0, s6, v0
	s_cbranch_scc1 .LBB43_9
; %bb.1:
	s_cmp_lt_u32 s3, s2
	s_cselect_b32 s4, s3, 0
	s_mov_b32 s7, 0
	v_cmp_eq_u32_e32 vcc, s4, v0
	s_and_saveexec_b64 s[4:5], vcc
	s_cbranch_execz .LBB43_8
; %bb.2:
	s_add_i32 s6, s3, 64
	s_lshl_b64 s[6:7], s[6:7], 3
	s_add_u32 s6, s0, s6
	s_addc_u32 s7, s1, s7
	v_mov_b32_e32 v2, 0
	global_load_dwordx2 v[4:5], v2, s[6:7] glc
	s_waitcnt vmcnt(0)
	v_and_b32_e32 v3, 0xff, v5
	v_cmp_ne_u64_e32 vcc, 0, v[2:3]
	s_cbranch_vccnz .LBB43_7
; %bb.3:
	s_mov_b32 s3, 1
.LBB43_4:                               ; =>This Loop Header: Depth=1
                                        ;     Child Loop BB43_5 Depth 2
	s_max_u32 s10, s3, 1
.LBB43_5:                               ;   Parent Loop BB43_4 Depth=1
                                        ; =>  This Inner Loop Header: Depth=2
	s_add_i32 s10, s10, -1
	s_cmp_eq_u32 s10, 0
	s_sleep 1
	s_cbranch_scc0 .LBB43_5
; %bb.6:                                ;   in Loop: Header=BB43_4 Depth=1
	global_load_dwordx2 v[4:5], v2, s[6:7] glc
	s_cmp_lt_u32 s3, 32
	s_cselect_b64 s[10:11], -1, 0
	s_cmp_lg_u64 s[10:11], 0
	s_addc_u32 s3, s3, 0
	s_waitcnt vmcnt(0)
	v_and_b32_e32 v3, 0xff, v5
	v_cmp_ne_u64_e32 vcc, 0, v[2:3]
	s_cbranch_vccz .LBB43_4
.LBB43_7:
	v_mov_b32_e32 v1, 0
	global_store_short v1, v4, s[8:9]
	global_store_byte_d16_hi v1, v4, s[8:9] offset:2
.LBB43_8:
	s_or_b64 exec, exec, s[4:5]
.LBB43_9:
	v_cmp_gt_u32_e32 vcc, s2, v0
	s_and_saveexec_b64 s[2:3], vcc
	s_cbranch_execnz .LBB43_12
; %bb.10:
	s_or_b64 exec, exec, s[2:3]
	v_cmp_gt_u32_e32 vcc, 64, v0
	s_and_saveexec_b64 s[2:3], vcc
	s_cbranch_execnz .LBB43_13
.LBB43_11:
	s_endpgm
.LBB43_12:
	v_add_u32_e32 v2, 64, v0
	v_mov_b32_e32 v3, 0
	v_lshlrev_b64 v[4:5], 3, v[2:3]
	v_mov_b32_e32 v1, s1
	v_add_co_u32_e32 v4, vcc, s0, v4
	v_addc_co_u32_e32 v5, vcc, v1, v5, vcc
	v_mov_b32_e32 v2, v3
	global_store_dwordx2 v[4:5], v[2:3], off
	s_or_b64 exec, exec, s[2:3]
	v_cmp_gt_u32_e32 vcc, 64, v0
	s_and_saveexec_b64 s[2:3], vcc
	s_cbranch_execz .LBB43_11
.LBB43_13:
	v_mov_b32_e32 v1, 0
	v_lshlrev_b64 v[2:3], 3, v[0:1]
	v_mov_b32_e32 v0, s1
	v_add_co_u32_e32 v2, vcc, s0, v2
	v_addc_co_u32_e32 v3, vcc, v0, v3, vcc
	v_mov_b32_e32 v5, 0xff
	v_mov_b32_e32 v4, v1
	global_store_dwordx2 v[2:3], v[4:5], off
	s_endpgm
	.section	.rodata,"a",@progbits
	.p2align	6, 0x0
	.amdhsa_kernel _ZN7rocprim6detail31init_lookback_scan_state_kernelINS0_19lookback_scan_stateINS_5tupleIJ6__halfbEEELb1ELb1EEEEEvT_jjPNS7_10value_typeE
		.amdhsa_group_segment_fixed_size 0
		.amdhsa_private_segment_fixed_size 0
		.amdhsa_kernarg_size 280
		.amdhsa_user_sgpr_count 6
		.amdhsa_user_sgpr_private_segment_buffer 1
		.amdhsa_user_sgpr_dispatch_ptr 0
		.amdhsa_user_sgpr_queue_ptr 0
		.amdhsa_user_sgpr_kernarg_segment_ptr 1
		.amdhsa_user_sgpr_dispatch_id 0
		.amdhsa_user_sgpr_flat_scratch_init 0
		.amdhsa_user_sgpr_kernarg_preload_length 0
		.amdhsa_user_sgpr_kernarg_preload_offset 0
		.amdhsa_user_sgpr_private_segment_size 0
		.amdhsa_uses_dynamic_stack 0
		.amdhsa_system_sgpr_private_segment_wavefront_offset 0
		.amdhsa_system_sgpr_workgroup_id_x 1
		.amdhsa_system_sgpr_workgroup_id_y 0
		.amdhsa_system_sgpr_workgroup_id_z 0
		.amdhsa_system_sgpr_workgroup_info 0
		.amdhsa_system_vgpr_workitem_id 0
		.amdhsa_next_free_vgpr 6
		.amdhsa_next_free_sgpr 12
		.amdhsa_accum_offset 8
		.amdhsa_reserve_vcc 1
		.amdhsa_reserve_flat_scratch 0
		.amdhsa_float_round_mode_32 0
		.amdhsa_float_round_mode_16_64 0
		.amdhsa_float_denorm_mode_32 3
		.amdhsa_float_denorm_mode_16_64 3
		.amdhsa_dx10_clamp 1
		.amdhsa_ieee_mode 1
		.amdhsa_fp16_overflow 0
		.amdhsa_tg_split 0
		.amdhsa_exception_fp_ieee_invalid_op 0
		.amdhsa_exception_fp_denorm_src 0
		.amdhsa_exception_fp_ieee_div_zero 0
		.amdhsa_exception_fp_ieee_overflow 0
		.amdhsa_exception_fp_ieee_underflow 0
		.amdhsa_exception_fp_ieee_inexact 0
		.amdhsa_exception_int_div_zero 0
	.end_amdhsa_kernel
	.section	.text._ZN7rocprim6detail31init_lookback_scan_state_kernelINS0_19lookback_scan_stateINS_5tupleIJ6__halfbEEELb1ELb1EEEEEvT_jjPNS7_10value_typeE,"axG",@progbits,_ZN7rocprim6detail31init_lookback_scan_state_kernelINS0_19lookback_scan_stateINS_5tupleIJ6__halfbEEELb1ELb1EEEEEvT_jjPNS7_10value_typeE,comdat
.Lfunc_end43:
	.size	_ZN7rocprim6detail31init_lookback_scan_state_kernelINS0_19lookback_scan_stateINS_5tupleIJ6__halfbEEELb1ELb1EEEEEvT_jjPNS7_10value_typeE, .Lfunc_end43-_ZN7rocprim6detail31init_lookback_scan_state_kernelINS0_19lookback_scan_stateINS_5tupleIJ6__halfbEEELb1ELb1EEEEEvT_jjPNS7_10value_typeE
                                        ; -- End function
	.section	.AMDGPU.csdata,"",@progbits
; Kernel info:
; codeLenInByte = 352
; NumSgprs: 16
; NumVgprs: 6
; NumAgprs: 0
; TotalNumVgprs: 6
; ScratchSize: 0
; MemoryBound: 0
; FloatMode: 240
; IeeeMode: 1
; LDSByteSize: 0 bytes/workgroup (compile time only)
; SGPRBlocks: 1
; VGPRBlocks: 0
; NumSGPRsForWavesPerEU: 16
; NumVGPRsForWavesPerEU: 6
; AccumOffset: 8
; Occupancy: 8
; WaveLimiterHint : 0
; COMPUTE_PGM_RSRC2:SCRATCH_EN: 0
; COMPUTE_PGM_RSRC2:USER_SGPR: 6
; COMPUTE_PGM_RSRC2:TRAP_HANDLER: 0
; COMPUTE_PGM_RSRC2:TGID_X_EN: 1
; COMPUTE_PGM_RSRC2:TGID_Y_EN: 0
; COMPUTE_PGM_RSRC2:TGID_Z_EN: 0
; COMPUTE_PGM_RSRC2:TIDIG_COMP_CNT: 0
; COMPUTE_PGM_RSRC3_GFX90A:ACCUM_OFFSET: 1
; COMPUTE_PGM_RSRC3_GFX90A:TG_SPLIT: 0
	.section	.text._ZN7rocprim6detail31init_lookback_scan_state_kernelINS0_19lookback_scan_stateINS_5tupleIJ6__halfbEEELb0ELb1EEEEEvT_jjPNS7_10value_typeE,"axG",@progbits,_ZN7rocprim6detail31init_lookback_scan_state_kernelINS0_19lookback_scan_stateINS_5tupleIJ6__halfbEEELb0ELb1EEEEEvT_jjPNS7_10value_typeE,comdat
	.protected	_ZN7rocprim6detail31init_lookback_scan_state_kernelINS0_19lookback_scan_stateINS_5tupleIJ6__halfbEEELb0ELb1EEEEEvT_jjPNS7_10value_typeE ; -- Begin function _ZN7rocprim6detail31init_lookback_scan_state_kernelINS0_19lookback_scan_stateINS_5tupleIJ6__halfbEEELb0ELb1EEEEEvT_jjPNS7_10value_typeE
	.globl	_ZN7rocprim6detail31init_lookback_scan_state_kernelINS0_19lookback_scan_stateINS_5tupleIJ6__halfbEEELb0ELb1EEEEEvT_jjPNS7_10value_typeE
	.p2align	8
	.type	_ZN7rocprim6detail31init_lookback_scan_state_kernelINS0_19lookback_scan_stateINS_5tupleIJ6__halfbEEELb0ELb1EEEEEvT_jjPNS7_10value_typeE,@function
_ZN7rocprim6detail31init_lookback_scan_state_kernelINS0_19lookback_scan_stateINS_5tupleIJ6__halfbEEELb0ELb1EEEEEvT_jjPNS7_10value_typeE: ; @_ZN7rocprim6detail31init_lookback_scan_state_kernelINS0_19lookback_scan_stateINS_5tupleIJ6__halfbEEELb0ELb1EEEEEvT_jjPNS7_10value_typeE
; %bb.0:
	s_load_dword s7, s[4:5], 0x24
	s_load_dwordx2 s[8:9], s[4:5], 0x10
	s_load_dwordx4 s[0:3], s[4:5], 0x0
	s_waitcnt lgkmcnt(0)
	s_and_b32 s4, s7, 0xffff
	s_mul_i32 s6, s6, s4
	s_cmp_eq_u64 s[8:9], 0
	v_add_u32_e32 v0, s6, v0
	s_cbranch_scc1 .LBB44_6
; %bb.1:
	s_cmp_lt_u32 s3, s2
	s_cselect_b32 s4, s3, 0
	s_mov_b32 s7, 0
	v_cmp_eq_u32_e32 vcc, s4, v0
	s_and_saveexec_b64 s[4:5], vcc
	s_cbranch_execz .LBB44_5
; %bb.2:
	s_add_i32 s6, s3, 64
	s_lshl_b64 s[6:7], s[6:7], 3
	s_add_u32 s6, s0, s6
	s_addc_u32 s7, s1, s7
	v_mov_b32_e32 v4, 0
	global_load_dwordx2 v[2:3], v4, s[6:7] glc
	s_waitcnt vmcnt(0)
	v_and_b32_e32 v5, 0xff, v3
	v_cmp_ne_u64_e32 vcc, 0, v[4:5]
	s_cbranch_vccnz .LBB44_4
.LBB44_3:                               ; =>This Inner Loop Header: Depth=1
	global_load_dwordx2 v[2:3], v4, s[6:7] glc
	s_waitcnt vmcnt(0)
	v_and_b32_e32 v5, 0xff, v3
	v_cmp_eq_u64_e32 vcc, 0, v[4:5]
	s_cbranch_vccnz .LBB44_3
.LBB44_4:
	v_mov_b32_e32 v1, 0
	global_store_short v1, v2, s[8:9]
	global_store_byte_d16_hi v1, v2, s[8:9] offset:2
.LBB44_5:
	s_or_b64 exec, exec, s[4:5]
.LBB44_6:
	v_cmp_gt_u32_e32 vcc, s2, v0
	s_and_saveexec_b64 s[2:3], vcc
	s_cbranch_execnz .LBB44_9
; %bb.7:
	s_or_b64 exec, exec, s[2:3]
	v_cmp_gt_u32_e32 vcc, 64, v0
	s_and_saveexec_b64 s[2:3], vcc
	s_cbranch_execnz .LBB44_10
.LBB44_8:
	s_endpgm
.LBB44_9:
	v_add_u32_e32 v2, 64, v0
	v_mov_b32_e32 v3, 0
	v_lshlrev_b64 v[4:5], 3, v[2:3]
	v_mov_b32_e32 v1, s1
	v_add_co_u32_e32 v4, vcc, s0, v4
	v_addc_co_u32_e32 v5, vcc, v1, v5, vcc
	v_mov_b32_e32 v2, v3
	global_store_dwordx2 v[4:5], v[2:3], off
	s_or_b64 exec, exec, s[2:3]
	v_cmp_gt_u32_e32 vcc, 64, v0
	s_and_saveexec_b64 s[2:3], vcc
	s_cbranch_execz .LBB44_8
.LBB44_10:
	v_mov_b32_e32 v1, 0
	v_lshlrev_b64 v[2:3], 3, v[0:1]
	v_mov_b32_e32 v0, s1
	v_add_co_u32_e32 v2, vcc, s0, v2
	v_addc_co_u32_e32 v3, vcc, v0, v3, vcc
	v_mov_b32_e32 v5, 0xff
	v_mov_b32_e32 v4, v1
	global_store_dwordx2 v[2:3], v[4:5], off
	s_endpgm
	.section	.rodata,"a",@progbits
	.p2align	6, 0x0
	.amdhsa_kernel _ZN7rocprim6detail31init_lookback_scan_state_kernelINS0_19lookback_scan_stateINS_5tupleIJ6__halfbEEELb0ELb1EEEEEvT_jjPNS7_10value_typeE
		.amdhsa_group_segment_fixed_size 0
		.amdhsa_private_segment_fixed_size 0
		.amdhsa_kernarg_size 280
		.amdhsa_user_sgpr_count 6
		.amdhsa_user_sgpr_private_segment_buffer 1
		.amdhsa_user_sgpr_dispatch_ptr 0
		.amdhsa_user_sgpr_queue_ptr 0
		.amdhsa_user_sgpr_kernarg_segment_ptr 1
		.amdhsa_user_sgpr_dispatch_id 0
		.amdhsa_user_sgpr_flat_scratch_init 0
		.amdhsa_user_sgpr_kernarg_preload_length 0
		.amdhsa_user_sgpr_kernarg_preload_offset 0
		.amdhsa_user_sgpr_private_segment_size 0
		.amdhsa_uses_dynamic_stack 0
		.amdhsa_system_sgpr_private_segment_wavefront_offset 0
		.amdhsa_system_sgpr_workgroup_id_x 1
		.amdhsa_system_sgpr_workgroup_id_y 0
		.amdhsa_system_sgpr_workgroup_id_z 0
		.amdhsa_system_sgpr_workgroup_info 0
		.amdhsa_system_vgpr_workitem_id 0
		.amdhsa_next_free_vgpr 6
		.amdhsa_next_free_sgpr 10
		.amdhsa_accum_offset 8
		.amdhsa_reserve_vcc 1
		.amdhsa_reserve_flat_scratch 0
		.amdhsa_float_round_mode_32 0
		.amdhsa_float_round_mode_16_64 0
		.amdhsa_float_denorm_mode_32 3
		.amdhsa_float_denorm_mode_16_64 3
		.amdhsa_dx10_clamp 1
		.amdhsa_ieee_mode 1
		.amdhsa_fp16_overflow 0
		.amdhsa_tg_split 0
		.amdhsa_exception_fp_ieee_invalid_op 0
		.amdhsa_exception_fp_denorm_src 0
		.amdhsa_exception_fp_ieee_div_zero 0
		.amdhsa_exception_fp_ieee_overflow 0
		.amdhsa_exception_fp_ieee_underflow 0
		.amdhsa_exception_fp_ieee_inexact 0
		.amdhsa_exception_int_div_zero 0
	.end_amdhsa_kernel
	.section	.text._ZN7rocprim6detail31init_lookback_scan_state_kernelINS0_19lookback_scan_stateINS_5tupleIJ6__halfbEEELb0ELb1EEEEEvT_jjPNS7_10value_typeE,"axG",@progbits,_ZN7rocprim6detail31init_lookback_scan_state_kernelINS0_19lookback_scan_stateINS_5tupleIJ6__halfbEEELb0ELb1EEEEEvT_jjPNS7_10value_typeE,comdat
.Lfunc_end44:
	.size	_ZN7rocprim6detail31init_lookback_scan_state_kernelINS0_19lookback_scan_stateINS_5tupleIJ6__halfbEEELb0ELb1EEEEEvT_jjPNS7_10value_typeE, .Lfunc_end44-_ZN7rocprim6detail31init_lookback_scan_state_kernelINS0_19lookback_scan_stateINS_5tupleIJ6__halfbEEELb0ELb1EEEEEvT_jjPNS7_10value_typeE
                                        ; -- End function
	.section	.AMDGPU.csdata,"",@progbits
; Kernel info:
; codeLenInByte = 312
; NumSgprs: 14
; NumVgprs: 6
; NumAgprs: 0
; TotalNumVgprs: 6
; ScratchSize: 0
; MemoryBound: 0
; FloatMode: 240
; IeeeMode: 1
; LDSByteSize: 0 bytes/workgroup (compile time only)
; SGPRBlocks: 1
; VGPRBlocks: 0
; NumSGPRsForWavesPerEU: 14
; NumVGPRsForWavesPerEU: 6
; AccumOffset: 8
; Occupancy: 8
; WaveLimiterHint : 0
; COMPUTE_PGM_RSRC2:SCRATCH_EN: 0
; COMPUTE_PGM_RSRC2:USER_SGPR: 6
; COMPUTE_PGM_RSRC2:TRAP_HANDLER: 0
; COMPUTE_PGM_RSRC2:TGID_X_EN: 1
; COMPUTE_PGM_RSRC2:TGID_Y_EN: 0
; COMPUTE_PGM_RSRC2:TGID_Z_EN: 0
; COMPUTE_PGM_RSRC2:TIDIG_COMP_CNT: 0
; COMPUTE_PGM_RSRC3_GFX90A:ACCUM_OFFSET: 1
; COMPUTE_PGM_RSRC3_GFX90A:TG_SPLIT: 0
	.section	.text._ZN7rocprim6detail25device_scan_by_key_kernelILNS0_25lookback_scan_determinismE0ELb0ENS0_26wrapped_scan_by_key_configINS_14default_configEi6__halfEEPiN6hipcub22TransformInputIteratorIS5_NS8_6CastOpIS5_EEPS5_lEESC_S5_NS8_8EqualityENS8_3SumENS0_19lookback_scan_stateINS_5tupleIJS5_bEEELb1ELb1EEES5_EEvT2_T3_T4_T5_T6_T7_T8_mmmPKNSH_IJT9_bEEE,"axG",@progbits,_ZN7rocprim6detail25device_scan_by_key_kernelILNS0_25lookback_scan_determinismE0ELb0ENS0_26wrapped_scan_by_key_configINS_14default_configEi6__halfEEPiN6hipcub22TransformInputIteratorIS5_NS8_6CastOpIS5_EEPS5_lEESC_S5_NS8_8EqualityENS8_3SumENS0_19lookback_scan_stateINS_5tupleIJS5_bEEELb1ELb1EEES5_EEvT2_T3_T4_T5_T6_T7_T8_mmmPKNSH_IJT9_bEEE,comdat
	.protected	_ZN7rocprim6detail25device_scan_by_key_kernelILNS0_25lookback_scan_determinismE0ELb0ENS0_26wrapped_scan_by_key_configINS_14default_configEi6__halfEEPiN6hipcub22TransformInputIteratorIS5_NS8_6CastOpIS5_EEPS5_lEESC_S5_NS8_8EqualityENS8_3SumENS0_19lookback_scan_stateINS_5tupleIJS5_bEEELb1ELb1EEES5_EEvT2_T3_T4_T5_T6_T7_T8_mmmPKNSH_IJT9_bEEE ; -- Begin function _ZN7rocprim6detail25device_scan_by_key_kernelILNS0_25lookback_scan_determinismE0ELb0ENS0_26wrapped_scan_by_key_configINS_14default_configEi6__halfEEPiN6hipcub22TransformInputIteratorIS5_NS8_6CastOpIS5_EEPS5_lEESC_S5_NS8_8EqualityENS8_3SumENS0_19lookback_scan_stateINS_5tupleIJS5_bEEELb1ELb1EEES5_EEvT2_T3_T4_T5_T6_T7_T8_mmmPKNSH_IJT9_bEEE
	.globl	_ZN7rocprim6detail25device_scan_by_key_kernelILNS0_25lookback_scan_determinismE0ELb0ENS0_26wrapped_scan_by_key_configINS_14default_configEi6__halfEEPiN6hipcub22TransformInputIteratorIS5_NS8_6CastOpIS5_EEPS5_lEESC_S5_NS8_8EqualityENS8_3SumENS0_19lookback_scan_stateINS_5tupleIJS5_bEEELb1ELb1EEES5_EEvT2_T3_T4_T5_T6_T7_T8_mmmPKNSH_IJT9_bEEE
	.p2align	8
	.type	_ZN7rocprim6detail25device_scan_by_key_kernelILNS0_25lookback_scan_determinismE0ELb0ENS0_26wrapped_scan_by_key_configINS_14default_configEi6__halfEEPiN6hipcub22TransformInputIteratorIS5_NS8_6CastOpIS5_EEPS5_lEESC_S5_NS8_8EqualityENS8_3SumENS0_19lookback_scan_stateINS_5tupleIJS5_bEEELb1ELb1EEES5_EEvT2_T3_T4_T5_T6_T7_T8_mmmPKNSH_IJT9_bEEE,@function
_ZN7rocprim6detail25device_scan_by_key_kernelILNS0_25lookback_scan_determinismE0ELb0ENS0_26wrapped_scan_by_key_configINS_14default_configEi6__halfEEPiN6hipcub22TransformInputIteratorIS5_NS8_6CastOpIS5_EEPS5_lEESC_S5_NS8_8EqualityENS8_3SumENS0_19lookback_scan_stateINS_5tupleIJS5_bEEELb1ELb1EEES5_EEvT2_T3_T4_T5_T6_T7_T8_mmmPKNSH_IJT9_bEEE: ; @_ZN7rocprim6detail25device_scan_by_key_kernelILNS0_25lookback_scan_determinismE0ELb0ENS0_26wrapped_scan_by_key_configINS_14default_configEi6__halfEEPiN6hipcub22TransformInputIteratorIS5_NS8_6CastOpIS5_EEPS5_lEESC_S5_NS8_8EqualityENS8_3SumENS0_19lookback_scan_stateINS_5tupleIJS5_bEEELb1ELb1EEES5_EEvT2_T3_T4_T5_T6_T7_T8_mmmPKNSH_IJT9_bEEE
; %bb.0:
	s_endpgm
	.section	.rodata,"a",@progbits
	.p2align	6, 0x0
	.amdhsa_kernel _ZN7rocprim6detail25device_scan_by_key_kernelILNS0_25lookback_scan_determinismE0ELb0ENS0_26wrapped_scan_by_key_configINS_14default_configEi6__halfEEPiN6hipcub22TransformInputIteratorIS5_NS8_6CastOpIS5_EEPS5_lEESC_S5_NS8_8EqualityENS8_3SumENS0_19lookback_scan_stateINS_5tupleIJS5_bEEELb1ELb1EEES5_EEvT2_T3_T4_T5_T6_T7_T8_mmmPKNSH_IJT9_bEEE
		.amdhsa_group_segment_fixed_size 0
		.amdhsa_private_segment_fixed_size 0
		.amdhsa_kernarg_size 80
		.amdhsa_user_sgpr_count 6
		.amdhsa_user_sgpr_private_segment_buffer 1
		.amdhsa_user_sgpr_dispatch_ptr 0
		.amdhsa_user_sgpr_queue_ptr 0
		.amdhsa_user_sgpr_kernarg_segment_ptr 1
		.amdhsa_user_sgpr_dispatch_id 0
		.amdhsa_user_sgpr_flat_scratch_init 0
		.amdhsa_user_sgpr_kernarg_preload_length 0
		.amdhsa_user_sgpr_kernarg_preload_offset 0
		.amdhsa_user_sgpr_private_segment_size 0
		.amdhsa_uses_dynamic_stack 0
		.amdhsa_system_sgpr_private_segment_wavefront_offset 0
		.amdhsa_system_sgpr_workgroup_id_x 1
		.amdhsa_system_sgpr_workgroup_id_y 0
		.amdhsa_system_sgpr_workgroup_id_z 0
		.amdhsa_system_sgpr_workgroup_info 0
		.amdhsa_system_vgpr_workitem_id 0
		.amdhsa_next_free_vgpr 1
		.amdhsa_next_free_sgpr 0
		.amdhsa_accum_offset 4
		.amdhsa_reserve_vcc 0
		.amdhsa_reserve_flat_scratch 0
		.amdhsa_float_round_mode_32 0
		.amdhsa_float_round_mode_16_64 0
		.amdhsa_float_denorm_mode_32 3
		.amdhsa_float_denorm_mode_16_64 3
		.amdhsa_dx10_clamp 1
		.amdhsa_ieee_mode 1
		.amdhsa_fp16_overflow 0
		.amdhsa_tg_split 0
		.amdhsa_exception_fp_ieee_invalid_op 0
		.amdhsa_exception_fp_denorm_src 0
		.amdhsa_exception_fp_ieee_div_zero 0
		.amdhsa_exception_fp_ieee_overflow 0
		.amdhsa_exception_fp_ieee_underflow 0
		.amdhsa_exception_fp_ieee_inexact 0
		.amdhsa_exception_int_div_zero 0
	.end_amdhsa_kernel
	.section	.text._ZN7rocprim6detail25device_scan_by_key_kernelILNS0_25lookback_scan_determinismE0ELb0ENS0_26wrapped_scan_by_key_configINS_14default_configEi6__halfEEPiN6hipcub22TransformInputIteratorIS5_NS8_6CastOpIS5_EEPS5_lEESC_S5_NS8_8EqualityENS8_3SumENS0_19lookback_scan_stateINS_5tupleIJS5_bEEELb1ELb1EEES5_EEvT2_T3_T4_T5_T6_T7_T8_mmmPKNSH_IJT9_bEEE,"axG",@progbits,_ZN7rocprim6detail25device_scan_by_key_kernelILNS0_25lookback_scan_determinismE0ELb0ENS0_26wrapped_scan_by_key_configINS_14default_configEi6__halfEEPiN6hipcub22TransformInputIteratorIS5_NS8_6CastOpIS5_EEPS5_lEESC_S5_NS8_8EqualityENS8_3SumENS0_19lookback_scan_stateINS_5tupleIJS5_bEEELb1ELb1EEES5_EEvT2_T3_T4_T5_T6_T7_T8_mmmPKNSH_IJT9_bEEE,comdat
.Lfunc_end45:
	.size	_ZN7rocprim6detail25device_scan_by_key_kernelILNS0_25lookback_scan_determinismE0ELb0ENS0_26wrapped_scan_by_key_configINS_14default_configEi6__halfEEPiN6hipcub22TransformInputIteratorIS5_NS8_6CastOpIS5_EEPS5_lEESC_S5_NS8_8EqualityENS8_3SumENS0_19lookback_scan_stateINS_5tupleIJS5_bEEELb1ELb1EEES5_EEvT2_T3_T4_T5_T6_T7_T8_mmmPKNSH_IJT9_bEEE, .Lfunc_end45-_ZN7rocprim6detail25device_scan_by_key_kernelILNS0_25lookback_scan_determinismE0ELb0ENS0_26wrapped_scan_by_key_configINS_14default_configEi6__halfEEPiN6hipcub22TransformInputIteratorIS5_NS8_6CastOpIS5_EEPS5_lEESC_S5_NS8_8EqualityENS8_3SumENS0_19lookback_scan_stateINS_5tupleIJS5_bEEELb1ELb1EEES5_EEvT2_T3_T4_T5_T6_T7_T8_mmmPKNSH_IJT9_bEEE
                                        ; -- End function
	.section	.AMDGPU.csdata,"",@progbits
; Kernel info:
; codeLenInByte = 4
; NumSgprs: 4
; NumVgprs: 0
; NumAgprs: 0
; TotalNumVgprs: 0
; ScratchSize: 0
; MemoryBound: 0
; FloatMode: 240
; IeeeMode: 1
; LDSByteSize: 0 bytes/workgroup (compile time only)
; SGPRBlocks: 0
; VGPRBlocks: 0
; NumSGPRsForWavesPerEU: 4
; NumVGPRsForWavesPerEU: 1
; AccumOffset: 4
; Occupancy: 8
; WaveLimiterHint : 0
; COMPUTE_PGM_RSRC2:SCRATCH_EN: 0
; COMPUTE_PGM_RSRC2:USER_SGPR: 6
; COMPUTE_PGM_RSRC2:TRAP_HANDLER: 0
; COMPUTE_PGM_RSRC2:TGID_X_EN: 1
; COMPUTE_PGM_RSRC2:TGID_Y_EN: 0
; COMPUTE_PGM_RSRC2:TGID_Z_EN: 0
; COMPUTE_PGM_RSRC2:TIDIG_COMP_CNT: 0
; COMPUTE_PGM_RSRC3_GFX90A:ACCUM_OFFSET: 0
; COMPUTE_PGM_RSRC3_GFX90A:TG_SPLIT: 0
	.section	.text._ZN7rocprim6detail25device_scan_by_key_kernelILNS0_25lookback_scan_determinismE0ELb0ENS0_26wrapped_scan_by_key_configINS_14default_configEi6__halfEEPiN6hipcub22TransformInputIteratorIS5_NS8_6CastOpIS5_EEPS5_lEESC_S5_NS8_8EqualityENS8_3SumENS0_19lookback_scan_stateINS_5tupleIJS5_bEEELb0ELb1EEES5_EEvT2_T3_T4_T5_T6_T7_T8_mmmPKNSH_IJT9_bEEE,"axG",@progbits,_ZN7rocprim6detail25device_scan_by_key_kernelILNS0_25lookback_scan_determinismE0ELb0ENS0_26wrapped_scan_by_key_configINS_14default_configEi6__halfEEPiN6hipcub22TransformInputIteratorIS5_NS8_6CastOpIS5_EEPS5_lEESC_S5_NS8_8EqualityENS8_3SumENS0_19lookback_scan_stateINS_5tupleIJS5_bEEELb0ELb1EEES5_EEvT2_T3_T4_T5_T6_T7_T8_mmmPKNSH_IJT9_bEEE,comdat
	.protected	_ZN7rocprim6detail25device_scan_by_key_kernelILNS0_25lookback_scan_determinismE0ELb0ENS0_26wrapped_scan_by_key_configINS_14default_configEi6__halfEEPiN6hipcub22TransformInputIteratorIS5_NS8_6CastOpIS5_EEPS5_lEESC_S5_NS8_8EqualityENS8_3SumENS0_19lookback_scan_stateINS_5tupleIJS5_bEEELb0ELb1EEES5_EEvT2_T3_T4_T5_T6_T7_T8_mmmPKNSH_IJT9_bEEE ; -- Begin function _ZN7rocprim6detail25device_scan_by_key_kernelILNS0_25lookback_scan_determinismE0ELb0ENS0_26wrapped_scan_by_key_configINS_14default_configEi6__halfEEPiN6hipcub22TransformInputIteratorIS5_NS8_6CastOpIS5_EEPS5_lEESC_S5_NS8_8EqualityENS8_3SumENS0_19lookback_scan_stateINS_5tupleIJS5_bEEELb0ELb1EEES5_EEvT2_T3_T4_T5_T6_T7_T8_mmmPKNSH_IJT9_bEEE
	.globl	_ZN7rocprim6detail25device_scan_by_key_kernelILNS0_25lookback_scan_determinismE0ELb0ENS0_26wrapped_scan_by_key_configINS_14default_configEi6__halfEEPiN6hipcub22TransformInputIteratorIS5_NS8_6CastOpIS5_EEPS5_lEESC_S5_NS8_8EqualityENS8_3SumENS0_19lookback_scan_stateINS_5tupleIJS5_bEEELb0ELb1EEES5_EEvT2_T3_T4_T5_T6_T7_T8_mmmPKNSH_IJT9_bEEE
	.p2align	8
	.type	_ZN7rocprim6detail25device_scan_by_key_kernelILNS0_25lookback_scan_determinismE0ELb0ENS0_26wrapped_scan_by_key_configINS_14default_configEi6__halfEEPiN6hipcub22TransformInputIteratorIS5_NS8_6CastOpIS5_EEPS5_lEESC_S5_NS8_8EqualityENS8_3SumENS0_19lookback_scan_stateINS_5tupleIJS5_bEEELb0ELb1EEES5_EEvT2_T3_T4_T5_T6_T7_T8_mmmPKNSH_IJT9_bEEE,@function
_ZN7rocprim6detail25device_scan_by_key_kernelILNS0_25lookback_scan_determinismE0ELb0ENS0_26wrapped_scan_by_key_configINS_14default_configEi6__halfEEPiN6hipcub22TransformInputIteratorIS5_NS8_6CastOpIS5_EEPS5_lEESC_S5_NS8_8EqualityENS8_3SumENS0_19lookback_scan_stateINS_5tupleIJS5_bEEELb0ELb1EEES5_EEvT2_T3_T4_T5_T6_T7_T8_mmmPKNSH_IJT9_bEEE: ; @_ZN7rocprim6detail25device_scan_by_key_kernelILNS0_25lookback_scan_determinismE0ELb0ENS0_26wrapped_scan_by_key_configINS_14default_configEi6__halfEEPiN6hipcub22TransformInputIteratorIS5_NS8_6CastOpIS5_EEPS5_lEESC_S5_NS8_8EqualityENS8_3SumENS0_19lookback_scan_stateINS_5tupleIJS5_bEEELb0ELb1EEES5_EEvT2_T3_T4_T5_T6_T7_T8_mmmPKNSH_IJT9_bEEE
; %bb.0:
	s_load_dwordx4 s[0:3], s[4:5], 0x0
	s_load_dwordx8 s[72:79], s[4:5], 0x28
	s_mul_i32 s8, s6, 0x600
	s_mov_b32 s9, 0
	s_lshl_b64 s[10:11], s[8:9], 2
	s_waitcnt lgkmcnt(0)
	s_add_u32 s58, s0, s10
	s_addc_u32 s59, s1, s11
	s_lshl_b64 s[90:91], s[8:9], 1
	s_add_u32 s56, s2, s90
	s_addc_u32 s57, s3, s91
	s_add_u32 s0, s6, s76
	s_addc_u32 s1, 0, s77
	s_add_u32 s2, s78, -1
	s_addc_u32 s3, s79, -1
	v_pk_mov_b32 v[2:3], s[2:3], s[2:3] op_sel:[0,1]
	v_cmp_ge_u64_e64 s[0:1], s[0:1], v[2:3]
	s_mov_b64 s[12:13], -1
	s_and_b64 vcc, exec, s[0:1]
	s_mul_i32 s33, s2, 0xfffffa00
	v_lshlrev_b32_e32 v56, 2, v0
	s_cbranch_vccz .LBB46_124
; %bb.1:
	s_load_dword s7, s[58:59], 0x0
	s_add_i32 s66, s33, s74
	v_mov_b32_e32 v1, s59
	v_add_co_u32_e32 v2, vcc, s58, v56
	v_addc_co_u32_e32 v3, vcc, 0, v1, vcc
	v_cmp_gt_u32_e64 s[2:3], s66, v0
	s_waitcnt lgkmcnt(0)
	v_mov_b32_e32 v1, s7
	s_and_saveexec_b64 s[8:9], s[2:3]
	s_cbranch_execz .LBB46_3
; %bb.2:
	global_load_dword v1, v[2:3], off
.LBB46_3:
	s_or_b64 exec, exec, s[8:9]
	v_or_b32_e32 v4, 64, v0
	v_cmp_gt_u32_e64 s[54:55], s66, v4
	v_mov_b32_e32 v4, s7
	s_and_saveexec_b64 s[8:9], s[54:55]
	s_cbranch_execz .LBB46_5
; %bb.4:
	global_load_dword v4, v[2:3], off offset:256
.LBB46_5:
	s_or_b64 exec, exec, s[8:9]
	v_or_b32_e32 v5, 0x80, v0
	v_cmp_gt_u32_e64 s[8:9], s66, v5
	v_mov_b32_e32 v5, s7
	s_and_saveexec_b64 s[10:11], s[8:9]
	s_cbranch_execz .LBB46_7
; %bb.6:
	global_load_dword v5, v[2:3], off offset:512
.LBB46_7:
	;; [unrolled: 9-line block ×15, first 2 shown]
	s_or_b64 exec, exec, s[38:39]
	v_or_b32_e32 v19, 0x400, v0
	v_cmp_gt_u32_e64 s[38:39], s66, v19
	v_mov_b32_e32 v19, s7
	s_and_saveexec_b64 s[40:41], s[38:39]
	s_cbranch_execz .LBB46_35
; %bb.34:
	v_add_co_u32_e32 v20, vcc, 0x1000, v2
	v_addc_co_u32_e32 v21, vcc, 0, v3, vcc
	global_load_dword v19, v[20:21], off
.LBB46_35:
	s_or_b64 exec, exec, s[40:41]
	v_or_b32_e32 v20, 0x440, v0
	v_cmp_gt_u32_e64 s[40:41], s66, v20
	v_mov_b32_e32 v20, s7
	s_and_saveexec_b64 s[42:43], s[40:41]
	s_cbranch_execz .LBB46_37
; %bb.36:
	v_add_co_u32_e32 v20, vcc, 0x1000, v2
	v_addc_co_u32_e32 v21, vcc, 0, v3, vcc
	global_load_dword v20, v[20:21], off offset:256
.LBB46_37:
	s_or_b64 exec, exec, s[42:43]
	v_or_b32_e32 v21, 0x480, v0
	v_cmp_gt_u32_e64 s[42:43], s66, v21
	v_mov_b32_e32 v21, s7
	s_and_saveexec_b64 s[44:45], s[42:43]
	s_cbranch_execz .LBB46_39
; %bb.38:
	v_add_co_u32_e32 v22, vcc, 0x1000, v2
	v_addc_co_u32_e32 v23, vcc, 0, v3, vcc
	global_load_dword v21, v[22:23], off offset:512
.LBB46_39:
	s_or_b64 exec, exec, s[44:45]
	v_or_b32_e32 v22, 0x4c0, v0
	v_cmp_gt_u32_e64 s[44:45], s66, v22
	v_mov_b32_e32 v22, s7
	s_and_saveexec_b64 s[46:47], s[44:45]
	s_cbranch_execz .LBB46_41
; %bb.40:
	v_add_co_u32_e32 v22, vcc, 0x1000, v2
	v_addc_co_u32_e32 v23, vcc, 0, v3, vcc
	global_load_dword v22, v[22:23], off offset:768
.LBB46_41:
	s_or_b64 exec, exec, s[46:47]
	v_or_b32_e32 v23, 0x500, v0
	v_cmp_gt_u32_e64 s[46:47], s66, v23
	v_mov_b32_e32 v23, s7
	s_and_saveexec_b64 s[48:49], s[46:47]
	s_cbranch_execz .LBB46_43
; %bb.42:
	v_add_co_u32_e32 v24, vcc, 0x1000, v2
	v_addc_co_u32_e32 v25, vcc, 0, v3, vcc
	global_load_dword v23, v[24:25], off offset:1024
.LBB46_43:
	s_or_b64 exec, exec, s[48:49]
	v_or_b32_e32 v24, 0x540, v0
	v_cmp_gt_u32_e64 s[48:49], s66, v24
	v_mov_b32_e32 v24, s7
	s_and_saveexec_b64 s[50:51], s[48:49]
	s_cbranch_execz .LBB46_45
; %bb.44:
	v_add_co_u32_e32 v24, vcc, 0x1000, v2
	v_addc_co_u32_e32 v25, vcc, 0, v3, vcc
	global_load_dword v24, v[24:25], off offset:1280
.LBB46_45:
	s_or_b64 exec, exec, s[50:51]
	v_or_b32_e32 v25, 0x580, v0
	v_cmp_gt_u32_e64 s[50:51], s66, v25
	v_mov_b32_e32 v25, s7
	s_and_saveexec_b64 s[52:53], s[50:51]
	s_cbranch_execz .LBB46_47
; %bb.46:
	v_add_co_u32_e32 v26, vcc, 0x1000, v2
	v_addc_co_u32_e32 v27, vcc, 0, v3, vcc
	global_load_dword v25, v[26:27], off offset:1536
.LBB46_47:
	s_or_b64 exec, exec, s[52:53]
	v_or_b32_e32 v26, 0x5c0, v0
	v_cmp_gt_u32_e64 s[52:53], s66, v26
	v_mov_b32_e32 v26, s7
	s_and_saveexec_b64 s[60:61], s[52:53]
	s_cbranch_execz .LBB46_49
; %bb.48:
	v_add_co_u32_e32 v2, vcc, 0x1000, v2
	v_addc_co_u32_e32 v3, vcc, 0, v3, vcc
	global_load_dword v26, v[2:3], off offset:1792
.LBB46_49:
	s_or_b64 exec, exec, s[60:61]
	s_sub_u32 s60, 0, s6
	s_subb_u32 s61, 0, 0
	s_cmp_eq_u64 s[60:61], s[76:77]
	s_movk_i32 s7, 0x5c
	s_cselect_b32 s60, 0, -4
	v_mad_u32_u24 v2, v0, s7, v56
	s_cselect_b32 s7, 0, -1
	s_add_u32 s60, s58, s60
	s_addc_u32 s61, s59, s7
	s_waitcnt vmcnt(0)
	ds_write2st64_b32 v56, v1, v4 offset1:1
	ds_write2st64_b32 v56, v5, v6 offset0:2 offset1:3
	ds_write2st64_b32 v56, v7, v8 offset0:4 offset1:5
	;; [unrolled: 1-line block ×11, first 2 shown]
	s_waitcnt lgkmcnt(0)
	; wave barrier
	s_waitcnt lgkmcnt(0)
	s_load_dword s7, s[60:61], 0x0
	ds_read2_b32 v[36:37], v2 offset0:7 offset1:12
	s_movk_i32 s60, 0xffa4
	v_mad_i32_i24 v1, v0, s60, v2
	v_cmp_ne_u32_e32 vcc, 0, v0
	s_waitcnt lgkmcnt(0)
	v_mov_b32_e32 v4, s7
	ds_read_b64 v[32:33], v2 offset:88
	ds_read2_b64 v[16:19], v2 offset0:9 offset1:10
	ds_read_b32 v11, v2 offset:68
	ds_read2_b32 v[30:31], v2 offset0:15 offset1:16
	ds_read2_b32 v[34:35], v2 offset0:13 offset1:14
	ds_read_b128 v[20:23], v2 offset:32
	ds_read2_b32 v[38:39], v2 offset0:5 offset1:6
	ds_read_b96 v[8:10], v2
	ds_read2_b32 v[40:41], v2 offset0:3 offset1:4
	s_waitcnt lgkmcnt(8)
	ds_write_b32 v1, v33 offset:6144
	s_waitcnt lgkmcnt(0)
	; wave barrier
	s_waitcnt lgkmcnt(0)
	s_and_saveexec_b64 s[60:61], vcc
	s_cbranch_execz .LBB46_51
; %bb.50:
	ds_read_b32 v4, v1 offset:6140
.LBB46_51:
	s_or_b64 exec, exec, s[60:61]
	v_lshlrev_b32_e32 v5, 1, v0
	v_mov_b32_e32 v3, s57
	v_add_co_u32_e32 v2, vcc, s56, v5
	v_addc_co_u32_e32 v3, vcc, 0, v3, vcc
	s_waitcnt lgkmcnt(0)
	; wave barrier
	s_waitcnt lgkmcnt(0)
                                        ; implicit-def: $vgpr6
	s_and_saveexec_b64 s[60:61], s[2:3]
	s_cbranch_execz .LBB46_191
; %bb.52:
	global_load_ushort v6, v[2:3], off
	s_or_b64 exec, exec, s[60:61]
                                        ; implicit-def: $vgpr7
	s_and_saveexec_b64 s[2:3], s[54:55]
	s_cbranch_execnz .LBB46_192
.LBB46_53:
	s_or_b64 exec, exec, s[2:3]
                                        ; implicit-def: $vgpr13
	s_and_saveexec_b64 s[2:3], s[8:9]
	s_cbranch_execz .LBB46_193
.LBB46_54:
	global_load_ushort v13, v[2:3], off offset:256
	s_or_b64 exec, exec, s[2:3]
                                        ; implicit-def: $vgpr14
	s_and_saveexec_b64 s[2:3], s[10:11]
	s_cbranch_execnz .LBB46_194
.LBB46_55:
	s_or_b64 exec, exec, s[2:3]
                                        ; implicit-def: $vgpr15
	s_and_saveexec_b64 s[2:3], s[12:13]
	s_cbranch_execz .LBB46_195
.LBB46_56:
	global_load_ushort v15, v[2:3], off offset:512
	s_or_b64 exec, exec, s[2:3]
                                        ; implicit-def: $vgpr24
	s_and_saveexec_b64 s[2:3], s[14:15]
	s_cbranch_execnz .LBB46_196
.LBB46_57:
	s_or_b64 exec, exec, s[2:3]
                                        ; implicit-def: $vgpr25
	s_and_saveexec_b64 s[2:3], s[16:17]
	s_cbranch_execz .LBB46_197
.LBB46_58:
	global_load_ushort v25, v[2:3], off offset:768
	s_or_b64 exec, exec, s[2:3]
                                        ; implicit-def: $vgpr26
	s_and_saveexec_b64 s[2:3], s[18:19]
	s_cbranch_execnz .LBB46_198
.LBB46_59:
	s_or_b64 exec, exec, s[2:3]
                                        ; implicit-def: $vgpr27
	s_and_saveexec_b64 s[2:3], s[20:21]
	s_cbranch_execz .LBB46_199
.LBB46_60:
	global_load_ushort v27, v[2:3], off offset:1024
	s_or_b64 exec, exec, s[2:3]
                                        ; implicit-def: $vgpr28
	s_and_saveexec_b64 s[2:3], s[22:23]
	s_cbranch_execnz .LBB46_200
.LBB46_61:
	s_or_b64 exec, exec, s[2:3]
                                        ; implicit-def: $vgpr29
	s_and_saveexec_b64 s[2:3], s[24:25]
	s_cbranch_execz .LBB46_201
.LBB46_62:
	global_load_ushort v29, v[2:3], off offset:1280
	s_or_b64 exec, exec, s[2:3]
                                        ; implicit-def: $vgpr42
	s_and_saveexec_b64 s[2:3], s[26:27]
	s_cbranch_execnz .LBB46_202
.LBB46_63:
	s_or_b64 exec, exec, s[2:3]
                                        ; implicit-def: $vgpr43
	s_and_saveexec_b64 s[2:3], s[28:29]
	s_cbranch_execz .LBB46_203
.LBB46_64:
	global_load_ushort v43, v[2:3], off offset:1536
	s_or_b64 exec, exec, s[2:3]
                                        ; implicit-def: $vgpr44
	s_and_saveexec_b64 s[2:3], s[30:31]
	s_cbranch_execnz .LBB46_204
.LBB46_65:
	s_or_b64 exec, exec, s[2:3]
                                        ; implicit-def: $vgpr45
	s_and_saveexec_b64 s[2:3], s[34:35]
	s_cbranch_execz .LBB46_205
.LBB46_66:
	global_load_ushort v45, v[2:3], off offset:1792
	s_or_b64 exec, exec, s[2:3]
                                        ; implicit-def: $vgpr46
	s_and_saveexec_b64 s[2:3], s[36:37]
	s_cbranch_execnz .LBB46_206
.LBB46_67:
	s_or_b64 exec, exec, s[2:3]
                                        ; implicit-def: $vgpr47
	s_and_saveexec_b64 s[2:3], s[38:39]
	s_cbranch_execz .LBB46_207
.LBB46_68:
	global_load_ushort v47, v[2:3], off offset:2048
	s_or_b64 exec, exec, s[2:3]
                                        ; implicit-def: $vgpr48
	s_and_saveexec_b64 s[2:3], s[40:41]
	s_cbranch_execnz .LBB46_208
.LBB46_69:
	s_or_b64 exec, exec, s[2:3]
                                        ; implicit-def: $vgpr49
	s_and_saveexec_b64 s[2:3], s[42:43]
	s_cbranch_execz .LBB46_209
.LBB46_70:
	global_load_ushort v49, v[2:3], off offset:2304
	s_or_b64 exec, exec, s[2:3]
                                        ; implicit-def: $vgpr50
	s_and_saveexec_b64 s[2:3], s[44:45]
	s_cbranch_execnz .LBB46_210
.LBB46_71:
	s_or_b64 exec, exec, s[2:3]
                                        ; implicit-def: $vgpr51
	s_and_saveexec_b64 s[2:3], s[46:47]
	s_cbranch_execz .LBB46_211
.LBB46_72:
	global_load_ushort v51, v[2:3], off offset:2560
	s_or_b64 exec, exec, s[2:3]
                                        ; implicit-def: $vgpr52
	s_and_saveexec_b64 s[2:3], s[48:49]
	s_cbranch_execnz .LBB46_212
.LBB46_73:
	s_or_b64 exec, exec, s[2:3]
                                        ; implicit-def: $vgpr53
	s_and_saveexec_b64 s[2:3], s[50:51]
	s_cbranch_execz .LBB46_75
.LBB46_74:
	global_load_ushort v53, v[2:3], off offset:2816
.LBB46_75:
	s_or_b64 exec, exec, s[2:3]
	v_mul_u32_u24_e32 v12, 24, v0
                                        ; implicit-def: $vgpr54
	s_and_saveexec_b64 s[2:3], s[52:53]
	s_cbranch_execz .LBB46_77
; %bb.76:
	global_load_ushort v54, v[2:3], off offset:2944
.LBB46_77:
	s_or_b64 exec, exec, s[2:3]
	v_sub_u32_e32 v3, v1, v5
	s_waitcnt vmcnt(0)
	ds_write_b16 v3, v6
	ds_write_b16 v3, v7 offset:128
	ds_write_b16 v3, v13 offset:256
	;; [unrolled: 1-line block ×23, first 2 shown]
	v_cmp_gt_u32_e32 vcc, s66, v12
	s_mov_b64 s[12:13], 0
	s_mov_b32 s7, 0
	v_mov_b32_e32 v7, 0
	v_mov_b32_e32 v27, 0
	;; [unrolled: 1-line block ×4, first 2 shown]
	s_mov_b64 s[10:11], 0
	v_mov_b32_e32 v65, 0
	v_mov_b32_e32 v29, 0
	;; [unrolled: 1-line block ×30, first 2 shown]
	s_waitcnt lgkmcnt(0)
	; wave barrier
	s_waitcnt lgkmcnt(0)
                                        ; implicit-def: $sgpr8_sgpr9
                                        ; implicit-def: $vgpr59
                                        ; implicit-def: $vgpr60
                                        ; implicit-def: $vgpr61
                                        ; implicit-def: $vgpr62
                                        ; implicit-def: $vgpr64
                                        ; implicit-def: $vgpr14
	s_and_saveexec_b64 s[14:15], vcc
	s_cbranch_execz .LBB46_123
; %bb.78:
	s_waitcnt lgkmcnt(14)
	v_cmp_ne_u32_e32 vcc, v4, v8
	v_mad_u32_u24 v4, v0, 46, v3
	ds_read_u16 v24, v4
	v_or_b32_e32 v2, 1, v12
	v_cndmask_b32_e64 v1, 0, 1, vcc
	v_cmp_gt_u32_e32 vcc, s66, v2
	s_mov_b64 s[2:3], 0
	v_mov_b32_e32 v7, 0
	v_mov_b32_e32 v27, 0
	;; [unrolled: 1-line block ×32, first 2 shown]
                                        ; implicit-def: $sgpr8_sgpr9
                                        ; implicit-def: $vgpr59
                                        ; implicit-def: $vgpr60
                                        ; implicit-def: $vgpr61
                                        ; implicit-def: $vgpr62
                                        ; implicit-def: $vgpr64
                                        ; implicit-def: $vgpr14
	s_and_saveexec_b64 s[16:17], vcc
	s_cbranch_execz .LBB46_122
; %bb.79:
	v_mul_u32_u24_e32 v2, 46, v0
	v_add_u32_e32 v15, v3, v2
	ds_read_b128 v[2:5], v15 offset:2
	v_or_b32_e32 v6, 2, v12
	v_cmp_ne_u32_e32 vcc, v8, v9
	v_cndmask_b32_e64 v43, 0, 1, vcc
	v_cmp_gt_u32_e32 vcc, s66, v6
	v_mov_b32_e32 v7, 0
	v_mov_b32_e32 v27, 0
	;; [unrolled: 1-line block ×30, first 2 shown]
                                        ; implicit-def: $sgpr8_sgpr9
                                        ; implicit-def: $vgpr59
                                        ; implicit-def: $vgpr60
                                        ; implicit-def: $vgpr61
                                        ; implicit-def: $vgpr62
                                        ; implicit-def: $vgpr64
                                        ; implicit-def: $vgpr14
	s_and_saveexec_b64 s[18:19], vcc
	s_cbranch_execz .LBB46_121
; %bb.80:
	v_or_b32_e32 v6, 3, v12
	v_cmp_ne_u32_e32 vcc, v9, v10
	s_waitcnt lgkmcnt(0)
	v_lshrrev_b32_e32 v25, 16, v2
	v_cndmask_b32_e64 v42, 0, 1, vcc
	v_cmp_gt_u32_e32 vcc, s66, v6
	v_mov_b32_e32 v7, 0
	v_mov_b32_e32 v27, 0
	v_mov_b32_e32 v46, 0
	v_mov_b32_e32 v65, 0
	v_mov_b32_e32 v29, 0
	v_mov_b32_e32 v57, 0
	v_mov_b32_e32 v13, 0
	v_mov_b32_e32 v54, 0
	v_mov_b32_e32 v58, 0
	v_mov_b32_e32 v53, 0
	v_mov_b32_e32 v28, 0
	v_mov_b32_e32 v52, 0
	v_mov_b32_e32 v44, 0
	v_mov_b32_e32 v63, 0
	v_mov_b32_e32 v70, 0
	v_mov_b32_e32 v50, 0
	v_mov_b32_e32 v66, 0
	v_mov_b32_e32 v55, 0
	v_mov_b32_e32 v26, 0
	v_mov_b32_e32 v49, 0
	v_mov_b32_e32 v67, 0
	v_mov_b32_e32 v69, 0
	v_mov_b32_e32 v48, 0
	v_mov_b32_e32 v6, 0
	v_mov_b32_e32 v45, 0
	v_mov_b32_e32 v47, 0
	v_mov_b32_e32 v51, 0
	v_mov_b32_e32 v68, 0
                                        ; implicit-def: $sgpr8_sgpr9
                                        ; implicit-def: $vgpr59
                                        ; implicit-def: $vgpr60
                                        ; implicit-def: $vgpr61
                                        ; implicit-def: $vgpr62
                                        ; implicit-def: $vgpr64
                                        ; implicit-def: $vgpr14
	s_and_saveexec_b64 s[20:21], vcc
	s_cbranch_execz .LBB46_120
; %bb.81:
	v_or_b32_e32 v6, 4, v12
	v_cmp_ne_u32_e32 vcc, v10, v40
	v_cndmask_b32_e64 v44, 0, 1, vcc
	v_cmp_gt_u32_e32 vcc, s66, v6
	v_mov_b32_e32 v7, 0
	v_mov_b32_e32 v27, 0
	;; [unrolled: 1-line block ×26, first 2 shown]
                                        ; implicit-def: $sgpr8_sgpr9
                                        ; implicit-def: $vgpr59
                                        ; implicit-def: $vgpr60
                                        ; implicit-def: $vgpr61
                                        ; implicit-def: $vgpr62
                                        ; implicit-def: $vgpr64
                                        ; implicit-def: $vgpr14
	s_and_saveexec_b64 s[22:23], vcc
	s_cbranch_execz .LBB46_119
; %bb.82:
	v_or_b32_e32 v6, 5, v12
	v_cmp_ne_u32_e64 s[10:11], v40, v41
	v_lshrrev_b32_e32 v26, 16, v3
	v_cmp_ne_u32_e32 vcc, v38, v39
	v_cmp_ne_u32_e64 s[2:3], v39, v36
	v_cmp_ne_u32_e64 s[8:9], v41, v38
	v_cndmask_b32_e64 v7, 0, 1, s[10:11]
	v_cmp_gt_u32_e64 s[10:11], s66, v6
	s_mov_b64 s[26:27], 0
	v_mov_b32_e32 v65, 0
	v_mov_b32_e32 v27, 0
	;; [unrolled: 1-line block ×24, first 2 shown]
                                        ; implicit-def: $sgpr28_sgpr29
                                        ; implicit-def: $vgpr59
                                        ; implicit-def: $vgpr60
                                        ; implicit-def: $vgpr61
                                        ; implicit-def: $vgpr62
                                        ; implicit-def: $vgpr64
                                        ; implicit-def: $vgpr14
	s_and_saveexec_b64 s[24:25], s[10:11]
	s_cbranch_execz .LBB46_118
; %bb.83:
	v_cndmask_b32_e64 v6, 0, 1, s[8:9]
	v_lshlrev_b16_e32 v6, 8, v6
	v_or_b32_e32 v6, v7, v6
	v_cndmask_b32_e64 v7, 0, 1, s[2:3]
	v_lshlrev_b16_e32 v7, 8, v7
	v_cndmask_b32_e64 v8, 0, 1, vcc
	v_or_b32_sdwa v7, v8, v7 dst_sel:WORD_1 dst_unused:UNUSED_PAD src0_sel:DWORD src1_sel:DWORD
	v_or_b32_sdwa v59, v6, v7 dst_sel:DWORD dst_unused:UNUSED_PAD src0_sel:WORD_0 src1_sel:DWORD
	v_or_b32_e32 v6, 6, v12
	v_and_b32_e32 v7, 0xffff, v59
	v_cmp_gt_u32_e32 vcc, s66, v6
	s_mov_b64 s[2:3], 0
	v_mov_b32_e32 v65, 0
	v_mov_b32_e32 v27, 0
	;; [unrolled: 1-line block ×23, first 2 shown]
                                        ; implicit-def: $sgpr8_sgpr9
                                        ; implicit-def: $vgpr60
                                        ; implicit-def: $vgpr61
                                        ; implicit-def: $vgpr62
                                        ; implicit-def: $vgpr64
                                        ; implicit-def: $vgpr14
	s_and_saveexec_b64 s[26:27], vcc
	s_cbranch_execz .LBB46_117
; %bb.84:
	v_or_b32_e32 v6, 7, v12
	v_lshrrev_b32_e32 v45, 16, v4
	v_cmp_gt_u32_e32 vcc, s66, v6
	v_and_b32_e32 v7, 0xffffff, v59
	v_mov_b32_e32 v65, 0
	v_mov_b32_e32 v27, 0
	;; [unrolled: 1-line block ×22, first 2 shown]
                                        ; implicit-def: $sgpr8_sgpr9
                                        ; implicit-def: $vgpr60
                                        ; implicit-def: $vgpr61
                                        ; implicit-def: $vgpr62
                                        ; implicit-def: $vgpr64
                                        ; implicit-def: $vgpr14
	s_and_saveexec_b64 s[28:29], vcc
	s_cbranch_execz .LBB46_116
; %bb.85:
	v_add_u32_e32 v6, 8, v12
	v_cmp_gt_u32_e32 vcc, s66, v6
	v_mov_b32_e32 v65, 0
	v_mov_b32_e32 v27, 0
	;; [unrolled: 1-line block ×21, first 2 shown]
                                        ; implicit-def: $sgpr8_sgpr9
                                        ; implicit-def: $vgpr60
                                        ; implicit-def: $vgpr61
                                        ; implicit-def: $vgpr62
                                        ; implicit-def: $vgpr64
                                        ; implicit-def: $vgpr14
	s_and_saveexec_b64 s[30:31], vcc
	s_cbranch_execz .LBB46_115
; %bb.86:
	v_add_u32_e32 v6, 9, v12
	v_cmp_ne_u32_e32 vcc, v36, v20
	v_cndmask_b32_e64 v51, 0, 1, vcc
	v_cmp_gt_u32_e32 vcc, s66, v6
	v_lshrrev_b32_e32 v47, 16, v5
	v_mov_b32_e32 v65, 0
	v_mov_b32_e32 v27, 0
	;; [unrolled: 1-line block ×19, first 2 shown]
                                        ; implicit-def: $sgpr8_sgpr9
                                        ; implicit-def: $vgpr60
                                        ; implicit-def: $vgpr61
                                        ; implicit-def: $vgpr62
                                        ; implicit-def: $vgpr64
                                        ; implicit-def: $vgpr14
	s_and_saveexec_b64 s[34:35], vcc
	s_cbranch_execz .LBB46_114
; %bb.87:
	ds_read_b128 v[6:9], v15 offset:18
	v_add_u32_e32 v10, 10, v12
	v_cmp_ne_u32_e64 s[10:11], v20, v21
	v_cmp_ne_u32_e32 vcc, v22, v23
	v_cmp_ne_u32_e64 s[2:3], v23, v37
	v_cmp_ne_u32_e64 s[8:9], v21, v22
	v_cndmask_b32_e64 v65, 0, 1, s[10:11]
	v_cmp_gt_u32_e64 s[10:11], s66, v10
	s_mov_b64 s[38:39], 0
	v_mov_b32_e32 v29, 0
	v_mov_b32_e32 v27, 0
	v_mov_b32_e32 v46, 0
	v_mov_b32_e32 v57, 0
	v_mov_b32_e32 v13, 0
	v_mov_b32_e32 v54, 0
	v_mov_b32_e32 v58, 0
	v_mov_b32_e32 v53, 0
	v_mov_b32_e32 v28, 0
	v_mov_b32_e32 v52, 0
	v_mov_b32_e32 v63, 0
	v_mov_b32_e32 v50, 0
	v_mov_b32_e32 v66, 0
	v_mov_b32_e32 v55, 0
	v_mov_b32_e32 v49, 0
	v_mov_b32_e32 v67, 0
	v_mov_b32_e32 v48, 0
                                        ; implicit-def: $sgpr40_sgpr41
                                        ; implicit-def: $vgpr60
                                        ; implicit-def: $vgpr61
                                        ; implicit-def: $vgpr62
                                        ; implicit-def: $vgpr64
                                        ; implicit-def: $vgpr14
	s_and_saveexec_b64 s[36:37], s[10:11]
	s_cbranch_execz .LBB46_113
; %bb.88:
	v_cndmask_b32_e64 v10, 0, 1, s[8:9]
	v_cndmask_b32_e64 v13, 0, 1, s[2:3]
	v_lshlrev_b16_e32 v10, 8, v10
	v_lshlrev_b16_e32 v13, 8, v13
	v_cndmask_b32_e64 v14, 0, 1, vcc
	v_or_b32_e32 v10, v65, v10
	v_or_b32_sdwa v13, v14, v13 dst_sel:WORD_1 dst_unused:UNUSED_PAD src0_sel:DWORD src1_sel:DWORD
	v_or_b32_sdwa v60, v10, v13 dst_sel:DWORD dst_unused:UNUSED_PAD src0_sel:WORD_0 src1_sel:DWORD
	v_add_u32_e32 v10, 11, v12
	v_and_b32_e32 v65, 0xffff, v60
	v_cmp_gt_u32_e32 vcc, s66, v10
	s_waitcnt lgkmcnt(0)
	v_lshrrev_b32_e32 v48, 16, v6
	s_mov_b64 s[2:3], 0
	v_mov_b32_e32 v29, 0
	v_mov_b32_e32 v27, 0
	;; [unrolled: 1-line block ×16, first 2 shown]
                                        ; implicit-def: $sgpr8_sgpr9
                                        ; implicit-def: $vgpr61
                                        ; implicit-def: $vgpr62
                                        ; implicit-def: $vgpr64
                                        ; implicit-def: $vgpr14
	s_and_saveexec_b64 s[38:39], vcc
	s_cbranch_execz .LBB46_112
; %bb.89:
	v_add_u32_e32 v10, 12, v12
	v_cmp_gt_u32_e32 vcc, s66, v10
	v_and_b32_e32 v65, 0xffffff, v60
	v_mov_b32_e32 v29, 0
	v_mov_b32_e32 v27, 0
	;; [unrolled: 1-line block ×15, first 2 shown]
                                        ; implicit-def: $sgpr8_sgpr9
                                        ; implicit-def: $vgpr61
                                        ; implicit-def: $vgpr62
                                        ; implicit-def: $vgpr64
                                        ; implicit-def: $vgpr14
	s_and_saveexec_b64 s[40:41], vcc
	s_cbranch_execz .LBB46_111
; %bb.90:
	v_add_u32_e32 v10, 13, v12
	v_cmp_gt_u32_e32 vcc, s66, v10
	v_lshrrev_b32_e32 v49, 16, v7
	v_mov_b32_e32 v29, 0
	v_mov_b32_e32 v27, 0
	v_mov_b32_e32 v46, 0
	v_mov_b32_e32 v57, 0
	v_mov_b32_e32 v13, 0
	v_mov_b32_e32 v54, 0
	v_mov_b32_e32 v58, 0
	v_mov_b32_e32 v53, 0
	v_mov_b32_e32 v28, 0
	v_mov_b32_e32 v52, 0
	v_mov_b32_e32 v63, 0
	v_mov_b32_e32 v50, 0
	v_mov_b32_e32 v66, 0
	v_mov_b32_e32 v55, 0
                                        ; implicit-def: $sgpr8_sgpr9
                                        ; implicit-def: $vgpr61
                                        ; implicit-def: $vgpr62
                                        ; implicit-def: $vgpr64
                                        ; implicit-def: $vgpr14
	s_and_saveexec_b64 s[42:43], vcc
	s_cbranch_execz .LBB46_110
; %bb.91:
	v_add_u32_e32 v10, 14, v12
	v_cmp_ne_u32_e32 vcc, v37, v34
	v_cndmask_b32_e64 v55, 0, 1, vcc
	v_cmp_gt_u32_e32 vcc, s66, v10
	v_mov_b32_e32 v29, 0
	v_mov_b32_e32 v27, 0
	;; [unrolled: 1-line block ×12, first 2 shown]
                                        ; implicit-def: $sgpr8_sgpr9
                                        ; implicit-def: $vgpr61
                                        ; implicit-def: $vgpr62
                                        ; implicit-def: $vgpr64
                                        ; implicit-def: $vgpr14
	s_and_saveexec_b64 s[44:45], vcc
	s_cbranch_execz .LBB46_109
; %bb.92:
	v_add_u32_e32 v10, 15, v12
	v_cmp_ne_u32_e64 s[10:11], v34, v35
	v_cmp_ne_u32_e32 vcc, v30, v31
	v_cmp_ne_u32_e64 s[2:3], v31, v11
	v_cmp_ne_u32_e64 s[8:9], v35, v30
	v_cndmask_b32_e64 v29, 0, 1, s[10:11]
	v_cmp_gt_u32_e64 s[10:11], s66, v10
	v_lshrrev_b32_e32 v50, 16, v8
	s_mov_b64 s[48:49], 0
	v_mov_b32_e32 v57, 0
	v_mov_b32_e32 v27, 0
	v_mov_b32_e32 v46, 0
	v_mov_b32_e32 v13, 0
	v_mov_b32_e32 v54, 0
	v_mov_b32_e32 v58, 0
	v_mov_b32_e32 v53, 0
	v_mov_b32_e32 v28, 0
	v_mov_b32_e32 v52, 0
	v_mov_b32_e32 v63, 0
                                        ; implicit-def: $sgpr50_sgpr51
                                        ; implicit-def: $vgpr61
                                        ; implicit-def: $vgpr62
                                        ; implicit-def: $vgpr64
                                        ; implicit-def: $vgpr14
	s_and_saveexec_b64 s[46:47], s[10:11]
	s_cbranch_execz .LBB46_108
; %bb.93:
	v_cndmask_b32_e64 v10, 0, 1, s[8:9]
	v_cndmask_b32_e64 v13, 0, 1, s[2:3]
	v_lshlrev_b16_e32 v10, 8, v10
	v_lshlrev_b16_e32 v13, 8, v13
	v_cndmask_b32_e64 v14, 0, 1, vcc
	v_or_b32_e32 v10, v29, v10
	v_or_b32_sdwa v13, v14, v13 dst_sel:WORD_1 dst_unused:UNUSED_PAD src0_sel:DWORD src1_sel:DWORD
	v_or_b32_sdwa v61, v10, v13 dst_sel:DWORD dst_unused:UNUSED_PAD src0_sel:WORD_0 src1_sel:DWORD
	v_add_u32_e32 v10, 16, v12
	v_and_b32_e32 v29, 0xffff, v61
	v_cmp_gt_u32_e32 vcc, s66, v10
	s_mov_b64 s[2:3], 0
	v_mov_b32_e32 v57, 0
	v_mov_b32_e32 v27, 0
	;; [unrolled: 1-line block ×9, first 2 shown]
                                        ; implicit-def: $sgpr8_sgpr9
                                        ; implicit-def: $vgpr62
                                        ; implicit-def: $vgpr64
                                        ; implicit-def: $vgpr14
	s_and_saveexec_b64 s[48:49], vcc
	s_cbranch_execz .LBB46_107
; %bb.94:
	v_add_u32_e32 v10, 17, v12
	v_cmp_gt_u32_e32 vcc, s66, v10
	v_and_b32_e32 v29, 0xffffff, v61
	v_lshrrev_b32_e32 v52, 16, v9
	v_mov_b32_e32 v57, 0
	v_mov_b32_e32 v27, 0
	;; [unrolled: 1-line block ×8, first 2 shown]
                                        ; implicit-def: $sgpr8_sgpr9
                                        ; implicit-def: $vgpr62
                                        ; implicit-def: $vgpr64
                                        ; implicit-def: $vgpr14
	s_and_saveexec_b64 s[50:51], vcc
	s_cbranch_execz .LBB46_106
; %bb.95:
	ds_read_b96 v[28:30], v15 offset:34
	v_add_u32_e32 v10, 18, v12
	v_cmp_gt_u32_e32 vcc, s66, v10
	v_mov_b32_e32 v57, 0
	v_mov_b32_e32 v27, 0
	;; [unrolled: 1-line block ×7, first 2 shown]
                                        ; implicit-def: $sgpr8_sgpr9
                                        ; implicit-def: $vgpr62
                                        ; implicit-def: $vgpr64
                                        ; implicit-def: $vgpr14
	s_and_saveexec_b64 s[52:53], vcc
	s_cbranch_execz .LBB46_105
; %bb.96:
	v_add_u32_e32 v10, 19, v12
	v_cmp_ne_u32_e32 vcc, v11, v16
	v_cndmask_b32_e64 v46, 0, 1, vcc
	v_cmp_gt_u32_e32 vcc, s66, v10
	s_waitcnt lgkmcnt(0)
	v_lshrrev_b32_e32 v53, 16, v28
	v_mov_b32_e32 v57, 0
	v_mov_b32_e32 v27, 0
	;; [unrolled: 1-line block ×5, first 2 shown]
                                        ; implicit-def: $sgpr8_sgpr9
                                        ; implicit-def: $vgpr62
                                        ; implicit-def: $vgpr64
                                        ; implicit-def: $vgpr14
	s_and_saveexec_b64 s[54:55], vcc
	s_cbranch_execz .LBB46_104
; %bb.97:
	v_add_u32_e32 v10, 20, v12
	v_cmp_ne_u32_e64 s[10:11], v16, v17
	v_cmp_ne_u32_e32 vcc, v18, v19
	v_cmp_ne_u32_e64 s[2:3], v19, v32
	v_cmp_ne_u32_e64 s[8:9], v17, v18
	v_cndmask_b32_e64 v57, 0, 1, s[10:11]
	v_cmp_gt_u32_e64 s[10:11], s66, v10
	s_mov_b64 s[62:63], 0
	v_mov_b32_e32 v27, 0
	v_mov_b32_e32 v13, 0
	;; [unrolled: 1-line block ×3, first 2 shown]
                                        ; implicit-def: $sgpr64_sgpr65
                                        ; implicit-def: $vgpr62
                                        ; implicit-def: $vgpr64
                                        ; implicit-def: $vgpr14
	s_and_saveexec_b64 s[60:61], s[10:11]
	s_cbranch_execz .LBB46_103
; %bb.98:
	v_cndmask_b32_e64 v10, 0, 1, s[8:9]
	v_cndmask_b32_e64 v11, 0, 1, s[2:3]
	v_lshlrev_b16_e32 v10, 8, v10
	v_lshlrev_b16_e32 v11, 8, v11
	v_cndmask_b32_e64 v13, 0, 1, vcc
	v_or_b32_e32 v10, v57, v10
	v_or_b32_sdwa v11, v13, v11 dst_sel:WORD_1 dst_unused:UNUSED_PAD src0_sel:DWORD src1_sel:DWORD
	v_or_b32_sdwa v62, v10, v11 dst_sel:DWORD dst_unused:UNUSED_PAD src0_sel:WORD_0 src1_sel:DWORD
	v_add_u32_e32 v10, 21, v12
	v_and_b32_e32 v57, 0xffff, v62
	v_cmp_gt_u32_e32 vcc, s66, v10
	v_lshrrev_b32_e32 v54, 16, v29
	s_mov_b64 s[2:3], 0
	v_mov_b32_e32 v27, 0
	v_mov_b32_e32 v13, 0
                                        ; implicit-def: $sgpr10_sgpr11
                                        ; implicit-def: $vgpr64
	s_and_saveexec_b64 s[8:9], vcc
	s_cbranch_execz .LBB46_102
; %bb.99:
	v_add_u32_e32 v10, 22, v12
	v_cmp_gt_u32_e32 vcc, s66, v10
	v_and_b32_e32 v57, 0xffffff, v62
	v_mov_b32_e32 v13, v30
	v_mov_b32_e32 v27, 0
                                        ; implicit-def: $sgpr10_sgpr11
                                        ; implicit-def: $vgpr64
	s_and_saveexec_b64 s[62:63], vcc
	s_xor_b64 s[62:63], exec, s[62:63]
	s_cbranch_execz .LBB46_101
; %bb.100:
	ds_read_u16 v64, v15 offset:46
	v_add_u32_e32 v10, 23, v12
	v_cmp_ne_u32_e32 vcc, v32, v33
	v_cmp_gt_u32_e64 s[2:3], s66, v10
	v_lshrrev_b32_e32 v27, 16, v30
	s_and_b64 s[10:11], vcc, exec
	s_and_b64 s[2:3], s[2:3], exec
	v_mov_b32_e32 v57, v62
.LBB46_101:
	s_or_b64 exec, exec, s[62:63]
	s_and_b64 s[10:11], s[10:11], exec
	s_and_b64 s[2:3], s[2:3], exec
.LBB46_102:
	s_or_b64 exec, exec, s[8:9]
	s_and_b64 s[64:65], s[10:11], exec
	s_and_b64 s[62:63], s[2:3], exec
	v_mov_b32_e32 v14, v5
	v_mov_b32_e32 v15, v6
	v_mov_b32_e32 v16, v7
	v_mov_b32_e32 v17, v8
	v_mov_b32_e32 v10, v9
	v_mov_b32_e32 v11, v28
	v_mov_b32_e32 v12, v29
.LBB46_103:
	s_or_b64 exec, exec, s[60:61]
	s_and_b64 s[8:9], s[64:65], exec
	s_and_b64 s[2:3], s[62:63], exec
	v_mov_b32_e32 v58, v29
.LBB46_104:
	s_or_b64 exec, exec, s[54:55]
	s_and_b64 s[8:9], s[8:9], exec
	s_and_b64 s[2:3], s[2:3], exec
.LBB46_105:
	s_or_b64 exec, exec, s[52:53]
	s_and_b64 s[8:9], s[8:9], exec
	s_and_b64 s[2:3], s[2:3], exec
	s_waitcnt lgkmcnt(0)
	v_mov_b32_e32 v29, v61
.LBB46_106:
	s_or_b64 exec, exec, s[50:51]
	s_and_b64 s[8:9], s[8:9], exec
	s_and_b64 s[2:3], s[2:3], exec
.LBB46_107:
	s_or_b64 exec, exec, s[48:49]
	s_and_b64 s[50:51], s[8:9], exec
	s_and_b64 s[48:49], s[2:3], exec
	v_mov_b32_e32 v63, v9
.LBB46_108:
	s_or_b64 exec, exec, s[46:47]
	s_and_b64 s[8:9], s[50:51], exec
	s_and_b64 s[2:3], s[48:49], exec
.LBB46_109:
	s_or_b64 exec, exec, s[44:45]
	s_and_b64 s[8:9], s[8:9], exec
	s_and_b64 s[2:3], s[2:3], exec
	v_mov_b32_e32 v66, v8
.LBB46_110:
	s_or_b64 exec, exec, s[42:43]
	s_and_b64 s[8:9], s[8:9], exec
	s_and_b64 s[2:3], s[2:3], exec
	v_mov_b32_e32 v65, v60
.LBB46_111:
	s_or_b64 exec, exec, s[40:41]
	s_and_b64 s[8:9], s[8:9], exec
	s_and_b64 s[2:3], s[2:3], exec
	v_mov_b32_e32 v67, v7
.LBB46_112:
	s_or_b64 exec, exec, s[38:39]
	s_and_b64 s[40:41], s[8:9], exec
	s_and_b64 s[38:39], s[2:3], exec
.LBB46_113:
	s_or_b64 exec, exec, s[36:37]
	s_and_b64 s[8:9], s[40:41], exec
	s_and_b64 s[2:3], s[38:39], exec
.LBB46_114:
	s_or_b64 exec, exec, s[34:35]
	s_and_b64 s[8:9], s[8:9], exec
	s_and_b64 s[2:3], s[2:3], exec
.LBB46_115:
	s_or_b64 exec, exec, s[30:31]
	s_and_b64 s[8:9], s[8:9], exec
	s_and_b64 s[2:3], s[2:3], exec
	s_waitcnt lgkmcnt(0)
	v_mov_b32_e32 v7, v59
	v_mov_b32_e32 v68, v5
.LBB46_116:
	s_or_b64 exec, exec, s[28:29]
	s_and_b64 s[8:9], s[8:9], exec
	s_and_b64 s[2:3], s[2:3], exec
.LBB46_117:
	s_or_b64 exec, exec, s[26:27]
	s_and_b64 s[28:29], s[8:9], exec
	s_and_b64 s[26:27], s[2:3], exec
	v_mov_b32_e32 v69, v4
.LBB46_118:
	s_or_b64 exec, exec, s[24:25]
	s_and_b64 s[8:9], s[28:29], exec
	s_and_b64 s[2:3], s[26:27], exec
.LBB46_119:
	s_or_b64 exec, exec, s[22:23]
	s_and_b64 s[8:9], s[8:9], exec
	s_and_b64 s[2:3], s[2:3], exec
	v_mov_b32_e32 v70, v3
.LBB46_120:
	s_or_b64 exec, exec, s[20:21]
	s_and_b64 s[8:9], s[8:9], exec
	s_and_b64 s[2:3], s[2:3], exec
.LBB46_121:
	s_or_b64 exec, exec, s[18:19]
	s_and_b64 s[8:9], s[8:9], exec
	s_and_b64 s[2:3], s[2:3], exec
.LBB46_122:
	s_or_b64 exec, exec, s[16:17]
	s_and_b64 s[8:9], s[8:9], exec
	s_and_b64 s[10:11], s[2:3], exec
.LBB46_123:
	s_or_b64 exec, exec, s[14:15]
	s_and_b64 vcc, exec, s[12:13]
	v_cmp_ne_u32_e64 s[2:3], 0, v0
	s_cbranch_vccnz .LBB46_125
	s_branch .LBB46_128
.LBB46_124:
	s_mov_b64 s[10:11], 0
                                        ; implicit-def: $sgpr8_sgpr9
                                        ; implicit-def: $vgpr59
                                        ; implicit-def: $vgpr60
                                        ; implicit-def: $vgpr61
                                        ; implicit-def: $vgpr62
                                        ; implicit-def: $vgpr64
                                        ; implicit-def: $vgpr1
                                        ; implicit-def: $vgpr24
                                        ; implicit-def: $vgpr43
                                        ; implicit-def: $vgpr2
                                        ; implicit-def: $vgpr46
                                        ; implicit-def: $vgpr42
                                        ; implicit-def: $vgpr44
                                        ; implicit-def: $vgpr55
                                        ; implicit-def: $vgpr45
                                        ; implicit-def: $vgpr51
                                        ; implicit-def: $vgpr14
                                        ; implicit-def: $vgpr47
                                        ; implicit-def: $vgpr48
                                        ; implicit-def: $vgpr49
                                        ; implicit-def: $vgpr50
                                        ; implicit-def: $vgpr10
                                        ; implicit-def: $vgpr52
                                        ; implicit-def: $vgpr53
                                        ; implicit-def: $vgpr54
                                        ; implicit-def: $vgpr27
                                        ; implicit-def: $vgpr7
                                        ; implicit-def: $vgpr65
                                        ; implicit-def: $vgpr29
                                        ; implicit-def: $vgpr57
                                        ; implicit-def: $sgpr7
                                        ; implicit-def: $vgpr58
                                        ; implicit-def: $vgpr28
                                        ; implicit-def: $vgpr63
                                        ; implicit-def: $vgpr70
                                        ; implicit-def: $vgpr66
                                        ; implicit-def: $vgpr67
                                        ; implicit-def: $vgpr69
                                        ; implicit-def: $vgpr6
                                        ; implicit-def: $vgpr68
	s_and_b64 vcc, exec, s[12:13]
	v_cmp_ne_u32_e64 s[2:3], 0, v0
	s_cbranch_vccz .LBB46_128
.LBB46_125:
	v_mov_b32_e32 v1, s59
	s_waitcnt lgkmcnt(0)
	v_add_co_u32_e32 v2, vcc, s58, v56
	v_addc_co_u32_e32 v1, vcc, 0, v1, vcc
	s_movk_i32 s7, 0x1000
	v_add_co_u32_e32 v2, vcc, s7, v2
	v_addc_co_u32_e32 v3, vcc, 0, v1, vcc
	global_load_dword v4, v56, s[58:59]
	global_load_dword v5, v56, s[58:59] offset:256
	global_load_dword v6, v56, s[58:59] offset:512
	global_load_dword v7, v56, s[58:59] offset:768
	global_load_dword v8, v56, s[58:59] offset:1024
	global_load_dword v9, v56, s[58:59] offset:1280
	global_load_dword v10, v56, s[58:59] offset:1536
	global_load_dword v11, v56, s[58:59] offset:1792
	global_load_dword v12, v56, s[58:59] offset:2048
	global_load_dword v14, v56, s[58:59] offset:2304
	global_load_dword v15, v56, s[58:59] offset:2560
	global_load_dword v16, v56, s[58:59] offset:2816
	global_load_dword v17, v56, s[58:59] offset:3072
	global_load_dword v18, v56, s[58:59] offset:3328
	global_load_dword v19, v56, s[58:59] offset:3584
	global_load_dword v20, v56, s[58:59] offset:3840
	global_load_dword v1, v[2:3], off
	global_load_dword v21, v[2:3], off offset:256
	global_load_dword v22, v[2:3], off offset:512
	;; [unrolled: 1-line block ×7, first 2 shown]
	s_sub_u32 s8, 0, s6
	s_subb_u32 s9, 0, 0
	s_cmp_eq_u64 s[8:9], s[76:77]
	s_movk_i32 s7, 0x5c
	s_cselect_b32 s8, 0, -4
	v_mad_u32_u24 v28, v0, s7, v56
	s_cselect_b32 s7, 0, -1
	s_add_u32 s8, s58, s8
	s_addc_u32 s9, s59, s7
	s_movk_i32 s10, 0xffa4
	v_mad_i32_i24 v13, v0, s10, v28
	s_waitcnt vmcnt(22)
	ds_write2st64_b32 v56, v4, v5 offset1:1
	s_waitcnt vmcnt(20)
	ds_write2st64_b32 v56, v6, v7 offset0:2 offset1:3
	s_waitcnt vmcnt(18)
	ds_write2st64_b32 v56, v8, v9 offset0:4 offset1:5
	;; [unrolled: 2-line block ×11, first 2 shown]
	s_waitcnt lgkmcnt(0)
	; wave barrier
	s_waitcnt lgkmcnt(0)
	s_load_dword s7, s[8:9], 0x0
	ds_read2_b32 v[14:15], v28 offset0:7 offset1:12
	ds_read_b64 v[24:25], v28 offset:88
	ds_read2_b64 v[6:9], v28 offset0:9 offset1:10
	ds_read_b32 v26, v28 offset:68
	ds_read2_b32 v[22:23], v28 offset0:15 offset1:16
	ds_read2_b32 v[20:21], v28 offset0:13 offset1:14
	ds_read_b128 v[2:5], v28 offset:32
	ds_read2_b32 v[18:19], v28 offset0:5 offset1:6
	ds_read_b96 v[10:12], v28
	ds_read2_b32 v[16:17], v28 offset0:3 offset1:4
	s_waitcnt lgkmcnt(0)
	ds_write_b32 v13, v25 offset:6144
	s_waitcnt lgkmcnt(0)
	v_mov_b32_e32 v1, s7
	; wave barrier
	s_and_saveexec_b64 s[8:9], s[2:3]
	s_cbranch_execz .LBB46_127
; %bb.126:
	ds_read_b32 v1, v13 offset:6140
.LBB46_127:
	s_or_b64 exec, exec, s[8:9]
	v_cmp_ne_u32_e32 vcc, v7, v8
	v_cmp_ne_u32_e64 s[8:9], v24, v25
	v_cndmask_b32_e64 v25, 0, 1, vcc
	v_cmp_ne_u32_e32 vcc, v6, v7
	v_cndmask_b32_e64 v7, 0, 1, vcc
	v_cmp_ne_u32_e32 vcc, v9, v24
	v_lshlrev_b16_e32 v25, 8, v25
	v_cndmask_b32_e64 v24, 0, 1, vcc
	v_cmp_ne_u32_e32 vcc, v8, v9
	v_lshlrev_b32_e32 v9, 1, v0
	v_or_b32_e32 v7, v7, v25
	s_waitcnt lgkmcnt(0)
	; wave barrier
	s_waitcnt lgkmcnt(0)
	global_load_ushort v25, v9, s[56:57]
	global_load_ushort v27, v9, s[56:57] offset:128
	global_load_ushort v28, v9, s[56:57] offset:256
	;; [unrolled: 1-line block ×23, first 2 shown]
	v_cndmask_b32_e64 v8, 0, 1, vcc
	v_cmp_ne_u32_e32 vcc, v26, v6
	v_lshlrev_b16_e32 v24, 8, v24
	v_cndmask_b32_e64 v46, 0, 1, vcc
	v_cmp_ne_u32_e32 vcc, v21, v22
	v_or_b32_sdwa v8, v8, v24 dst_sel:WORD_1 dst_unused:UNUSED_PAD src0_sel:DWORD src1_sel:DWORD
	v_cndmask_b32_e64 v6, 0, 1, vcc
	v_cmp_ne_u32_e32 vcc, v20, v21
	v_or_b32_sdwa v62, v7, v8 dst_sel:DWORD dst_unused:UNUSED_PAD src0_sel:WORD_0 src1_sel:DWORD
	v_lshlrev_b16_e32 v6, 8, v6
	v_cndmask_b32_e64 v7, 0, 1, vcc
	v_cmp_ne_u32_e32 vcc, v23, v26
	v_or_b32_e32 v6, v7, v6
	v_cndmask_b32_e64 v7, 0, 1, vcc
	v_cmp_ne_u32_e32 vcc, v22, v23
	v_lshlrev_b16_e32 v7, 8, v7
	v_cndmask_b32_e64 v8, 0, 1, vcc
	v_cmp_ne_u32_e32 vcc, v15, v20
	v_or_b32_sdwa v7, v8, v7 dst_sel:WORD_1 dst_unused:UNUSED_PAD src0_sel:DWORD src1_sel:DWORD
	v_cndmask_b32_e64 v55, 0, 1, vcc
	v_cmp_ne_u32_e32 vcc, v3, v4
	v_or_b32_sdwa v61, v6, v7 dst_sel:DWORD dst_unused:UNUSED_PAD src0_sel:WORD_0 src1_sel:DWORD
	v_cndmask_b32_e64 v6, 0, 1, vcc
	v_cmp_ne_u32_e32 vcc, v2, v3
	v_lshlrev_b16_e32 v6, 8, v6
	v_cndmask_b32_e64 v3, 0, 1, vcc
	v_cmp_ne_u32_e32 vcc, v5, v15
	v_or_b32_e32 v3, v3, v6
	v_cndmask_b32_e64 v6, 0, 1, vcc
	v_cmp_ne_u32_e32 vcc, v4, v5
	v_cndmask_b32_e64 v4, 0, 1, vcc
	v_cmp_ne_u32_e32 vcc, v14, v2
	v_lshlrev_b16_e32 v6, 8, v6
	v_cndmask_b32_e64 v51, 0, 1, vcc
	v_cmp_ne_u32_e32 vcc, v17, v18
	v_or_b32_sdwa v4, v4, v6 dst_sel:WORD_1 dst_unused:UNUSED_PAD src0_sel:DWORD src1_sel:DWORD
	v_cndmask_b32_e64 v2, 0, 1, vcc
	v_cmp_ne_u32_e32 vcc, v16, v17
	v_or_b32_sdwa v60, v3, v4 dst_sel:DWORD dst_unused:UNUSED_PAD src0_sel:WORD_0 src1_sel:DWORD
	v_lshlrev_b16_e32 v2, 8, v2
	v_cndmask_b32_e64 v3, 0, 1, vcc
	v_cmp_ne_u32_e32 vcc, v19, v14
	v_or_b32_e32 v2, v3, v2
	v_cndmask_b32_e64 v3, 0, 1, vcc
	v_cmp_ne_u32_e32 vcc, v18, v19
	v_lshlrev_b16_e32 v3, 8, v3
	v_cndmask_b32_e64 v4, 0, 1, vcc
	v_or_b32_sdwa v3, v4, v3 dst_sel:WORD_1 dst_unused:UNUSED_PAD src0_sel:DWORD src1_sel:DWORD
	v_cmp_ne_u32_e32 vcc, v12, v16
	v_or_b32_sdwa v59, v2, v3 dst_sel:DWORD dst_unused:UNUSED_PAD src0_sel:WORD_0 src1_sel:DWORD
	v_cndmask_b32_e64 v44, 0, 1, vcc
	v_cmp_ne_u32_e32 vcc, v11, v12
	v_sub_u32_e32 v2, v13, v9
	v_cndmask_b32_e64 v42, 0, 1, vcc
	v_cmp_ne_u32_e32 vcc, v10, v11
	v_cndmask_b32_e64 v43, 0, 1, vcc
	v_cmp_ne_u32_e32 vcc, v1, v10
	v_cndmask_b32_e64 v1, 0, 1, vcc
	s_mov_b64 s[10:11], -1
                                        ; implicit-def: $vgpr7
                                        ; implicit-def: $vgpr65
                                        ; implicit-def: $vgpr57
                                        ; implicit-def: $sgpr7
                                        ; implicit-def: $vgpr58
                                        ; implicit-def: $vgpr63
                                        ; implicit-def: $vgpr70
                                        ; implicit-def: $vgpr66
                                        ; implicit-def: $vgpr67
                                        ; implicit-def: $vgpr69
                                        ; implicit-def: $vgpr6
                                        ; implicit-def: $vgpr68
	s_waitcnt vmcnt(23)
	ds_write_b16 v2, v25
	s_waitcnt vmcnt(22)
	ds_write_b16 v2, v27 offset:128
	s_waitcnt vmcnt(21)
	ds_write_b16 v2, v28 offset:256
	;; [unrolled: 2-line block ×23, first 2 shown]
	v_mad_u32_u24 v2, v0, 46, v2
	s_waitcnt lgkmcnt(0)
	; wave barrier
	s_waitcnt lgkmcnt(0)
	ds_read_b96 v[24:26], v2
	ds_read_u16 v45, v2 offset:12
	ds_read_b128 v[14:17], v2 offset:14
	ds_read_b128 v[10:13], v2 offset:30
	ds_read_u16 v64, v2 offset:46
	s_waitcnt lgkmcnt(4)
	v_lshrrev_b32_e32 v2, 16, v24
	v_lshrrev_b32_e32 v3, 16, v25
	;; [unrolled: 1-line block ×3, first 2 shown]
	s_waitcnt lgkmcnt(2)
	v_lshrrev_b32_e32 v47, 16, v14
	v_lshrrev_b32_e32 v48, 16, v15
	;; [unrolled: 1-line block ×4, first 2 shown]
	s_waitcnt lgkmcnt(1)
	v_lshrrev_b32_e32 v52, 16, v10
	v_lshrrev_b32_e32 v53, 16, v11
	;; [unrolled: 1-line block ×4, first 2 shown]
                                        ; implicit-def: $vgpr29
                                        ; implicit-def: $vgpr28
.LBB46_128:
	v_mov_b32_e32 v18, s7
	s_and_saveexec_b64 s[2:3], s[10:11]
	s_cbranch_execz .LBB46_130
; %bb.129:
	s_waitcnt lgkmcnt(0)
	v_mov_b32_e32 v5, 0x10000
	v_cndmask_b32_e64 v5, 0, v5, s[8:9]
	v_or_b32_sdwa v18, v5, v64 dst_sel:DWORD dst_unused:UNUSED_PAD src0_sel:DWORD src1_sel:WORD_0
	v_mov_b32_e32 v68, v14
	v_mov_b32_e32 v6, v15
	;; [unrolled: 1-line block ×13, first 2 shown]
.LBB46_130:
	s_or_b64 exec, exec, s[2:3]
	v_and_b32_e32 v31, 1, v43
	v_and_b32_e32 v22, 1, v51
	;; [unrolled: 1-line block ×4, first 2 shown]
	s_cmp_lg_u32 s6, 0
	s_waitcnt lgkmcnt(0)
	v_lshrrev_b32_e32 v5, 16, v57
	v_cmp_eq_u32_e32 vcc, 1, v31
	v_lshrrev_b32_e32 v30, 8, v7
	v_cmp_eq_u32_e64 s[52:53], 1, v22
	v_lshrrev_b32_e32 v23, 8, v65
	v_cmp_eq_u32_e64 s[54:55], 1, v20
	;; [unrolled: 2-line block ×3, first 2 shown]
	v_lshrrev_b32_e32 v19, 8, v57
	v_lshrrev_b32_e32 v8, 24, v57
	v_mbcnt_lo_u32_b32 v3, -1, 0
	s_waitcnt lgkmcnt(0)
	; wave barrier
	s_cbranch_scc0 .LBB46_213
; %bb.131:
	v_mov_b32_e32 v9, 0
	v_add_f16_e32 v10, v2, v24
	v_cmp_eq_u16_sdwa s[2:3], v43, v9 src0_sel:BYTE_0 src1_sel:DWORD
	v_lshlrev_b32_e32 v4, 16, v1
	v_cndmask_b32_e64 v10, v2, v10, s[2:3]
	v_and_b32_e32 v11, 0x10000, v4
	v_add_f16_e32 v4, v10, v25
	v_cmp_eq_u16_sdwa s[70:71], v42, v9 src0_sel:BYTE_0 src1_sel:DWORD
	v_cndmask_b32_e64 v4, v25, v4, s[70:71]
	v_add_f16_e32 v4, v4, v70
	v_cmp_eq_u16_sdwa s[12:13], v44, v9 src0_sel:BYTE_0 src1_sel:DWORD
	v_and_b32_e32 v10, 1, v42
	v_cndmask_b32_e64 v4, v70, v4, s[12:13]
	v_cmp_eq_u32_e64 s[58:59], 1, v10
	v_and_b32_e32 v10, 1, v44
	v_add_f16_e32 v4, v4, v26
	v_cmp_eq_u16_sdwa s[14:15], v7, v9 src0_sel:BYTE_0 src1_sel:DWORD
	v_cmp_eq_u32_e64 s[60:61], 1, v10
	v_cndmask_b32_e64 v4, v26, v4, s[14:15]
	v_and_b32_e32 v10, 1, v7
	s_movk_i32 s7, 0xff
	v_cmp_eq_u32_e64 s[62:63], 1, v10
	v_add_f16_e32 v4, v4, v69
	v_cmp_eq_u16_sdwa s[94:95], v30, v9 src0_sel:BYTE_0 src1_sel:DWORD
	v_and_b32_e32 v10, 0x100, v7
	v_cndmask_b32_e64 v4, v69, v4, s[94:95]
	v_cmp_ne_u32_e64 s[64:65], 0, v10
	v_and_b32_sdwa v10, v7, s7 dst_sel:DWORD dst_unused:UNUSED_PAD src0_sel:WORD_1 src1_sel:DWORD
	v_add_f16_e32 v4, v4, v45
	v_cmp_eq_u16_e64 s[92:93], 0, v10
	v_cndmask_b32_e64 v4, v45, v4, s[92:93]
	v_add_f16_e32 v4, v4, v68
	v_cmp_eq_u16_sdwa s[16:17], v7, v9 src0_sel:BYTE_3 src1_sel:DWORD
	v_cndmask_b32_e64 v4, v68, v4, s[16:17]
	v_add_f16_e32 v4, v4, v47
	v_cmp_eq_u16_sdwa s[18:19], v51, v9 src0_sel:BYTE_0 src1_sel:DWORD
	v_and_b32_e32 v14, 0x10000, v7
	v_cndmask_b32_e64 v4, v47, v4, s[18:19]
	v_cmp_ne_u32_e64 s[66:67], 0, v14
	v_and_b32_e32 v14, 0x1000000, v7
	v_add_f16_e32 v4, v4, v6
	v_cmp_eq_u16_sdwa s[20:21], v65, v9 src0_sel:BYTE_0 src1_sel:DWORD
	s_mov_b64 s[8:9], s[72:73]
	v_cmp_ne_u32_e64 s[68:69], 0, v14
	v_cndmask_b32_e64 v4, v6, v4, s[20:21]
	v_and_b32_e32 v14, 1, v65
	s_mov_b32 s10, s74
	v_cmp_eq_u32_e64 s[72:73], 1, v14
	v_add_f16_e32 v4, v4, v48
	v_cmp_eq_u16_sdwa s[22:23], v23, v9 src0_sel:BYTE_0 src1_sel:DWORD
	v_and_b32_e32 v14, 0x100, v65
	v_cndmask_b32_e64 v4, v48, v4, s[22:23]
	v_cmp_ne_u32_e64 s[74:75], 0, v14
	v_and_b32_sdwa v14, v65, s7 dst_sel:DWORD dst_unused:UNUSED_PAD src0_sel:WORD_1 src1_sel:DWORD
	v_add_f16_e32 v4, v4, v67
	v_cmp_eq_u16_e64 s[24:25], 0, v14
	v_and_b32_e32 v14, 0x10000, v65
	v_cndmask_b32_e64 v4, v67, v4, s[24:25]
	v_cmp_ne_u32_e64 s[76:77], 0, v14
	v_and_b32_e32 v14, 0x1000000, v65
	v_add_f16_e32 v4, v4, v49
	v_cmp_eq_u16_sdwa s[26:27], v65, v9 src0_sel:BYTE_3 src1_sel:DWORD
	v_cmp_ne_u32_e64 s[78:79], 0, v14
	v_cmp_eq_u16_sdwa s[28:29], v55, v9 src0_sel:BYTE_0 src1_sel:DWORD
	v_cmp_eq_u16_sdwa s[30:31], v29, v9 src0_sel:BYTE_0 src1_sel:DWORD
	v_and_b32_e32 v14, 1, v29
	v_cmp_eq_u16_sdwa s[34:35], v21, v9 src0_sel:BYTE_0 src1_sel:DWORD
	v_cmp_eq_u16_sdwa s[38:39], v29, v9 src0_sel:BYTE_3 src1_sel:DWORD
	v_cmp_eq_u16_sdwa s[40:41], v46, v9 src0_sel:BYTE_0 src1_sel:DWORD
	v_cmp_eq_u16_sdwa s[42:43], v57, v9 src0_sel:BYTE_0 src1_sel:DWORD
	;; [unrolled: 1-line block ×4, first 2 shown]
	v_lshrrev_b32_e32 v9, 16, v18
	v_cndmask_b32_e64 v4, v49, v4, s[26:27]
	v_cmp_eq_u32_e64 s[80:81], 1, v14
	v_and_b32_e32 v14, 0x100, v29
	v_or3_b32 v5, v9, v8, v5
	v_add_f16_e32 v4, v4, v66
	v_cmp_ne_u32_e64 s[82:83], 0, v14
	v_and_b32_sdwa v14, v29, s7 dst_sel:DWORD dst_unused:UNUSED_PAD src0_sel:WORD_1 src1_sel:DWORD
	v_or3_b32 v5, v5, v19, v57
	v_cndmask_b32_e64 v4, v66, v4, s[28:29]
	v_cmp_eq_u16_e64 s[36:37], 0, v14
	v_and_b32_e32 v14, 0x10000, v29
	v_and_b32_e32 v5, 1, v5
	v_add_f16_e32 v4, v4, v50
	v_cmp_ne_u32_e64 s[84:85], 0, v14
	v_and_b32_e32 v14, 0x1000000, v29
	v_cmp_eq_u32_e64 s[88:89], 1, v5
	v_cndmask_b32_e64 v4, v50, v4, s[30:31]
	v_cmp_ne_u32_e64 s[86:87], 0, v14
	s_or_b64 s[56:57], s[88:89], s[56:57]
	v_add_f16_e32 v4, v4, v63
	s_or_b64 s[56:57], s[56:57], s[86:87]
	v_cndmask_b32_e64 v4, v63, v4, s[34:35]
	s_or_b64 s[56:57], s[56:57], s[84:85]
	v_add_f16_e32 v4, v4, v52
	s_or_b64 s[56:57], s[56:57], s[82:83]
	v_cndmask_b32_e64 v4, v52, v4, s[36:37]
	;; [unrolled: 4-line block ×7, first 2 shown]
	s_or_b64 s[52:53], s[52:53], s[62:63]
	v_add_f16_e32 v4, v4, v27
	v_cmp_eq_u16_e64 s[48:49], 0, v8
	s_or_b64 s[52:53], s[52:53], s[60:61]
	s_mov_b32 s50, 0x10000
	v_cndmask_b32_e64 v4, v27, v4, s[48:49]
	s_or_b64 s[52:53], s[52:53], s[58:59]
	v_mov_b32_e32 v10, 0x10000
	v_add_f16_e32 v4, v4, v18
	v_cmp_gt_u32_e64 s[50:51], s50, v18
	s_or_b64 vcc, s[52:53], vcc
	v_cndmask_b32_e64 v4, v18, v4, s[50:51]
	v_cndmask_b32_e32 v10, v11, v10, vcc
	v_mbcnt_hi_u32_b32 v9, -1, v3
	v_and_b32_e32 v11, 15, v9
	v_or_b32_sdwa v8, v10, v4 dst_sel:DWORD dst_unused:UNUSED_PAD src0_sel:DWORD src1_sel:WORD_0
	v_lshrrev_b32_e32 v5, 16, v10
	v_cmp_ne_u32_e32 vcc, 0, v11
	v_mov_b32_dpp v14, v8 row_shr:1 row_mask:0xf bank_mask:0xf
	s_and_saveexec_b64 s[52:53], vcc
; %bb.132:
	v_add_f16_e32 v5, v4, v14
	v_cmp_eq_u32_e32 vcc, 0, v10
	v_cndmask_b32_e32 v4, v4, v5, vcc
	v_and_b32_e32 v5, 0x10000, v10
	v_mov_b32_e32 v8, 1
	v_and_b32_sdwa v8, v14, v8 dst_sel:DWORD dst_unused:UNUSED_PAD src0_sel:WORD_1 src1_sel:DWORD
	v_cmp_ne_u32_e32 vcc, 0, v5
	v_cndmask_b32_e64 v5, v8, 1, vcc
	v_lshlrev_b32_e32 v8, 16, v5
	v_or_b32_sdwa v8, v8, v4 dst_sel:DWORD dst_unused:UNUSED_PAD src0_sel:DWORD src1_sel:WORD_0
; %bb.133:
	s_or_b64 exec, exec, s[52:53]
	v_lshrrev_b32_e32 v10, 16, v8
	v_mov_b32_dpp v14, v8 row_shr:2 row_mask:0xf bank_mask:0xf
	v_cmp_lt_u32_e32 vcc, 1, v11
	s_and_saveexec_b64 s[52:53], vcc
	s_cbranch_execz .LBB46_135
; %bb.134:
	s_mov_b32 s7, 0x10000
	v_add_f16_e32 v5, v4, v14
	v_cmp_gt_u32_e32 vcc, s7, v8
	v_cndmask_b32_e32 v4, v4, v5, vcc
	v_and_b32_e32 v5, 0x10000, v8
	v_mov_b32_e32 v8, 1
	v_and_b32_sdwa v8, v14, v8 dst_sel:DWORD dst_unused:UNUSED_PAD src0_sel:WORD_1 src1_sel:DWORD
	v_cmp_ne_u32_e32 vcc, 0, v5
	v_cndmask_b32_e64 v5, v8, 1, vcc
	v_lshlrev_b32_e32 v8, 16, v5
	v_or_b32_sdwa v8, v8, v4 dst_sel:DWORD dst_unused:UNUSED_PAD src0_sel:DWORD src1_sel:WORD_0
	v_mov_b32_e32 v10, v5
.LBB46_135:
	s_or_b64 exec, exec, s[52:53]
	v_mov_b32_dpp v14, v8 row_shr:4 row_mask:0xf bank_mask:0xf
	v_cmp_lt_u32_e32 vcc, 3, v11
	s_and_saveexec_b64 s[52:53], vcc
	s_mov_b32 s74, s10
	s_mov_b64 s[72:73], s[8:9]
	s_load_dwordx2 s[10:11], s[4:5], 0x48
; %bb.136:
	v_add_f16_e32 v5, v4, v14
	v_cmp_eq_u16_e32 vcc, 0, v10
	v_cndmask_b32_e32 v4, v4, v5, vcc
	v_and_b32_e32 v5, 1, v10
	v_mov_b32_e32 v8, 1
	v_and_b32_sdwa v8, v14, v8 dst_sel:DWORD dst_unused:UNUSED_PAD src0_sel:WORD_1 src1_sel:DWORD
	v_cmp_eq_u32_e32 vcc, 1, v5
	v_cndmask_b32_e64 v5, v8, 1, vcc
	v_lshlrev_b32_e32 v8, 16, v5
	v_or_b32_sdwa v8, v8, v4 dst_sel:DWORD dst_unused:UNUSED_PAD src0_sel:DWORD src1_sel:WORD_0
	v_mov_b32_e32 v10, v5
; %bb.137:
	s_or_b64 exec, exec, s[52:53]
	v_mov_b32_dpp v14, v8 row_shr:8 row_mask:0xf bank_mask:0xf
	v_cmp_lt_u32_e32 vcc, 7, v11
	s_and_saveexec_b64 s[52:53], vcc
; %bb.138:
	v_add_f16_e32 v5, v4, v14
	v_cmp_eq_u16_e32 vcc, 0, v10
	v_cndmask_b32_e32 v4, v4, v5, vcc
	v_and_b32_e32 v5, 1, v10
	v_mov_b32_e32 v8, 1
	v_and_b32_sdwa v8, v14, v8 dst_sel:DWORD dst_unused:UNUSED_PAD src0_sel:WORD_1 src1_sel:DWORD
	v_cmp_eq_u32_e32 vcc, 1, v5
	v_cndmask_b32_e64 v5, v8, 1, vcc
	v_lshlrev_b32_e32 v8, 16, v5
	v_or_b32_sdwa v8, v8, v4 dst_sel:DWORD dst_unused:UNUSED_PAD src0_sel:DWORD src1_sel:WORD_0
	v_mov_b32_e32 v10, v5
; %bb.139:
	s_or_b64 exec, exec, s[52:53]
	v_and_b32_e32 v14, 16, v9
	v_mov_b32_dpp v11, v8 row_bcast:15 row_mask:0xf bank_mask:0xf
	v_cmp_ne_u32_e32 vcc, 0, v14
	s_and_saveexec_b64 s[52:53], vcc
; %bb.140:
	v_add_f16_e32 v5, v4, v11
	v_cmp_eq_u16_e32 vcc, 0, v10
	v_cndmask_b32_e32 v4, v4, v5, vcc
	v_and_b32_e32 v5, 1, v10
	v_mov_b32_e32 v8, 1
	v_and_b32_sdwa v8, v11, v8 dst_sel:DWORD dst_unused:UNUSED_PAD src0_sel:WORD_1 src1_sel:DWORD
	v_cmp_eq_u32_e32 vcc, 1, v5
	v_cndmask_b32_e64 v5, v8, 1, vcc
	v_lshlrev_b32_e32 v8, 16, v5
	v_or_b32_sdwa v8, v8, v4 dst_sel:DWORD dst_unused:UNUSED_PAD src0_sel:DWORD src1_sel:WORD_0
	v_mov_b32_e32 v10, v5
; %bb.141:
	s_or_b64 exec, exec, s[52:53]
	v_mov_b32_dpp v8, v8 row_bcast:31 row_mask:0xf bank_mask:0xf
	v_cmp_lt_u32_e32 vcc, 31, v9
	s_and_saveexec_b64 s[52:53], vcc
; %bb.142:
	v_add_f16_e32 v5, v4, v8
	v_cmp_eq_u16_e32 vcc, 0, v10
	v_cndmask_b32_e32 v4, v4, v5, vcc
	v_and_b32_e32 v5, 1, v10
	v_mov_b32_e32 v10, 1
	v_and_b32_sdwa v8, v8, v10 dst_sel:DWORD dst_unused:UNUSED_PAD src0_sel:WORD_1 src1_sel:DWORD
	v_cmp_eq_u32_e32 vcc, 1, v5
	v_cndmask_b32_e64 v5, v8, 1, vcc
; %bb.143:
	s_or_b64 exec, exec, s[52:53]
	v_cmp_eq_u32_e32 vcc, 63, v0
	s_and_saveexec_b64 s[52:53], vcc
	s_cbranch_execz .LBB46_145
; %bb.144:
	v_mov_b32_e32 v8, 0
	ds_write_b16 v8, v4
	ds_write_b8 v8, v5 offset:2
.LBB46_145:
	s_or_b64 exec, exec, s[52:53]
	v_lshlrev_b32_e32 v5, 16, v5
	v_or_b32_sdwa v4, v5, v4 dst_sel:DWORD dst_unused:UNUSED_PAD src0_sel:DWORD src1_sel:WORD_0
	v_add_u32_e32 v5, -1, v9
	v_and_b32_e32 v8, 64, v9
	v_cmp_lt_i32_e32 vcc, v5, v8
	v_cndmask_b32_e32 v5, v5, v9, vcc
	v_lshlrev_b32_e32 v5, 2, v5
	ds_bpermute_b32 v32, v5, v4
	v_cmp_gt_u32_e32 vcc, 64, v0
	s_waitcnt lgkmcnt(0)
	; wave barrier
	s_waitcnt lgkmcnt(0)
	s_and_saveexec_b64 s[54:55], vcc
	s_cbranch_execz .LBB46_188
; %bb.146:
	v_mov_b32_e32 v15, 0
	ds_read_b32 v4, v15
	s_mov_b32 s59, 0
	v_cmp_eq_u32_e64 s[52:53], 0, v9
	s_and_saveexec_b64 s[56:57], s[52:53]
	s_cbranch_execz .LBB46_148
; %bb.147:
	s_add_i32 s58, s6, 64
	s_lshl_b64 s[58:59], s[58:59], 3
	s_add_u32 s58, s72, s58
	s_addc_u32 s59, s73, s59
	v_mov_b32_e32 v5, 1
	s_waitcnt lgkmcnt(0)
	global_store_dwordx2 v15, v[4:5], s[58:59]
.LBB46_148:
	s_or_b64 exec, exec, s[56:57]
	v_xad_u32 v8, v9, -1, s6
	v_add_u32_e32 v14, 64, v8
	v_lshlrev_b64 v[10:11], 3, v[14:15]
	v_mov_b32_e32 v5, s73
	v_add_co_u32_e32 v16, vcc, s72, v10
	v_addc_co_u32_e32 v17, vcc, v5, v11, vcc
	global_load_dwordx2 v[10:11], v[16:17], off glc
	s_waitcnt vmcnt(0)
	v_cmp_eq_u16_sdwa s[58:59], v11, v15 src0_sel:BYTE_0 src1_sel:DWORD
	s_and_saveexec_b64 s[56:57], s[58:59]
	s_cbranch_execz .LBB46_152
; %bb.149:
	s_mov_b64 s[58:59], 0
	v_mov_b32_e32 v5, 0
.LBB46_150:                             ; =>This Inner Loop Header: Depth=1
	global_load_dwordx2 v[10:11], v[16:17], off glc
	s_waitcnt vmcnt(0)
	v_cmp_ne_u16_sdwa s[60:61], v11, v5 src0_sel:BYTE_0 src1_sel:DWORD
	s_or_b64 s[58:59], s[60:61], s[58:59]
	s_andn2_b64 exec, exec, s[58:59]
	s_cbranch_execnz .LBB46_150
; %bb.151:
	s_or_b64 exec, exec, s[58:59]
.LBB46_152:
	s_or_b64 exec, exec, s[56:57]
	v_mov_b32_e32 v5, 2
	v_cmp_eq_u16_sdwa s[56:57], v11, v5 src0_sel:BYTE_0 src1_sel:DWORD
	v_lshlrev_b64 v[14:15], v9, -1
	v_and_b32_e32 v5, s57, v15
	v_or_b32_e32 v5, 0x80000000, v5
	v_and_b32_e32 v16, s56, v14
	v_ffbl_b32_e32 v5, v5
	v_and_b32_e32 v17, 63, v9
	v_add_u32_e32 v5, 32, v5
	v_ffbl_b32_e32 v16, v16
	v_cmp_ne_u32_e32 vcc, 63, v17
	v_min_u32_e32 v16, v16, v5
	v_addc_co_u32_e32 v5, vcc, 0, v9, vcc
	v_and_b32_e32 v59, 0xffffff, v10
	v_lshlrev_b32_e32 v5, 2, v5
	ds_bpermute_b32 v34, v5, v59
	v_add_u32_e32 v33, 1, v9
	v_lshrrev_b32_e32 v71, 16, v10
	v_cmp_le_u32_e32 vcc, v33, v16
	v_bfe_u32 v56, v10, 16, 8
	s_and_saveexec_b64 s[56:57], vcc
	s_cbranch_execz .LBB46_154
; %bb.153:
	v_and_b32_e32 v35, 0xff0000, v10
	s_waitcnt lgkmcnt(0)
	v_add_f16_e32 v36, v10, v34
	v_cmp_eq_u32_e32 vcc, 0, v35
	v_cndmask_b32_e32 v10, v10, v36, vcc
	v_and_b32_e32 v35, 0x10000, v35
	v_mov_b32_e32 v36, 1
	v_and_b32_sdwa v34, v34, v36 dst_sel:DWORD dst_unused:UNUSED_PAD src0_sel:WORD_1 src1_sel:DWORD
	v_cmp_ne_u32_e32 vcc, 0, v35
	v_cndmask_b32_e64 v71, v34, 1, vcc
	v_lshlrev_b32_e32 v34, 16, v71
	v_or_b32_sdwa v59, v34, v10 dst_sel:DWORD dst_unused:UNUSED_PAD src0_sel:DWORD src1_sel:WORD_0
	v_mov_b32_e32 v56, v71
.LBB46_154:
	s_or_b64 exec, exec, s[56:57]
	v_cmp_gt_u32_e32 vcc, 62, v17
	s_waitcnt lgkmcnt(0)
	v_cndmask_b32_e64 v34, 0, 1, vcc
	v_lshlrev_b32_e32 v34, 1, v34
	v_add_lshl_u32 v34, v34, v9, 2
	ds_bpermute_b32 v36, v34, v59
	v_add_u32_e32 v35, 2, v9
	v_cmp_le_u32_e32 vcc, v35, v16
	s_and_saveexec_b64 s[56:57], vcc
	s_cbranch_execz .LBB46_156
; %bb.155:
	s_waitcnt lgkmcnt(0)
	v_add_f16_e32 v37, v10, v36
	v_cmp_eq_u16_e32 vcc, 0, v56
	v_cndmask_b32_e32 v10, v10, v37, vcc
	v_and_b32_e32 v37, 1, v56
	v_mov_b32_e32 v38, 1
	v_and_b32_sdwa v36, v36, v38 dst_sel:DWORD dst_unused:UNUSED_PAD src0_sel:WORD_1 src1_sel:DWORD
	v_cmp_eq_u32_e32 vcc, 1, v37
	v_cndmask_b32_e64 v71, v36, 1, vcc
	v_lshlrev_b32_e32 v36, 16, v71
	v_or_b32_sdwa v59, v36, v10 dst_sel:DWORD dst_unused:UNUSED_PAD src0_sel:DWORD src1_sel:WORD_0
	v_mov_b32_e32 v56, v71
.LBB46_156:
	s_or_b64 exec, exec, s[56:57]
	v_cmp_gt_u32_e32 vcc, 60, v17
	s_waitcnt lgkmcnt(0)
	v_cndmask_b32_e64 v36, 0, 1, vcc
	v_lshlrev_b32_e32 v36, 2, v36
	v_add_lshl_u32 v36, v36, v9, 2
	ds_bpermute_b32 v38, v36, v59
	v_add_u32_e32 v37, 4, v9
	v_cmp_le_u32_e32 vcc, v37, v16
	s_and_saveexec_b64 s[56:57], vcc
	s_cbranch_execz .LBB46_158
; %bb.157:
	s_waitcnt lgkmcnt(0)
	v_add_f16_e32 v39, v10, v38
	v_cmp_eq_u16_e32 vcc, 0, v56
	v_cndmask_b32_e32 v10, v10, v39, vcc
	v_and_b32_e32 v39, 1, v56
	v_mov_b32_e32 v40, 1
	v_and_b32_sdwa v38, v38, v40 dst_sel:DWORD dst_unused:UNUSED_PAD src0_sel:WORD_1 src1_sel:DWORD
	v_cmp_eq_u32_e32 vcc, 1, v39
	v_cndmask_b32_e64 v71, v38, 1, vcc
	v_lshlrev_b32_e32 v38, 16, v71
	v_or_b32_sdwa v59, v38, v10 dst_sel:DWORD dst_unused:UNUSED_PAD src0_sel:DWORD src1_sel:WORD_0
	v_mov_b32_e32 v56, v71
.LBB46_158:
	;; [unrolled: 25-line block ×4, first 2 shown]
	s_or_b64 exec, exec, s[56:57]
	v_cmp_gt_u32_e32 vcc, 32, v17
	v_cndmask_b32_e64 v17, 0, 1, vcc
	v_lshlrev_b32_e32 v17, 5, v17
	s_waitcnt lgkmcnt(0)
	v_add_lshl_u32 v60, v17, v9, 2
	ds_bpermute_b32 v17, v60, v59
	v_add_u32_e32 v61, 32, v9
	v_cmp_le_u32_e32 vcc, v61, v16
	s_and_saveexec_b64 s[56:57], vcc
	s_cbranch_execz .LBB46_164
; %bb.163:
	s_waitcnt lgkmcnt(0)
	v_add_f16_e32 v9, v10, v17
	v_cmp_eq_u16_e32 vcc, 0, v56
	v_cndmask_b32_e32 v10, v10, v9, vcc
	v_and_b32_e32 v9, 1, v56
	v_mov_b32_e32 v16, 1
	v_and_b32_sdwa v16, v17, v16 dst_sel:DWORD dst_unused:UNUSED_PAD src0_sel:WORD_1 src1_sel:DWORD
	v_cmp_eq_u32_e32 vcc, 1, v9
	v_cndmask_b32_e64 v71, v16, 1, vcc
.LBB46_164:
	s_or_b64 exec, exec, s[56:57]
	v_mov_b32_e32 v9, 0
	v_mov_b32_e32 v62, 2
	;; [unrolled: 1-line block ×3, first 2 shown]
	s_branch .LBB46_166
.LBB46_165:                             ;   in Loop: Header=BB46_166 Depth=1
                                        ; implicit-def: $vgpr71
                                        ; implicit-def: $vgpr10
	s_cbranch_execnz .LBB46_184
.LBB46_166:                             ; =>This Loop Header: Depth=1
                                        ;     Child Loop BB46_169 Depth 2
	v_cmp_ne_u16_sdwa s[56:57], v11, v62 src0_sel:BYTE_0 src1_sel:DWORD
	v_cndmask_b32_e64 v11, 0, 1, s[56:57]
	;;#ASMSTART
	;;#ASMEND
	v_cmp_ne_u32_e32 vcc, 0, v11
	v_mov_b32_e32 v56, v71
	s_cmp_lg_u64 vcc, exec
	v_mov_b32_e32 v59, v10
	s_cbranch_scc1 .LBB46_165
; %bb.167:                              ;   in Loop: Header=BB46_166 Depth=1
	v_lshlrev_b64 v[10:11], 3, v[8:9]
	s_waitcnt lgkmcnt(0)
	v_mov_b32_e32 v17, s73
	v_add_co_u32_e32 v16, vcc, s72, v10
	v_addc_co_u32_e32 v17, vcc, v17, v11, vcc
	global_load_dwordx2 v[10:11], v[16:17], off glc
	s_waitcnt vmcnt(0)
	v_cmp_eq_u16_sdwa s[58:59], v11, v9 src0_sel:BYTE_0 src1_sel:DWORD
	s_and_saveexec_b64 s[56:57], s[58:59]
	s_cbranch_execz .LBB46_171
; %bb.168:                              ;   in Loop: Header=BB46_166 Depth=1
	s_mov_b64 s[58:59], 0
.LBB46_169:                             ;   Parent Loop BB46_166 Depth=1
                                        ; =>  This Inner Loop Header: Depth=2
	global_load_dwordx2 v[10:11], v[16:17], off glc
	s_waitcnt vmcnt(0)
	v_cmp_ne_u16_sdwa s[60:61], v11, v9 src0_sel:BYTE_0 src1_sel:DWORD
	s_or_b64 s[58:59], s[60:61], s[58:59]
	s_andn2_b64 exec, exec, s[58:59]
	s_cbranch_execnz .LBB46_169
; %bb.170:                              ;   in Loop: Header=BB46_166 Depth=1
	s_or_b64 exec, exec, s[58:59]
.LBB46_171:                             ;   in Loop: Header=BB46_166 Depth=1
	s_or_b64 exec, exec, s[56:57]
	v_cmp_eq_u16_sdwa s[56:57], v11, v62 src0_sel:BYTE_0 src1_sel:DWORD
	v_and_b32_e32 v16, s57, v15
	v_and_b32_e32 v72, 0xffffff, v10
	v_or_b32_e32 v16, 0x80000000, v16
	ds_bpermute_b32 v73, v5, v72
	v_and_b32_e32 v17, s56, v14
	v_ffbl_b32_e32 v16, v16
	v_add_u32_e32 v16, 32, v16
	v_ffbl_b32_e32 v17, v17
	v_min_u32_e32 v16, v17, v16
	v_lshrrev_b32_e32 v17, 16, v10
	v_cmp_le_u32_e32 vcc, v33, v16
	v_bfe_u32 v71, v10, 16, 8
	s_and_saveexec_b64 s[56:57], vcc
	s_cbranch_execz .LBB46_173
; %bb.172:                              ;   in Loop: Header=BB46_166 Depth=1
	v_and_b32_e32 v17, 0xff0000, v10
	s_waitcnt lgkmcnt(0)
	v_add_f16_e32 v71, v10, v73
	v_cmp_eq_u32_e32 vcc, 0, v17
	v_and_b32_e32 v17, 0x10000, v17
	v_cndmask_b32_e32 v10, v10, v71, vcc
	v_and_b32_sdwa v71, v73, v64 dst_sel:DWORD dst_unused:UNUSED_PAD src0_sel:WORD_1 src1_sel:DWORD
	v_cmp_ne_u32_e32 vcc, 0, v17
	v_cndmask_b32_e64 v17, v71, 1, vcc
	v_lshlrev_b32_e32 v71, 16, v17
	v_or_b32_sdwa v72, v71, v10 dst_sel:DWORD dst_unused:UNUSED_PAD src0_sel:DWORD src1_sel:WORD_0
	v_mov_b32_e32 v71, v17
.LBB46_173:                             ;   in Loop: Header=BB46_166 Depth=1
	s_or_b64 exec, exec, s[56:57]
	s_waitcnt lgkmcnt(0)
	ds_bpermute_b32 v73, v34, v72
	v_cmp_le_u32_e32 vcc, v35, v16
	s_and_saveexec_b64 s[56:57], vcc
	s_cbranch_execz .LBB46_175
; %bb.174:                              ;   in Loop: Header=BB46_166 Depth=1
	s_waitcnt lgkmcnt(0)
	v_add_f16_e32 v17, v10, v73
	v_cmp_eq_u16_e32 vcc, 0, v71
	v_cndmask_b32_e32 v10, v10, v17, vcc
	v_and_b32_e32 v17, 1, v71
	v_and_b32_sdwa v71, v73, v64 dst_sel:DWORD dst_unused:UNUSED_PAD src0_sel:WORD_1 src1_sel:DWORD
	v_cmp_eq_u32_e32 vcc, 1, v17
	v_cndmask_b32_e64 v17, v71, 1, vcc
	v_lshlrev_b32_e32 v71, 16, v17
	v_or_b32_sdwa v72, v71, v10 dst_sel:DWORD dst_unused:UNUSED_PAD src0_sel:DWORD src1_sel:WORD_0
	v_mov_b32_e32 v71, v17
.LBB46_175:                             ;   in Loop: Header=BB46_166 Depth=1
	s_or_b64 exec, exec, s[56:57]
	s_waitcnt lgkmcnt(0)
	ds_bpermute_b32 v73, v36, v72
	v_cmp_le_u32_e32 vcc, v37, v16
	s_and_saveexec_b64 s[56:57], vcc
	s_cbranch_execz .LBB46_177
; %bb.176:                              ;   in Loop: Header=BB46_166 Depth=1
	s_waitcnt lgkmcnt(0)
	v_add_f16_e32 v17, v10, v73
	v_cmp_eq_u16_e32 vcc, 0, v71
	v_cndmask_b32_e32 v10, v10, v17, vcc
	v_and_b32_e32 v17, 1, v71
	v_and_b32_sdwa v71, v73, v64 dst_sel:DWORD dst_unused:UNUSED_PAD src0_sel:WORD_1 src1_sel:DWORD
	v_cmp_eq_u32_e32 vcc, 1, v17
	v_cndmask_b32_e64 v17, v71, 1, vcc
	v_lshlrev_b32_e32 v71, 16, v17
	v_or_b32_sdwa v72, v71, v10 dst_sel:DWORD dst_unused:UNUSED_PAD src0_sel:DWORD src1_sel:WORD_0
	v_mov_b32_e32 v71, v17
.LBB46_177:                             ;   in Loop: Header=BB46_166 Depth=1
	;; [unrolled: 19-line block ×4, first 2 shown]
	s_or_b64 exec, exec, s[56:57]
	ds_bpermute_b32 v72, v60, v72
	v_cmp_le_u32_e32 vcc, v61, v16
	s_and_saveexec_b64 s[56:57], vcc
	s_cbranch_execz .LBB46_183
; %bb.182:                              ;   in Loop: Header=BB46_166 Depth=1
	s_waitcnt lgkmcnt(0)
	v_add_f16_e32 v16, v10, v72
	v_cmp_eq_u16_e32 vcc, 0, v71
	v_cndmask_b32_e32 v10, v10, v16, vcc
	v_and_b32_e32 v16, 1, v71
	v_lshrrev_b32_e32 v17, 16, v72
	v_cmp_eq_u32_e32 vcc, 1, v16
	v_cndmask_b32_e64 v17, v17, 1, vcc
.LBB46_183:                             ;   in Loop: Header=BB46_166 Depth=1
	s_or_b64 exec, exec, s[56:57]
	v_add_f16_e32 v10, v59, v10
	v_cmp_eq_u16_sdwa vcc, v56, v9 src0_sel:BYTE_0 src1_sel:DWORD
	v_and_b32_e32 v16, 1, v56
	v_cndmask_b32_e32 v10, v59, v10, vcc
	v_and_b32_e32 v17, 1, v17
	v_cmp_eq_u32_e32 vcc, 1, v16
	v_subrev_u32_e32 v8, 64, v8
	v_cndmask_b32_e64 v71, v17, 1, vcc
	s_branch .LBB46_166
.LBB46_184:
	s_and_saveexec_b64 s[56:57], s[52:53]
	s_cbranch_execz .LBB46_186
; %bb.185:
	v_and_b32_e32 v5, 0xff0000, v4
	v_add_f16_e32 v8, v4, v59
	v_cmp_eq_u32_e32 vcc, 0, v5
	s_mov_b32 s7, 0
	v_cndmask_b32_e32 v5, v4, v8, vcc
	v_and_b32_e32 v4, 0x10000, v4
	v_mov_b32_e32 v8, 1
	s_add_i32 s6, s6, 64
	v_and_b32_sdwa v8, v56, v8 dst_sel:WORD_1 dst_unused:UNUSED_PAD src0_sel:DWORD src1_sel:DWORD
	v_mov_b32_e32 v9, 0x10000
	v_cmp_eq_u32_e32 vcc, 0, v4
	s_lshl_b64 s[6:7], s[6:7], 3
	v_cndmask_b32_e32 v4, v9, v8, vcc
	s_add_u32 s6, s72, s6
	s_addc_u32 s7, s73, s7
	v_mov_b32_e32 v8, 0
	v_or_b32_sdwa v4, v4, v5 dst_sel:DWORD dst_unused:UNUSED_PAD src0_sel:DWORD src1_sel:WORD_0
	v_mov_b32_e32 v5, 2
	global_store_dwordx2 v8, v[4:5], s[6:7]
.LBB46_186:
	s_or_b64 exec, exec, s[56:57]
	v_cmp_eq_u32_e32 vcc, 0, v0
	s_and_b64 exec, exec, vcc
	s_cbranch_execz .LBB46_188
; %bb.187:
	v_mov_b32_e32 v4, 0
	ds_write_b16 v4, v59
	ds_write_b8 v4, v56 offset:2
.LBB46_188:
	s_or_b64 exec, exec, s[54:55]
	v_mov_b32_e32 v4, 0
	s_waitcnt lgkmcnt(0)
	; wave barrier
	s_waitcnt lgkmcnt(0)
	ds_read_b32 v5, v4
	v_cmp_ne_u32_e32 vcc, 0, v0
	v_mov_b32_e32 v8, v24
	v_mov_b32_e32 v9, v24
	v_mov_b32_e32 v10, v1
	s_and_saveexec_b64 s[6:7], vcc
; %bb.189:
	v_add_f16_e32 v8, v24, v32
	v_cmp_eq_u16_sdwa vcc, v1, v4 src0_sel:BYTE_0 src1_sel:DWORD
	v_and_b32_e32 v9, 1, v1
	v_mov_b32_e32 v10, 1
	v_cndmask_b32_e32 v8, v24, v8, vcc
	v_and_b32_sdwa v10, v32, v10 dst_sel:DWORD dst_unused:UNUSED_PAD src0_sel:WORD_1 src1_sel:DWORD
	v_cmp_eq_u32_e32 vcc, 1, v9
	v_cndmask_b32_e64 v10, v10, 1, vcc
	v_mov_b32_e32 v9, v8
; %bb.190:
	s_or_b64 exec, exec, s[6:7]
	s_waitcnt lgkmcnt(0)
	v_add_f16_e32 v5, v8, v5
	v_cmp_eq_u16_sdwa vcc, v10, v4 src0_sel:BYTE_0 src1_sel:DWORD
	v_cndmask_b32_e32 v5, v9, v5, vcc
	v_add_f16_e32 v4, v2, v5
	v_cndmask_b32_e64 v4, v2, v4, s[2:3]
	v_add_f16_e32 v8, v4, v25
	v_cndmask_b32_e64 v8, v25, v8, s[70:71]
	v_add_f16_e32 v9, v8, v70
	v_cndmask_b32_e64 v9, v70, v9, s[12:13]
	v_add_f16_e32 v10, v9, v26
	v_cndmask_b32_e64 v10, v26, v10, s[14:15]
	v_add_f16_e32 v11, v10, v69
	v_cndmask_b32_e64 v11, v69, v11, s[94:95]
	v_add_f16_e32 v14, v11, v45
	v_cndmask_b32_e64 v16, v45, v14, s[92:93]
	v_add_f16_e32 v14, v16, v68
	v_cndmask_b32_e64 v33, v68, v14, s[16:17]
	v_add_f16_e32 v14, v33, v47
	v_cndmask_b32_e64 v14, v47, v14, s[18:19]
	v_add_f16_e32 v15, v14, v6
	v_cndmask_b32_e64 v15, v6, v15, s[20:21]
	v_add_f16_e32 v17, v15, v48
	v_cndmask_b32_e64 v17, v48, v17, s[22:23]
	v_add_f16_e32 v32, v17, v67
	v_cndmask_b32_e64 v32, v67, v32, s[24:25]
	v_add_f16_e32 v34, v32, v49
	v_cndmask_b32_e64 v35, v49, v34, s[26:27]
	v_add_f16_e32 v34, v35, v66
	v_cndmask_b32_e64 v37, v66, v34, s[28:29]
	v_add_f16_e32 v34, v37, v50
	v_cndmask_b32_e64 v39, v50, v34, s[30:31]
	v_add_f16_e32 v34, v39, v63
	v_cndmask_b32_e64 v41, v63, v34, s[34:35]
	v_add_f16_e32 v34, v41, v52
	v_cndmask_b32_e64 v34, v52, v34, s[36:37]
	v_add_f16_e32 v36, v34, v28
	v_cndmask_b32_e64 v36, v28, v36, s[38:39]
	v_add_f16_e32 v38, v36, v53
	v_cndmask_b32_e64 v38, v53, v38, s[40:41]
	v_add_f16_e32 v40, v38, v58
	v_cndmask_b32_e64 v40, v58, v40, s[42:43]
	v_add_f16_e32 v56, v40, v54
	v_cndmask_b32_e64 v56, v54, v56, s[44:45]
	v_add_f16_e32 v59, v56, v13
	v_cndmask_b32_e64 v59, v13, v59, s[46:47]
	v_add_f16_e32 v60, v59, v27
	v_cndmask_b32_e64 v60, v27, v60, s[48:49]
	v_add_f16_e32 v61, v60, v18
	v_cndmask_b32_e64 v61, v18, v61, s[50:51]
	s_branch .LBB46_235
.LBB46_191:
	s_or_b64 exec, exec, s[60:61]
                                        ; implicit-def: $vgpr7
	s_and_saveexec_b64 s[2:3], s[54:55]
	s_cbranch_execz .LBB46_53
.LBB46_192:
	global_load_ushort v7, v[2:3], off offset:128
	s_or_b64 exec, exec, s[2:3]
                                        ; implicit-def: $vgpr13
	s_and_saveexec_b64 s[2:3], s[8:9]
	s_cbranch_execnz .LBB46_54
.LBB46_193:
	s_or_b64 exec, exec, s[2:3]
                                        ; implicit-def: $vgpr14
	s_and_saveexec_b64 s[2:3], s[10:11]
	s_cbranch_execz .LBB46_55
.LBB46_194:
	global_load_ushort v14, v[2:3], off offset:384
	s_or_b64 exec, exec, s[2:3]
                                        ; implicit-def: $vgpr15
	s_and_saveexec_b64 s[2:3], s[12:13]
	s_cbranch_execnz .LBB46_56
.LBB46_195:
	s_or_b64 exec, exec, s[2:3]
                                        ; implicit-def: $vgpr24
	s_and_saveexec_b64 s[2:3], s[14:15]
	s_cbranch_execz .LBB46_57
.LBB46_196:
	global_load_ushort v24, v[2:3], off offset:640
	s_or_b64 exec, exec, s[2:3]
                                        ; implicit-def: $vgpr25
	s_and_saveexec_b64 s[2:3], s[16:17]
	s_cbranch_execnz .LBB46_58
.LBB46_197:
	s_or_b64 exec, exec, s[2:3]
                                        ; implicit-def: $vgpr26
	s_and_saveexec_b64 s[2:3], s[18:19]
	s_cbranch_execz .LBB46_59
.LBB46_198:
	global_load_ushort v26, v[2:3], off offset:896
	s_or_b64 exec, exec, s[2:3]
                                        ; implicit-def: $vgpr27
	s_and_saveexec_b64 s[2:3], s[20:21]
	s_cbranch_execnz .LBB46_60
.LBB46_199:
	s_or_b64 exec, exec, s[2:3]
                                        ; implicit-def: $vgpr28
	s_and_saveexec_b64 s[2:3], s[22:23]
	s_cbranch_execz .LBB46_61
.LBB46_200:
	global_load_ushort v28, v[2:3], off offset:1152
	s_or_b64 exec, exec, s[2:3]
                                        ; implicit-def: $vgpr29
	s_and_saveexec_b64 s[2:3], s[24:25]
	s_cbranch_execnz .LBB46_62
.LBB46_201:
	s_or_b64 exec, exec, s[2:3]
                                        ; implicit-def: $vgpr42
	s_and_saveexec_b64 s[2:3], s[26:27]
	s_cbranch_execz .LBB46_63
.LBB46_202:
	global_load_ushort v42, v[2:3], off offset:1408
	s_or_b64 exec, exec, s[2:3]
                                        ; implicit-def: $vgpr43
	s_and_saveexec_b64 s[2:3], s[28:29]
	s_cbranch_execnz .LBB46_64
.LBB46_203:
	s_or_b64 exec, exec, s[2:3]
                                        ; implicit-def: $vgpr44
	s_and_saveexec_b64 s[2:3], s[30:31]
	s_cbranch_execz .LBB46_65
.LBB46_204:
	global_load_ushort v44, v[2:3], off offset:1664
	s_or_b64 exec, exec, s[2:3]
                                        ; implicit-def: $vgpr45
	s_and_saveexec_b64 s[2:3], s[34:35]
	s_cbranch_execnz .LBB46_66
.LBB46_205:
	s_or_b64 exec, exec, s[2:3]
                                        ; implicit-def: $vgpr46
	s_and_saveexec_b64 s[2:3], s[36:37]
	s_cbranch_execz .LBB46_67
.LBB46_206:
	global_load_ushort v46, v[2:3], off offset:1920
	s_or_b64 exec, exec, s[2:3]
                                        ; implicit-def: $vgpr47
	s_and_saveexec_b64 s[2:3], s[38:39]
	s_cbranch_execnz .LBB46_68
.LBB46_207:
	s_or_b64 exec, exec, s[2:3]
                                        ; implicit-def: $vgpr48
	s_and_saveexec_b64 s[2:3], s[40:41]
	s_cbranch_execz .LBB46_69
.LBB46_208:
	global_load_ushort v48, v[2:3], off offset:2176
	s_or_b64 exec, exec, s[2:3]
                                        ; implicit-def: $vgpr49
	s_and_saveexec_b64 s[2:3], s[42:43]
	s_cbranch_execnz .LBB46_70
.LBB46_209:
	s_or_b64 exec, exec, s[2:3]
                                        ; implicit-def: $vgpr50
	s_and_saveexec_b64 s[2:3], s[44:45]
	s_cbranch_execz .LBB46_71
.LBB46_210:
	global_load_ushort v50, v[2:3], off offset:2432
	s_or_b64 exec, exec, s[2:3]
                                        ; implicit-def: $vgpr51
	s_and_saveexec_b64 s[2:3], s[46:47]
	s_cbranch_execnz .LBB46_72
.LBB46_211:
	s_or_b64 exec, exec, s[2:3]
                                        ; implicit-def: $vgpr52
	s_and_saveexec_b64 s[2:3], s[48:49]
	s_cbranch_execz .LBB46_73
.LBB46_212:
	global_load_ushort v52, v[2:3], off offset:2688
	s_or_b64 exec, exec, s[2:3]
                                        ; implicit-def: $vgpr53
	s_and_saveexec_b64 s[2:3], s[50:51]
	s_cbranch_execz .LBB46_75
	s_branch .LBB46_74
.LBB46_213:
	s_load_dwordx2 s[10:11], s[4:5], 0x48
                                        ; implicit-def: $vgpr61
                                        ; implicit-def: $vgpr60
                                        ; implicit-def: $vgpr59
                                        ; implicit-def: $vgpr5
                                        ; implicit-def: $vgpr56
                                        ; implicit-def: $vgpr40
                                        ; implicit-def: $vgpr4
                                        ; implicit-def: $vgpr38
                                        ; implicit-def: $vgpr36
                                        ; implicit-def: $vgpr8
                                        ; implicit-def: $vgpr34
                                        ; implicit-def: $vgpr41
                                        ; implicit-def: $vgpr9
                                        ; implicit-def: $vgpr39
                                        ; implicit-def: $vgpr37
                                        ; implicit-def: $vgpr10
                                        ; implicit-def: $vgpr35
                                        ; implicit-def: $vgpr32
                                        ; implicit-def: $vgpr11
                                        ; implicit-def: $vgpr17
                                        ; implicit-def: $vgpr15
                                        ; implicit-def: $vgpr16
                                        ; implicit-def: $vgpr14
                                        ; implicit-def: $vgpr33
	s_cbranch_execz .LBB46_235
; %bb.214:
	s_waitcnt lgkmcnt(0)
	s_cmp_lg_u64 s[10:11], 0
	s_cselect_b64 s[2:3], -1, 0
	v_cmp_eq_u32_e32 vcc, 0, v0
	s_and_b64 s[2:3], vcc, s[2:3]
	s_and_saveexec_b64 s[6:7], s[2:3]
	s_cbranch_execz .LBB46_218
; %bb.215:
	v_mov_b32_e32 v5, 0
	global_load_ubyte v4, v5, s[10:11] offset:2
	v_cmp_eq_u16_sdwa s[8:9], v1, v5 src0_sel:BYTE_0 src1_sel:DWORD
	s_and_saveexec_b64 s[2:3], s[8:9]
	s_cbranch_execz .LBB46_217
; %bb.216:
	global_load_ushort v5, v5, s[10:11]
	s_waitcnt vmcnt(0)
	v_add_f16_e32 v24, v5, v24
.LBB46_217:
	s_or_b64 exec, exec, s[2:3]
	v_and_b32_e32 v1, 1, v1
	s_waitcnt vmcnt(0)
	v_and_b32_e32 v4, 1, v4
	v_cmp_eq_u32_e64 s[2:3], 1, v1
	v_cndmask_b32_e64 v1, v4, 1, s[2:3]
.LBB46_218:
	s_or_b64 exec, exec, s[6:7]
	v_mov_b32_e32 v5, 0
	v_add_f16_e32 v8, v2, v24
	v_cmp_eq_u16_sdwa s[2:3], v43, v5 src0_sel:BYTE_0 src1_sel:DWORD
	v_lshlrev_b32_e32 v4, 16, v1
	v_cndmask_b32_e64 v8, v2, v8, s[2:3]
	v_and_b32_e32 v9, 0x10000, v4
	v_add_f16_e32 v4, v8, v25
	v_cmp_eq_u16_sdwa s[6:7], v42, v5 src0_sel:BYTE_0 src1_sel:DWORD
	v_cndmask_b32_e64 v4, v25, v4, s[6:7]
	v_add_f16_e32 v4, v4, v70
	v_cmp_eq_u16_sdwa s[8:9], v44, v5 src0_sel:BYTE_0 src1_sel:DWORD
	v_cndmask_b32_e64 v4, v70, v4, s[8:9]
	;; [unrolled: 3-line block ×3, first 2 shown]
	s_movk_i32 s30, 0xff
	v_add_f16_e32 v4, v4, v69
	v_cmp_eq_u16_sdwa s[12:13], v30, v5 src0_sel:BYTE_0 src1_sel:DWORD
	v_cndmask_b32_e64 v4, v69, v4, s[12:13]
	v_and_b32_sdwa v8, v7, s30 dst_sel:DWORD dst_unused:UNUSED_PAD src0_sel:WORD_1 src1_sel:DWORD
	v_add_f16_e32 v4, v4, v45
	v_cmp_eq_u16_e64 s[14:15], 0, v8
	v_cndmask_b32_e64 v4, v45, v4, s[14:15]
	v_add_f16_e32 v4, v4, v68
	v_cmp_eq_u16_sdwa s[16:17], v7, v5 src0_sel:BYTE_3 src1_sel:DWORD
	v_cndmask_b32_e64 v4, v68, v4, s[16:17]
	v_add_f16_e32 v4, v4, v47
	v_cmp_eq_u16_sdwa s[18:19], v51, v5 src0_sel:BYTE_0 src1_sel:DWORD
	v_cndmask_b32_e64 v4, v47, v4, s[18:19]
	v_add_f16_e32 v4, v4, v6
	v_cmp_eq_u16_sdwa s[20:21], v65, v5 src0_sel:BYTE_0 src1_sel:DWORD
	;; [unrolled: 3-line block ×3, first 2 shown]
	v_cndmask_b32_e64 v4, v48, v4, s[22:23]
	v_and_b32_sdwa v8, v65, s30 dst_sel:DWORD dst_unused:UNUSED_PAD src0_sel:WORD_1 src1_sel:DWORD
	v_add_f16_e32 v4, v4, v67
	v_cmp_eq_u16_e64 s[24:25], 0, v8
	v_cndmask_b32_e64 v4, v67, v4, s[24:25]
	v_add_f16_e32 v4, v4, v49
	v_cmp_eq_u16_sdwa s[26:27], v65, v5 src0_sel:BYTE_3 src1_sel:DWORD
	v_cndmask_b32_e64 v4, v49, v4, s[26:27]
	v_add_f16_e32 v4, v4, v66
	v_cmp_eq_u16_sdwa s[28:29], v55, v5 src0_sel:BYTE_0 src1_sel:DWORD
	v_cndmask_b32_e64 v4, v66, v4, s[28:29]
	v_and_b32_sdwa v8, v29, s30 dst_sel:DWORD dst_unused:UNUSED_PAD src0_sel:WORD_1 src1_sel:DWORD
	v_add_f16_e32 v4, v4, v50
	v_cmp_eq_u16_sdwa s[34:35], v29, v5 src0_sel:BYTE_0 src1_sel:DWORD
	v_cmp_eq_u16_e64 s[38:39], 0, v8
	v_and_b32_sdwa v8, v57, s30 dst_sel:DWORD dst_unused:UNUSED_PAD src0_sel:WORD_1 src1_sel:DWORD
	v_cndmask_b32_e64 v4, v50, v4, s[34:35]
	v_cmp_eq_u16_e64 s[48:49], 0, v8
	v_and_b32_e32 v8, 0x10000, v18
	v_add_f16_e32 v4, v4, v63
	v_cmp_eq_u16_sdwa s[36:37], v21, v5 src0_sel:BYTE_0 src1_sel:DWORD
	v_cmp_ne_u32_e64 s[60:61], 0, v8
	v_or_b32_e32 v8, v57, v29
	v_cndmask_b32_e64 v4, v63, v4, s[36:37]
	v_or3_b32 v7, v8, v65, v7
	v_add_f16_e32 v4, v4, v52
	v_lshrrev_b16_e32 v10, 7, v7
	v_cndmask_b32_e64 v4, v52, v4, s[38:39]
	v_and_b32_e32 v8, 1, v7
	v_and_b32_e32 v10, 2, v10
	v_add_f16_e32 v4, v4, v28
	v_cmp_eq_u16_sdwa s[40:41], v29, v5 src0_sel:BYTE_3 src1_sel:DWORD
	v_or_b32_e32 v10, v8, v10
	v_lshrrev_b32_e32 v8, 23, v7
	v_cndmask_b32_e64 v4, v28, v4, s[40:41]
	v_and_b32_e32 v11, 2, v8
	v_mov_b32_e32 v8, 1
	v_add_f16_e32 v4, v4, v53
	v_cmp_eq_u16_sdwa s[42:43], v46, v5 src0_sel:BYTE_0 src1_sel:DWORD
	v_and_b32_sdwa v7, v7, v8 dst_sel:DWORD dst_unused:UNUSED_PAD src0_sel:WORD_1 src1_sel:DWORD
	v_cndmask_b32_e64 v4, v53, v4, s[42:43]
	v_or_b32_e32 v7, v7, v11
	v_add_f16_e32 v4, v4, v58
	v_cmp_eq_u16_sdwa s[44:45], v57, v5 src0_sel:BYTE_0 src1_sel:DWORD
	v_lshlrev_b16_e32 v7, 2, v7
	v_cndmask_b32_e64 v4, v58, v4, s[44:45]
	v_or_b32_e32 v7, v10, v7
	v_cmp_eq_u32_e64 s[58:59], 1, v12
	v_add_f16_e32 v4, v4, v54
	v_cmp_eq_u16_sdwa s[46:47], v19, v5 src0_sel:BYTE_0 src1_sel:DWORD
	v_cmp_ne_u16_e64 s[62:63], 0, v7
	v_cmp_eq_u32_e64 s[56:57], 1, v20
	v_cndmask_b32_e64 v4, v54, v4, s[46:47]
	s_or_b64 s[62:63], s[62:63], s[58:59]
	v_or_b32_e32 v7, v44, v42
	v_cmp_eq_u32_e64 s[54:55], 1, v22
	v_add_f16_e32 v4, v4, v13
	v_and_b32_e32 v7, 1, v7
	s_or_b64 s[56:57], s[62:63], s[56:57]
	v_cndmask_b32_e64 v4, v13, v4, s[48:49]
	v_cmp_eq_u32_e64 s[58:59], 1, v7
	s_or_b64 s[54:55], s[56:57], s[54:55]
	v_add_f16_e32 v4, v4, v27
	v_cmp_eq_u16_sdwa s[50:51], v57, v5 src0_sel:BYTE_3 src1_sel:DWORD
	s_or_b64 s[54:55], s[54:55], s[58:59]
	v_cmp_eq_u32_e64 s[52:53], 1, v31
	s_mov_b32 s31, 0x10000
	v_cndmask_b32_e64 v4, v27, v4, s[50:51]
	s_or_b64 s[54:55], s[54:55], s[60:61]
	v_add_f16_e32 v4, v4, v18
	v_cmp_gt_u32_e64 s[30:31], s31, v18
	v_mov_b32_e32 v5, 0x10000
	s_or_b64 s[52:53], s[54:55], s[52:53]
	v_cndmask_b32_e64 v4, v18, v4, s[30:31]
	v_cndmask_b32_e64 v10, v9, v5, s[52:53]
	v_mbcnt_hi_u32_b32 v3, -1, v3
	v_and_b32_e32 v9, 15, v3
	v_or_b32_sdwa v7, v10, v4 dst_sel:DWORD dst_unused:UNUSED_PAD src0_sel:DWORD src1_sel:WORD_0
	v_lshrrev_b32_e32 v5, 16, v10
	v_cmp_ne_u32_e64 s[52:53], 0, v9
	v_mov_b32_dpp v11, v7 row_shr:1 row_mask:0xf bank_mask:0xf
	s_and_saveexec_b64 s[54:55], s[52:53]
; %bb.219:
	v_add_f16_e32 v5, v11, v4
	v_cmp_eq_u32_e64 s[52:53], 0, v10
	v_cndmask_b32_e64 v4, v4, v5, s[52:53]
	v_and_b32_e32 v5, 0x10000, v10
	v_and_b32_sdwa v7, v11, v8 dst_sel:DWORD dst_unused:UNUSED_PAD src0_sel:WORD_1 src1_sel:DWORD
	v_cmp_ne_u32_e64 s[52:53], 0, v5
	v_cndmask_b32_e64 v5, v7, 1, s[52:53]
	v_lshlrev_b32_e32 v7, 16, v5
	v_or_b32_sdwa v7, v7, v4 dst_sel:DWORD dst_unused:UNUSED_PAD src0_sel:DWORD src1_sel:WORD_0
; %bb.220:
	s_or_b64 exec, exec, s[54:55]
	v_lshrrev_b32_e32 v8, 16, v7
	v_mov_b32_dpp v10, v7 row_shr:2 row_mask:0xf bank_mask:0xf
	v_cmp_lt_u32_e64 s[52:53], 1, v9
	s_and_saveexec_b64 s[54:55], s[52:53]
	s_cbranch_execz .LBB46_222
; %bb.221:
	s_mov_b32 s52, 0x10000
	v_add_f16_e32 v5, v4, v10
	v_cmp_gt_u32_e64 s[52:53], s52, v7
	v_cndmask_b32_e64 v4, v4, v5, s[52:53]
	v_and_b32_e32 v5, 0x10000, v7
	v_mov_b32_e32 v7, 1
	v_and_b32_sdwa v7, v10, v7 dst_sel:DWORD dst_unused:UNUSED_PAD src0_sel:WORD_1 src1_sel:DWORD
	v_cmp_ne_u32_e64 s[52:53], 0, v5
	v_cndmask_b32_e64 v5, v7, 1, s[52:53]
	v_lshlrev_b32_e32 v7, 16, v5
	v_or_b32_sdwa v7, v7, v4 dst_sel:DWORD dst_unused:UNUSED_PAD src0_sel:DWORD src1_sel:WORD_0
	v_mov_b32_e32 v8, v5
.LBB46_222:
	s_or_b64 exec, exec, s[54:55]
	v_mov_b32_dpp v10, v7 row_shr:4 row_mask:0xf bank_mask:0xf
	v_cmp_lt_u32_e64 s[52:53], 3, v9
	s_and_saveexec_b64 s[54:55], s[52:53]
; %bb.223:
	v_add_f16_e32 v5, v4, v10
	v_cmp_eq_u16_e64 s[52:53], 0, v8
	v_cndmask_b32_e64 v4, v4, v5, s[52:53]
	v_and_b32_e32 v5, 1, v8
	v_mov_b32_e32 v7, 1
	v_and_b32_sdwa v7, v10, v7 dst_sel:DWORD dst_unused:UNUSED_PAD src0_sel:WORD_1 src1_sel:DWORD
	v_cmp_eq_u32_e64 s[52:53], 1, v5
	v_cndmask_b32_e64 v5, v7, 1, s[52:53]
	v_lshlrev_b32_e32 v7, 16, v5
	v_or_b32_sdwa v7, v7, v4 dst_sel:DWORD dst_unused:UNUSED_PAD src0_sel:DWORD src1_sel:WORD_0
	v_mov_b32_e32 v8, v5
; %bb.224:
	s_or_b64 exec, exec, s[54:55]
	v_mov_b32_dpp v10, v7 row_shr:8 row_mask:0xf bank_mask:0xf
	v_cmp_lt_u32_e64 s[52:53], 7, v9
	s_and_saveexec_b64 s[54:55], s[52:53]
; %bb.225:
	v_add_f16_e32 v5, v4, v10
	v_cmp_eq_u16_e64 s[52:53], 0, v8
	v_cndmask_b32_e64 v4, v4, v5, s[52:53]
	v_and_b32_e32 v5, 1, v8
	v_mov_b32_e32 v7, 1
	v_and_b32_sdwa v7, v10, v7 dst_sel:DWORD dst_unused:UNUSED_PAD src0_sel:WORD_1 src1_sel:DWORD
	v_cmp_eq_u32_e64 s[52:53], 1, v5
	v_cndmask_b32_e64 v5, v7, 1, s[52:53]
	v_lshlrev_b32_e32 v7, 16, v5
	v_or_b32_sdwa v7, v7, v4 dst_sel:DWORD dst_unused:UNUSED_PAD src0_sel:DWORD src1_sel:WORD_0
	v_mov_b32_e32 v8, v5
; %bb.226:
	s_or_b64 exec, exec, s[54:55]
	v_and_b32_e32 v10, 16, v3
	v_mov_b32_dpp v9, v7 row_bcast:15 row_mask:0xf bank_mask:0xf
	v_cmp_ne_u32_e64 s[52:53], 0, v10
	s_and_saveexec_b64 s[54:55], s[52:53]
; %bb.227:
	v_add_f16_e32 v5, v4, v9
	v_cmp_eq_u16_e64 s[52:53], 0, v8
	v_cndmask_b32_e64 v4, v4, v5, s[52:53]
	v_and_b32_e32 v5, 1, v8
	v_mov_b32_e32 v7, 1
	v_and_b32_sdwa v7, v9, v7 dst_sel:DWORD dst_unused:UNUSED_PAD src0_sel:WORD_1 src1_sel:DWORD
	v_cmp_eq_u32_e64 s[52:53], 1, v5
	v_cndmask_b32_e64 v5, v7, 1, s[52:53]
	v_lshlrev_b32_e32 v7, 16, v5
	v_or_b32_sdwa v7, v7, v4 dst_sel:DWORD dst_unused:UNUSED_PAD src0_sel:DWORD src1_sel:WORD_0
	v_mov_b32_e32 v8, v5
; %bb.228:
	s_or_b64 exec, exec, s[54:55]
	v_mov_b32_dpp v7, v7 row_bcast:31 row_mask:0xf bank_mask:0xf
	v_cmp_lt_u32_e64 s[52:53], 31, v3
	s_and_saveexec_b64 s[54:55], s[52:53]
; %bb.229:
	v_add_f16_e32 v5, v4, v7
	v_cmp_eq_u16_e64 s[52:53], 0, v8
	v_cndmask_b32_e64 v4, v4, v5, s[52:53]
	v_and_b32_e32 v5, 1, v8
	v_mov_b32_e32 v8, 1
	v_and_b32_sdwa v7, v7, v8 dst_sel:DWORD dst_unused:UNUSED_PAD src0_sel:WORD_1 src1_sel:DWORD
	v_cmp_eq_u32_e64 s[52:53], 1, v5
	v_cndmask_b32_e64 v5, v7, 1, s[52:53]
; %bb.230:
	s_or_b64 exec, exec, s[54:55]
	v_cmp_eq_u32_e64 s[52:53], 63, v0
	s_and_saveexec_b64 s[54:55], s[52:53]
	s_cbranch_execz .LBB46_232
; %bb.231:
	v_mov_b32_e32 v7, 0
	ds_write_b16 v7, v4
	ds_write_b8 v7, v5 offset:2
.LBB46_232:
	s_or_b64 exec, exec, s[54:55]
	v_lshlrev_b32_e32 v5, 16, v5
	v_or_b32_sdwa v4, v5, v4 dst_sel:DWORD dst_unused:UNUSED_PAD src0_sel:DWORD src1_sel:WORD_0
	v_add_u32_e32 v5, -1, v3
	v_and_b32_e32 v7, 64, v3
	v_cmp_lt_i32_e64 s[52:53], v5, v7
	v_cndmask_b32_e64 v3, v5, v3, s[52:53]
	v_lshlrev_b32_e32 v3, 2, v3
	ds_bpermute_b32 v4, v3, v4
	v_mov_b32_e32 v3, 0
	v_cmp_eq_u16_sdwa s[52:53], v1, v3 src0_sel:BYTE_0 src1_sel:DWORD
	s_waitcnt lgkmcnt(0)
	; wave barrier
	s_waitcnt lgkmcnt(0)
	v_add_f16_e32 v4, v24, v4
	v_cndmask_b32_e64 v5, v24, v4, s[52:53]
	v_cndmask_b32_e32 v1, v5, v24, vcc
	v_add_f16_e32 v1, v1, v2
	v_cndmask_b32_e64 v4, v2, v1, s[2:3]
	v_add_f16_e32 v1, v4, v25
	v_cndmask_b32_e64 v8, v25, v1, s[6:7]
	;; [unrolled: 2-line block ×22, first 2 shown]
	v_add_f16_e32 v1, v60, v18
	s_and_saveexec_b64 s[2:3], vcc
	s_cbranch_execz .LBB46_234
; %bb.233:
	ds_read_u8 v2, v3 offset:2
	ds_read_u16 v5, v3
	v_mov_b32_e32 v7, 2
	s_waitcnt lgkmcnt(1)
	v_lshlrev_b32_e32 v2, 16, v2
	s_waitcnt lgkmcnt(0)
	v_or_b32_e32 v6, v2, v5
	v_mov_b32_e32 v5, v24
	global_store_dwordx2 v3, v[6:7], s[72:73] offset:512
.LBB46_234:
	s_or_b64 exec, exec, s[2:3]
	v_cndmask_b32_e64 v61, v18, v1, s[30:31]
.LBB46_235:
	s_load_dwordx2 s[2:3], s[4:5], 0x18
	v_mul_u32_u24_e32 v1, 24, v0
	v_lshlrev_b32_e32 v7, 1, v1
	v_lshlrev_b32_e32 v6, 1, v0
	s_waitcnt lgkmcnt(0)
	s_add_u32 s2, s2, s90
	s_addc_u32 s3, s3, s91
	s_and_b64 vcc, exec, s[0:1]
	s_cbranch_vccz .LBB46_283
; %bb.236:
	s_mov_b32 s0, 0x5040100
	v_perm_b32 v21, v33, v16, s0
	v_perm_b32 v20, v11, v10, s0
	;; [unrolled: 1-line block ×4, first 2 shown]
	s_waitcnt lgkmcnt(0)
	; wave barrier
	ds_write_b128 v7, v[18:21]
	v_perm_b32 v21, v41, v39, s0
	v_perm_b32 v20, v37, v35, s0
	;; [unrolled: 1-line block ×4, first 2 shown]
	ds_write_b128 v7, v[18:21] offset:16
	v_perm_b32 v21, v61, v60, s0
	v_perm_b32 v20, v59, v56, s0
	;; [unrolled: 1-line block ×4, first 2 shown]
	s_movk_i32 s0, 0xffd2
	v_mad_i32_i24 v2, v0, s0, v7
	ds_write_b128 v7, v[18:21] offset:32
	s_waitcnt lgkmcnt(0)
	; wave barrier
	s_waitcnt lgkmcnt(0)
	ds_read_u16 v48, v2 offset:128
	ds_read_u16 v47, v2 offset:256
	;; [unrolled: 1-line block ×23, first 2 shown]
	v_mov_b32_e32 v3, s3
	v_add_co_u32_e32 v2, vcc, s2, v6
	s_add_i32 s33, s33, s74
	v_addc_co_u32_e32 v3, vcc, 0, v3, vcc
	v_mov_b32_e32 v1, 0
	v_cmp_gt_u32_e32 vcc, s33, v0
	s_and_saveexec_b64 s[0:1], vcc
	s_cbranch_execz .LBB46_238
; %bb.237:
	v_mul_i32_i24_e32 v49, 0xffffffd2, v0
	v_add_u32_e32 v49, v7, v49
	ds_read_u16 v49, v49
	s_waitcnt lgkmcnt(0)
	global_store_short v[2:3], v49, off
.LBB46_238:
	s_or_b64 exec, exec, s[0:1]
	v_or_b32_e32 v49, 64, v0
	v_cmp_gt_u32_e32 vcc, s33, v49
	s_and_saveexec_b64 s[0:1], vcc
	s_cbranch_execz .LBB46_240
; %bb.239:
	s_waitcnt lgkmcnt(14)
	global_store_short v[2:3], v48, off offset:128
.LBB46_240:
	s_or_b64 exec, exec, s[0:1]
	s_waitcnt lgkmcnt(14)
	v_or_b32_e32 v48, 0x80, v0
	v_cmp_gt_u32_e32 vcc, s33, v48
	s_and_saveexec_b64 s[0:1], vcc
	s_cbranch_execz .LBB46_242
; %bb.241:
	global_store_short v[2:3], v47, off offset:256
.LBB46_242:
	s_or_b64 exec, exec, s[0:1]
	v_or_b32_e32 v47, 0xc0, v0
	v_cmp_gt_u32_e32 vcc, s33, v47
	s_and_saveexec_b64 s[0:1], vcc
	s_cbranch_execz .LBB46_244
; %bb.243:
	global_store_short v[2:3], v46, off offset:384
.LBB46_244:
	s_or_b64 exec, exec, s[0:1]
	;; [unrolled: 8-line block ×8, first 2 shown]
	v_or_b32_e32 v30, 0x280, v0
	v_cmp_gt_u32_e32 vcc, s33, v30
	s_and_saveexec_b64 s[0:1], vcc
	s_cbranch_execz .LBB46_258
; %bb.257:
	s_waitcnt lgkmcnt(13)
	global_store_short v[2:3], v29, off offset:1280
.LBB46_258:
	s_or_b64 exec, exec, s[0:1]
	s_waitcnt lgkmcnt(13)
	v_or_b32_e32 v29, 0x2c0, v0
	v_cmp_gt_u32_e32 vcc, s33, v29
	s_and_saveexec_b64 s[0:1], vcc
	s_cbranch_execz .LBB46_260
; %bb.259:
	s_waitcnt lgkmcnt(12)
	global_store_short v[2:3], v28, off offset:1408
.LBB46_260:
	s_or_b64 exec, exec, s[0:1]
	s_waitcnt lgkmcnt(12)
	;; [unrolled: 10-line block ×12, first 2 shown]
	v_or_b32_e32 v18, 0x580, v0
	v_cmp_gt_u32_e32 vcc, s33, v18
	s_and_saveexec_b64 s[0:1], vcc
	s_cbranch_execz .LBB46_282
; %bb.281:
	s_waitcnt lgkmcnt(1)
	global_store_short v[2:3], v13, off offset:2816
.LBB46_282:
	s_or_b64 exec, exec, s[0:1]
	v_or_b32_e32 v2, 0x5c0, v0
	v_cmp_gt_u32_e64 s[0:1], s33, v2
	s_branch .LBB46_285
.LBB46_283:
	s_mov_b64 s[0:1], 0
                                        ; implicit-def: $vgpr12
	s_cbranch_execz .LBB46_285
; %bb.284:
	s_mov_b32 s4, 0x5040100
	s_waitcnt lgkmcnt(0)
	v_perm_b32 v12, v11, v10, s4
	v_perm_b32 v10, v4, v5, s4
	;; [unrolled: 1-line block ×6, first 2 shown]
	s_waitcnt lgkmcnt(0)
	; wave barrier
	v_perm_b32 v13, v33, v16, s4
	v_perm_b32 v11, v9, v8, s4
	ds_write_b128 v7, v[2:5] offset:16
	v_perm_b32 v5, v61, v60, s4
	v_perm_b32 v4, v59, v56, s4
	;; [unrolled: 1-line block ×4, first 2 shown]
	s_movk_i32 s4, 0xffd2
	ds_write_b128 v7, v[2:5] offset:32
	v_mad_i32_i24 v2, v0, s4, v7
	ds_write_b128 v7, v[10:13]
	s_waitcnt lgkmcnt(0)
	; wave barrier
	s_waitcnt lgkmcnt(0)
	ds_read_u16 v3, v2
	ds_read_u16 v4, v2 offset:128
	ds_read_u16 v5, v2 offset:256
	;; [unrolled: 1-line block ×23, first 2 shown]
	v_mov_b32_e32 v1, 0
	s_or_b64 s[0:1], s[0:1], exec
	s_waitcnt lgkmcnt(14)
	global_store_short v6, v3, s[2:3]
	global_store_short v6, v4, s[2:3] offset:128
	global_store_short v6, v5, s[2:3] offset:256
	;; [unrolled: 1-line block ×9, first 2 shown]
	s_waitcnt lgkmcnt(13)
	global_store_short v6, v15, s[2:3] offset:1280
	s_waitcnt lgkmcnt(12)
	global_store_short v6, v16, s[2:3] offset:1408
	;; [unrolled: 2-line block ×13, first 2 shown]
.LBB46_285:
	s_and_saveexec_b64 s[4:5], s[0:1]
	s_cbranch_execz .LBB46_287
; %bb.286:
	v_lshlrev_b64 v[0:1], 1, v[0:1]
	v_mov_b32_e32 v2, s3
	v_add_co_u32_e32 v0, vcc, s2, v0
	v_addc_co_u32_e32 v1, vcc, v2, v1, vcc
	s_waitcnt lgkmcnt(0)
	global_store_short v[0:1], v12, off offset:2944
	s_endpgm
.LBB46_287:
	s_endpgm
	.section	.rodata,"a",@progbits
	.p2align	6, 0x0
	.amdhsa_kernel _ZN7rocprim6detail25device_scan_by_key_kernelILNS0_25lookback_scan_determinismE0ELb0ENS0_26wrapped_scan_by_key_configINS_14default_configEi6__halfEEPiN6hipcub22TransformInputIteratorIS5_NS8_6CastOpIS5_EEPS5_lEESC_S5_NS8_8EqualityENS8_3SumENS0_19lookback_scan_stateINS_5tupleIJS5_bEEELb0ELb1EEES5_EEvT2_T3_T4_T5_T6_T7_T8_mmmPKNSH_IJT9_bEEE
		.amdhsa_group_segment_fixed_size 6656
		.amdhsa_private_segment_fixed_size 0
		.amdhsa_kernarg_size 80
		.amdhsa_user_sgpr_count 6
		.amdhsa_user_sgpr_private_segment_buffer 1
		.amdhsa_user_sgpr_dispatch_ptr 0
		.amdhsa_user_sgpr_queue_ptr 0
		.amdhsa_user_sgpr_kernarg_segment_ptr 1
		.amdhsa_user_sgpr_dispatch_id 0
		.amdhsa_user_sgpr_flat_scratch_init 0
		.amdhsa_user_sgpr_kernarg_preload_length 0
		.amdhsa_user_sgpr_kernarg_preload_offset 0
		.amdhsa_user_sgpr_private_segment_size 0
		.amdhsa_uses_dynamic_stack 0
		.amdhsa_system_sgpr_private_segment_wavefront_offset 0
		.amdhsa_system_sgpr_workgroup_id_x 1
		.amdhsa_system_sgpr_workgroup_id_y 0
		.amdhsa_system_sgpr_workgroup_id_z 0
		.amdhsa_system_sgpr_workgroup_info 0
		.amdhsa_system_vgpr_workitem_id 0
		.amdhsa_next_free_vgpr 74
		.amdhsa_next_free_sgpr 96
		.amdhsa_accum_offset 76
		.amdhsa_reserve_vcc 1
		.amdhsa_reserve_flat_scratch 0
		.amdhsa_float_round_mode_32 0
		.amdhsa_float_round_mode_16_64 0
		.amdhsa_float_denorm_mode_32 3
		.amdhsa_float_denorm_mode_16_64 3
		.amdhsa_dx10_clamp 1
		.amdhsa_ieee_mode 1
		.amdhsa_fp16_overflow 0
		.amdhsa_tg_split 0
		.amdhsa_exception_fp_ieee_invalid_op 0
		.amdhsa_exception_fp_denorm_src 0
		.amdhsa_exception_fp_ieee_div_zero 0
		.amdhsa_exception_fp_ieee_overflow 0
		.amdhsa_exception_fp_ieee_underflow 0
		.amdhsa_exception_fp_ieee_inexact 0
		.amdhsa_exception_int_div_zero 0
	.end_amdhsa_kernel
	.section	.text._ZN7rocprim6detail25device_scan_by_key_kernelILNS0_25lookback_scan_determinismE0ELb0ENS0_26wrapped_scan_by_key_configINS_14default_configEi6__halfEEPiN6hipcub22TransformInputIteratorIS5_NS8_6CastOpIS5_EEPS5_lEESC_S5_NS8_8EqualityENS8_3SumENS0_19lookback_scan_stateINS_5tupleIJS5_bEEELb0ELb1EEES5_EEvT2_T3_T4_T5_T6_T7_T8_mmmPKNSH_IJT9_bEEE,"axG",@progbits,_ZN7rocprim6detail25device_scan_by_key_kernelILNS0_25lookback_scan_determinismE0ELb0ENS0_26wrapped_scan_by_key_configINS_14default_configEi6__halfEEPiN6hipcub22TransformInputIteratorIS5_NS8_6CastOpIS5_EEPS5_lEESC_S5_NS8_8EqualityENS8_3SumENS0_19lookback_scan_stateINS_5tupleIJS5_bEEELb0ELb1EEES5_EEvT2_T3_T4_T5_T6_T7_T8_mmmPKNSH_IJT9_bEEE,comdat
.Lfunc_end46:
	.size	_ZN7rocprim6detail25device_scan_by_key_kernelILNS0_25lookback_scan_determinismE0ELb0ENS0_26wrapped_scan_by_key_configINS_14default_configEi6__halfEEPiN6hipcub22TransformInputIteratorIS5_NS8_6CastOpIS5_EEPS5_lEESC_S5_NS8_8EqualityENS8_3SumENS0_19lookback_scan_stateINS_5tupleIJS5_bEEELb0ELb1EEES5_EEvT2_T3_T4_T5_T6_T7_T8_mmmPKNSH_IJT9_bEEE, .Lfunc_end46-_ZN7rocprim6detail25device_scan_by_key_kernelILNS0_25lookback_scan_determinismE0ELb0ENS0_26wrapped_scan_by_key_configINS_14default_configEi6__halfEEPiN6hipcub22TransformInputIteratorIS5_NS8_6CastOpIS5_EEPS5_lEESC_S5_NS8_8EqualityENS8_3SumENS0_19lookback_scan_stateINS_5tupleIJS5_bEEELb0ELb1EEES5_EEvT2_T3_T4_T5_T6_T7_T8_mmmPKNSH_IJT9_bEEE
                                        ; -- End function
	.section	.AMDGPU.csdata,"",@progbits
; Kernel info:
; codeLenInByte = 14620
; NumSgprs: 100
; NumVgprs: 74
; NumAgprs: 0
; TotalNumVgprs: 74
; ScratchSize: 0
; MemoryBound: 0
; FloatMode: 240
; IeeeMode: 1
; LDSByteSize: 6656 bytes/workgroup (compile time only)
; SGPRBlocks: 12
; VGPRBlocks: 9
; NumSGPRsForWavesPerEU: 100
; NumVGPRsForWavesPerEU: 74
; AccumOffset: 76
; Occupancy: 3
; WaveLimiterHint : 1
; COMPUTE_PGM_RSRC2:SCRATCH_EN: 0
; COMPUTE_PGM_RSRC2:USER_SGPR: 6
; COMPUTE_PGM_RSRC2:TRAP_HANDLER: 0
; COMPUTE_PGM_RSRC2:TGID_X_EN: 1
; COMPUTE_PGM_RSRC2:TGID_Y_EN: 0
; COMPUTE_PGM_RSRC2:TGID_Z_EN: 0
; COMPUTE_PGM_RSRC2:TIDIG_COMP_CNT: 0
; COMPUTE_PGM_RSRC3_GFX90A:ACCUM_OFFSET: 18
; COMPUTE_PGM_RSRC3_GFX90A:TG_SPLIT: 0
	.section	.text._ZN7rocprim6detail25device_scan_by_key_kernelILNS0_25lookback_scan_determinismE0ELb0ENS0_26wrapped_scan_by_key_configINS_14default_configEi6__halfEEPiN6hipcub22TransformInputIteratorIS5_NS8_6CastOpIS5_EEPS5_lEESC_S5_NS8_8EqualityENS8_3MaxENS0_19lookback_scan_stateINS_5tupleIJS5_bEEELb1ELb1EEES5_EEvT2_T3_T4_T5_T6_T7_T8_mmmPKNSH_IJT9_bEEE,"axG",@progbits,_ZN7rocprim6detail25device_scan_by_key_kernelILNS0_25lookback_scan_determinismE0ELb0ENS0_26wrapped_scan_by_key_configINS_14default_configEi6__halfEEPiN6hipcub22TransformInputIteratorIS5_NS8_6CastOpIS5_EEPS5_lEESC_S5_NS8_8EqualityENS8_3MaxENS0_19lookback_scan_stateINS_5tupleIJS5_bEEELb1ELb1EEES5_EEvT2_T3_T4_T5_T6_T7_T8_mmmPKNSH_IJT9_bEEE,comdat
	.protected	_ZN7rocprim6detail25device_scan_by_key_kernelILNS0_25lookback_scan_determinismE0ELb0ENS0_26wrapped_scan_by_key_configINS_14default_configEi6__halfEEPiN6hipcub22TransformInputIteratorIS5_NS8_6CastOpIS5_EEPS5_lEESC_S5_NS8_8EqualityENS8_3MaxENS0_19lookback_scan_stateINS_5tupleIJS5_bEEELb1ELb1EEES5_EEvT2_T3_T4_T5_T6_T7_T8_mmmPKNSH_IJT9_bEEE ; -- Begin function _ZN7rocprim6detail25device_scan_by_key_kernelILNS0_25lookback_scan_determinismE0ELb0ENS0_26wrapped_scan_by_key_configINS_14default_configEi6__halfEEPiN6hipcub22TransformInputIteratorIS5_NS8_6CastOpIS5_EEPS5_lEESC_S5_NS8_8EqualityENS8_3MaxENS0_19lookback_scan_stateINS_5tupleIJS5_bEEELb1ELb1EEES5_EEvT2_T3_T4_T5_T6_T7_T8_mmmPKNSH_IJT9_bEEE
	.globl	_ZN7rocprim6detail25device_scan_by_key_kernelILNS0_25lookback_scan_determinismE0ELb0ENS0_26wrapped_scan_by_key_configINS_14default_configEi6__halfEEPiN6hipcub22TransformInputIteratorIS5_NS8_6CastOpIS5_EEPS5_lEESC_S5_NS8_8EqualityENS8_3MaxENS0_19lookback_scan_stateINS_5tupleIJS5_bEEELb1ELb1EEES5_EEvT2_T3_T4_T5_T6_T7_T8_mmmPKNSH_IJT9_bEEE
	.p2align	8
	.type	_ZN7rocprim6detail25device_scan_by_key_kernelILNS0_25lookback_scan_determinismE0ELb0ENS0_26wrapped_scan_by_key_configINS_14default_configEi6__halfEEPiN6hipcub22TransformInputIteratorIS5_NS8_6CastOpIS5_EEPS5_lEESC_S5_NS8_8EqualityENS8_3MaxENS0_19lookback_scan_stateINS_5tupleIJS5_bEEELb1ELb1EEES5_EEvT2_T3_T4_T5_T6_T7_T8_mmmPKNSH_IJT9_bEEE,@function
_ZN7rocprim6detail25device_scan_by_key_kernelILNS0_25lookback_scan_determinismE0ELb0ENS0_26wrapped_scan_by_key_configINS_14default_configEi6__halfEEPiN6hipcub22TransformInputIteratorIS5_NS8_6CastOpIS5_EEPS5_lEESC_S5_NS8_8EqualityENS8_3MaxENS0_19lookback_scan_stateINS_5tupleIJS5_bEEELb1ELb1EEES5_EEvT2_T3_T4_T5_T6_T7_T8_mmmPKNSH_IJT9_bEEE: ; @_ZN7rocprim6detail25device_scan_by_key_kernelILNS0_25lookback_scan_determinismE0ELb0ENS0_26wrapped_scan_by_key_configINS_14default_configEi6__halfEEPiN6hipcub22TransformInputIteratorIS5_NS8_6CastOpIS5_EEPS5_lEESC_S5_NS8_8EqualityENS8_3MaxENS0_19lookback_scan_stateINS_5tupleIJS5_bEEELb1ELb1EEES5_EEvT2_T3_T4_T5_T6_T7_T8_mmmPKNSH_IJT9_bEEE
; %bb.0:
	s_endpgm
	.section	.rodata,"a",@progbits
	.p2align	6, 0x0
	.amdhsa_kernel _ZN7rocprim6detail25device_scan_by_key_kernelILNS0_25lookback_scan_determinismE0ELb0ENS0_26wrapped_scan_by_key_configINS_14default_configEi6__halfEEPiN6hipcub22TransformInputIteratorIS5_NS8_6CastOpIS5_EEPS5_lEESC_S5_NS8_8EqualityENS8_3MaxENS0_19lookback_scan_stateINS_5tupleIJS5_bEEELb1ELb1EEES5_EEvT2_T3_T4_T5_T6_T7_T8_mmmPKNSH_IJT9_bEEE
		.amdhsa_group_segment_fixed_size 0
		.amdhsa_private_segment_fixed_size 0
		.amdhsa_kernarg_size 80
		.amdhsa_user_sgpr_count 6
		.amdhsa_user_sgpr_private_segment_buffer 1
		.amdhsa_user_sgpr_dispatch_ptr 0
		.amdhsa_user_sgpr_queue_ptr 0
		.amdhsa_user_sgpr_kernarg_segment_ptr 1
		.amdhsa_user_sgpr_dispatch_id 0
		.amdhsa_user_sgpr_flat_scratch_init 0
		.amdhsa_user_sgpr_kernarg_preload_length 0
		.amdhsa_user_sgpr_kernarg_preload_offset 0
		.amdhsa_user_sgpr_private_segment_size 0
		.amdhsa_uses_dynamic_stack 0
		.amdhsa_system_sgpr_private_segment_wavefront_offset 0
		.amdhsa_system_sgpr_workgroup_id_x 1
		.amdhsa_system_sgpr_workgroup_id_y 0
		.amdhsa_system_sgpr_workgroup_id_z 0
		.amdhsa_system_sgpr_workgroup_info 0
		.amdhsa_system_vgpr_workitem_id 0
		.amdhsa_next_free_vgpr 1
		.amdhsa_next_free_sgpr 0
		.amdhsa_accum_offset 4
		.amdhsa_reserve_vcc 0
		.amdhsa_reserve_flat_scratch 0
		.amdhsa_float_round_mode_32 0
		.amdhsa_float_round_mode_16_64 0
		.amdhsa_float_denorm_mode_32 3
		.amdhsa_float_denorm_mode_16_64 3
		.amdhsa_dx10_clamp 1
		.amdhsa_ieee_mode 1
		.amdhsa_fp16_overflow 0
		.amdhsa_tg_split 0
		.amdhsa_exception_fp_ieee_invalid_op 0
		.amdhsa_exception_fp_denorm_src 0
		.amdhsa_exception_fp_ieee_div_zero 0
		.amdhsa_exception_fp_ieee_overflow 0
		.amdhsa_exception_fp_ieee_underflow 0
		.amdhsa_exception_fp_ieee_inexact 0
		.amdhsa_exception_int_div_zero 0
	.end_amdhsa_kernel
	.section	.text._ZN7rocprim6detail25device_scan_by_key_kernelILNS0_25lookback_scan_determinismE0ELb0ENS0_26wrapped_scan_by_key_configINS_14default_configEi6__halfEEPiN6hipcub22TransformInputIteratorIS5_NS8_6CastOpIS5_EEPS5_lEESC_S5_NS8_8EqualityENS8_3MaxENS0_19lookback_scan_stateINS_5tupleIJS5_bEEELb1ELb1EEES5_EEvT2_T3_T4_T5_T6_T7_T8_mmmPKNSH_IJT9_bEEE,"axG",@progbits,_ZN7rocprim6detail25device_scan_by_key_kernelILNS0_25lookback_scan_determinismE0ELb0ENS0_26wrapped_scan_by_key_configINS_14default_configEi6__halfEEPiN6hipcub22TransformInputIteratorIS5_NS8_6CastOpIS5_EEPS5_lEESC_S5_NS8_8EqualityENS8_3MaxENS0_19lookback_scan_stateINS_5tupleIJS5_bEEELb1ELb1EEES5_EEvT2_T3_T4_T5_T6_T7_T8_mmmPKNSH_IJT9_bEEE,comdat
.Lfunc_end47:
	.size	_ZN7rocprim6detail25device_scan_by_key_kernelILNS0_25lookback_scan_determinismE0ELb0ENS0_26wrapped_scan_by_key_configINS_14default_configEi6__halfEEPiN6hipcub22TransformInputIteratorIS5_NS8_6CastOpIS5_EEPS5_lEESC_S5_NS8_8EqualityENS8_3MaxENS0_19lookback_scan_stateINS_5tupleIJS5_bEEELb1ELb1EEES5_EEvT2_T3_T4_T5_T6_T7_T8_mmmPKNSH_IJT9_bEEE, .Lfunc_end47-_ZN7rocprim6detail25device_scan_by_key_kernelILNS0_25lookback_scan_determinismE0ELb0ENS0_26wrapped_scan_by_key_configINS_14default_configEi6__halfEEPiN6hipcub22TransformInputIteratorIS5_NS8_6CastOpIS5_EEPS5_lEESC_S5_NS8_8EqualityENS8_3MaxENS0_19lookback_scan_stateINS_5tupleIJS5_bEEELb1ELb1EEES5_EEvT2_T3_T4_T5_T6_T7_T8_mmmPKNSH_IJT9_bEEE
                                        ; -- End function
	.section	.AMDGPU.csdata,"",@progbits
; Kernel info:
; codeLenInByte = 4
; NumSgprs: 4
; NumVgprs: 0
; NumAgprs: 0
; TotalNumVgprs: 0
; ScratchSize: 0
; MemoryBound: 0
; FloatMode: 240
; IeeeMode: 1
; LDSByteSize: 0 bytes/workgroup (compile time only)
; SGPRBlocks: 0
; VGPRBlocks: 0
; NumSGPRsForWavesPerEU: 4
; NumVGPRsForWavesPerEU: 1
; AccumOffset: 4
; Occupancy: 8
; WaveLimiterHint : 0
; COMPUTE_PGM_RSRC2:SCRATCH_EN: 0
; COMPUTE_PGM_RSRC2:USER_SGPR: 6
; COMPUTE_PGM_RSRC2:TRAP_HANDLER: 0
; COMPUTE_PGM_RSRC2:TGID_X_EN: 1
; COMPUTE_PGM_RSRC2:TGID_Y_EN: 0
; COMPUTE_PGM_RSRC2:TGID_Z_EN: 0
; COMPUTE_PGM_RSRC2:TIDIG_COMP_CNT: 0
; COMPUTE_PGM_RSRC3_GFX90A:ACCUM_OFFSET: 0
; COMPUTE_PGM_RSRC3_GFX90A:TG_SPLIT: 0
	.section	.text._ZN7rocprim6detail25device_scan_by_key_kernelILNS0_25lookback_scan_determinismE0ELb0ENS0_26wrapped_scan_by_key_configINS_14default_configEi6__halfEEPiN6hipcub22TransformInputIteratorIS5_NS8_6CastOpIS5_EEPS5_lEESC_S5_NS8_8EqualityENS8_3MaxENS0_19lookback_scan_stateINS_5tupleIJS5_bEEELb0ELb1EEES5_EEvT2_T3_T4_T5_T6_T7_T8_mmmPKNSH_IJT9_bEEE,"axG",@progbits,_ZN7rocprim6detail25device_scan_by_key_kernelILNS0_25lookback_scan_determinismE0ELb0ENS0_26wrapped_scan_by_key_configINS_14default_configEi6__halfEEPiN6hipcub22TransformInputIteratorIS5_NS8_6CastOpIS5_EEPS5_lEESC_S5_NS8_8EqualityENS8_3MaxENS0_19lookback_scan_stateINS_5tupleIJS5_bEEELb0ELb1EEES5_EEvT2_T3_T4_T5_T6_T7_T8_mmmPKNSH_IJT9_bEEE,comdat
	.protected	_ZN7rocprim6detail25device_scan_by_key_kernelILNS0_25lookback_scan_determinismE0ELb0ENS0_26wrapped_scan_by_key_configINS_14default_configEi6__halfEEPiN6hipcub22TransformInputIteratorIS5_NS8_6CastOpIS5_EEPS5_lEESC_S5_NS8_8EqualityENS8_3MaxENS0_19lookback_scan_stateINS_5tupleIJS5_bEEELb0ELb1EEES5_EEvT2_T3_T4_T5_T6_T7_T8_mmmPKNSH_IJT9_bEEE ; -- Begin function _ZN7rocprim6detail25device_scan_by_key_kernelILNS0_25lookback_scan_determinismE0ELb0ENS0_26wrapped_scan_by_key_configINS_14default_configEi6__halfEEPiN6hipcub22TransformInputIteratorIS5_NS8_6CastOpIS5_EEPS5_lEESC_S5_NS8_8EqualityENS8_3MaxENS0_19lookback_scan_stateINS_5tupleIJS5_bEEELb0ELb1EEES5_EEvT2_T3_T4_T5_T6_T7_T8_mmmPKNSH_IJT9_bEEE
	.globl	_ZN7rocprim6detail25device_scan_by_key_kernelILNS0_25lookback_scan_determinismE0ELb0ENS0_26wrapped_scan_by_key_configINS_14default_configEi6__halfEEPiN6hipcub22TransformInputIteratorIS5_NS8_6CastOpIS5_EEPS5_lEESC_S5_NS8_8EqualityENS8_3MaxENS0_19lookback_scan_stateINS_5tupleIJS5_bEEELb0ELb1EEES5_EEvT2_T3_T4_T5_T6_T7_T8_mmmPKNSH_IJT9_bEEE
	.p2align	8
	.type	_ZN7rocprim6detail25device_scan_by_key_kernelILNS0_25lookback_scan_determinismE0ELb0ENS0_26wrapped_scan_by_key_configINS_14default_configEi6__halfEEPiN6hipcub22TransformInputIteratorIS5_NS8_6CastOpIS5_EEPS5_lEESC_S5_NS8_8EqualityENS8_3MaxENS0_19lookback_scan_stateINS_5tupleIJS5_bEEELb0ELb1EEES5_EEvT2_T3_T4_T5_T6_T7_T8_mmmPKNSH_IJT9_bEEE,@function
_ZN7rocprim6detail25device_scan_by_key_kernelILNS0_25lookback_scan_determinismE0ELb0ENS0_26wrapped_scan_by_key_configINS_14default_configEi6__halfEEPiN6hipcub22TransformInputIteratorIS5_NS8_6CastOpIS5_EEPS5_lEESC_S5_NS8_8EqualityENS8_3MaxENS0_19lookback_scan_stateINS_5tupleIJS5_bEEELb0ELb1EEES5_EEvT2_T3_T4_T5_T6_T7_T8_mmmPKNSH_IJT9_bEEE: ; @_ZN7rocprim6detail25device_scan_by_key_kernelILNS0_25lookback_scan_determinismE0ELb0ENS0_26wrapped_scan_by_key_configINS_14default_configEi6__halfEEPiN6hipcub22TransformInputIteratorIS5_NS8_6CastOpIS5_EEPS5_lEESC_S5_NS8_8EqualityENS8_3MaxENS0_19lookback_scan_stateINS_5tupleIJS5_bEEELb0ELb1EEES5_EEvT2_T3_T4_T5_T6_T7_T8_mmmPKNSH_IJT9_bEEE
; %bb.0:
	s_load_dwordx4 s[0:3], s[4:5], 0x0
	s_load_dwordx8 s[68:75], s[4:5], 0x28
	s_load_dwordx2 s[92:93], s[4:5], 0x48
	s_mul_i32 s8, s6, 0x600
	s_mov_b32 s9, 0
	s_lshl_b64 s[10:11], s[8:9], 2
	s_waitcnt lgkmcnt(0)
	s_add_u32 s58, s0, s10
	s_addc_u32 s59, s1, s11
	s_lshl_b64 s[90:91], s[8:9], 1
	s_add_u32 s56, s2, s90
	s_addc_u32 s57, s3, s91
	s_add_u32 s0, s6, s72
	s_addc_u32 s1, 0, s73
	s_add_u32 s2, s74, -1
	s_addc_u32 s3, s75, -1
	v_pk_mov_b32 v[2:3], s[2:3], s[2:3] op_sel:[0,1]
	v_cmp_ge_u64_e64 s[0:1], s[0:1], v[2:3]
	s_mov_b64 s[12:13], -1
	s_and_b64 vcc, exec, s[0:1]
	s_mul_i32 s33, s2, 0xfffffa00
	v_lshlrev_b32_e32 v42, 2, v0
	s_cbranch_vccz .LBB48_124
; %bb.1:
	s_load_dword s7, s[58:59], 0x0
	s_add_i32 s66, s33, s70
	v_mov_b32_e32 v1, s59
	v_add_co_u32_e32 v2, vcc, s58, v42
	v_addc_co_u32_e32 v3, vcc, 0, v1, vcc
	v_cmp_gt_u32_e64 s[2:3], s66, v0
	s_waitcnt lgkmcnt(0)
	v_mov_b32_e32 v1, s7
	s_and_saveexec_b64 s[8:9], s[2:3]
	s_cbranch_execz .LBB48_3
; %bb.2:
	global_load_dword v1, v[2:3], off
.LBB48_3:
	s_or_b64 exec, exec, s[8:9]
	v_or_b32_e32 v4, 64, v0
	v_cmp_gt_u32_e64 s[54:55], s66, v4
	v_mov_b32_e32 v4, s7
	s_and_saveexec_b64 s[8:9], s[54:55]
	s_cbranch_execz .LBB48_5
; %bb.4:
	global_load_dword v4, v[2:3], off offset:256
.LBB48_5:
	s_or_b64 exec, exec, s[8:9]
	v_or_b32_e32 v5, 0x80, v0
	v_cmp_gt_u32_e64 s[8:9], s66, v5
	v_mov_b32_e32 v5, s7
	s_and_saveexec_b64 s[10:11], s[8:9]
	s_cbranch_execz .LBB48_7
; %bb.6:
	global_load_dword v5, v[2:3], off offset:512
.LBB48_7:
	;; [unrolled: 9-line block ×15, first 2 shown]
	s_or_b64 exec, exec, s[38:39]
	v_or_b32_e32 v19, 0x400, v0
	v_cmp_gt_u32_e64 s[38:39], s66, v19
	v_mov_b32_e32 v19, s7
	s_and_saveexec_b64 s[40:41], s[38:39]
	s_cbranch_execz .LBB48_35
; %bb.34:
	v_add_co_u32_e32 v20, vcc, 0x1000, v2
	v_addc_co_u32_e32 v21, vcc, 0, v3, vcc
	global_load_dword v19, v[20:21], off
.LBB48_35:
	s_or_b64 exec, exec, s[40:41]
	v_or_b32_e32 v20, 0x440, v0
	v_cmp_gt_u32_e64 s[40:41], s66, v20
	v_mov_b32_e32 v20, s7
	s_and_saveexec_b64 s[42:43], s[40:41]
	s_cbranch_execz .LBB48_37
; %bb.36:
	v_add_co_u32_e32 v20, vcc, 0x1000, v2
	v_addc_co_u32_e32 v21, vcc, 0, v3, vcc
	global_load_dword v20, v[20:21], off offset:256
.LBB48_37:
	s_or_b64 exec, exec, s[42:43]
	v_or_b32_e32 v21, 0x480, v0
	v_cmp_gt_u32_e64 s[42:43], s66, v21
	v_mov_b32_e32 v21, s7
	s_and_saveexec_b64 s[44:45], s[42:43]
	s_cbranch_execz .LBB48_39
; %bb.38:
	v_add_co_u32_e32 v22, vcc, 0x1000, v2
	v_addc_co_u32_e32 v23, vcc, 0, v3, vcc
	global_load_dword v21, v[22:23], off offset:512
.LBB48_39:
	;; [unrolled: 11-line block ×7, first 2 shown]
	s_or_b64 exec, exec, s[60:61]
	s_sub_u32 s60, 0, s6
	s_subb_u32 s61, 0, 0
	s_cmp_eq_u64 s[60:61], s[72:73]
	s_movk_i32 s7, 0x5c
	s_cselect_b32 s60, 0, -4
	v_mad_u32_u24 v2, v0, s7, v42
	s_cselect_b32 s7, 0, -1
	s_add_u32 s60, s58, s60
	s_addc_u32 s61, s59, s7
	s_waitcnt vmcnt(0)
	ds_write2st64_b32 v42, v1, v4 offset1:1
	ds_write2st64_b32 v42, v5, v6 offset0:2 offset1:3
	ds_write2st64_b32 v42, v7, v8 offset0:4 offset1:5
	;; [unrolled: 1-line block ×11, first 2 shown]
	s_waitcnt lgkmcnt(0)
	; wave barrier
	s_waitcnt lgkmcnt(0)
	s_load_dword s7, s[60:61], 0x0
	ds_read2_b32 v[26:27], v2 offset0:7 offset1:12
	s_movk_i32 s60, 0xffa4
	v_mad_i32_i24 v1, v0, s60, v2
	v_cmp_ne_u32_e32 vcc, 0, v0
	s_waitcnt lgkmcnt(0)
	v_mov_b32_e32 v4, s7
	ds_read_b64 v[20:21], v2 offset:88
	ds_read2_b64 v[10:13], v2 offset0:9 offset1:10
	ds_read_b32 v59, v2 offset:68
	ds_read2_b32 v[22:23], v2 offset0:15 offset1:16
	ds_read2_b32 v[24:25], v2 offset0:13 offset1:14
	ds_read_b128 v[14:17], v2 offset:32
	ds_read2_b32 v[28:29], v2 offset0:5 offset1:6
	ds_read_b96 v[6:8], v2
	ds_read2_b32 v[30:31], v2 offset0:3 offset1:4
	s_waitcnt lgkmcnt(8)
	ds_write_b32 v1, v21 offset:6144
	s_waitcnt lgkmcnt(0)
	; wave barrier
	s_waitcnt lgkmcnt(0)
	s_and_saveexec_b64 s[60:61], vcc
	s_cbranch_execz .LBB48_51
; %bb.50:
	ds_read_b32 v4, v1 offset:6140
.LBB48_51:
	s_or_b64 exec, exec, s[60:61]
	v_lshlrev_b32_e32 v5, 1, v0
	v_mov_b32_e32 v3, s57
	v_add_co_u32_e32 v2, vcc, s56, v5
	v_addc_co_u32_e32 v3, vcc, 0, v3, vcc
	s_waitcnt lgkmcnt(0)
	; wave barrier
	s_waitcnt lgkmcnt(0)
                                        ; implicit-def: $vgpr9
	s_and_saveexec_b64 s[60:61], s[2:3]
	s_cbranch_execz .LBB48_195
; %bb.52:
	global_load_ushort v9, v[2:3], off
	s_or_b64 exec, exec, s[60:61]
                                        ; implicit-def: $vgpr18
	s_and_saveexec_b64 s[2:3], s[54:55]
	s_cbranch_execnz .LBB48_196
.LBB48_53:
	s_or_b64 exec, exec, s[2:3]
                                        ; implicit-def: $vgpr19
	s_and_saveexec_b64 s[2:3], s[8:9]
	s_cbranch_execz .LBB48_197
.LBB48_54:
	global_load_ushort v19, v[2:3], off offset:256
	s_or_b64 exec, exec, s[2:3]
                                        ; implicit-def: $vgpr32
	s_and_saveexec_b64 s[2:3], s[10:11]
	s_cbranch_execnz .LBB48_198
.LBB48_55:
	s_or_b64 exec, exec, s[2:3]
                                        ; implicit-def: $vgpr33
	s_and_saveexec_b64 s[2:3], s[12:13]
	s_cbranch_execz .LBB48_199
.LBB48_56:
	global_load_ushort v33, v[2:3], off offset:512
	s_or_b64 exec, exec, s[2:3]
                                        ; implicit-def: $vgpr34
	s_and_saveexec_b64 s[2:3], s[14:15]
	s_cbranch_execnz .LBB48_200
.LBB48_57:
	s_or_b64 exec, exec, s[2:3]
                                        ; implicit-def: $vgpr35
	s_and_saveexec_b64 s[2:3], s[16:17]
	s_cbranch_execz .LBB48_201
.LBB48_58:
	global_load_ushort v35, v[2:3], off offset:768
	s_or_b64 exec, exec, s[2:3]
                                        ; implicit-def: $vgpr36
	s_and_saveexec_b64 s[2:3], s[18:19]
	s_cbranch_execnz .LBB48_202
.LBB48_59:
	s_or_b64 exec, exec, s[2:3]
                                        ; implicit-def: $vgpr37
	s_and_saveexec_b64 s[2:3], s[20:21]
	s_cbranch_execz .LBB48_203
.LBB48_60:
	global_load_ushort v37, v[2:3], off offset:1024
	s_or_b64 exec, exec, s[2:3]
                                        ; implicit-def: $vgpr38
	s_and_saveexec_b64 s[2:3], s[22:23]
	s_cbranch_execnz .LBB48_204
.LBB48_61:
	s_or_b64 exec, exec, s[2:3]
                                        ; implicit-def: $vgpr39
	s_and_saveexec_b64 s[2:3], s[24:25]
	s_cbranch_execz .LBB48_205
.LBB48_62:
	global_load_ushort v39, v[2:3], off offset:1280
	s_or_b64 exec, exec, s[2:3]
                                        ; implicit-def: $vgpr40
	s_and_saveexec_b64 s[2:3], s[26:27]
	s_cbranch_execnz .LBB48_206
.LBB48_63:
	s_or_b64 exec, exec, s[2:3]
                                        ; implicit-def: $vgpr41
	s_and_saveexec_b64 s[2:3], s[28:29]
	s_cbranch_execz .LBB48_207
.LBB48_64:
	global_load_ushort v41, v[2:3], off offset:1536
	s_or_b64 exec, exec, s[2:3]
                                        ; implicit-def: $vgpr43
	s_and_saveexec_b64 s[2:3], s[30:31]
	s_cbranch_execnz .LBB48_208
.LBB48_65:
	s_or_b64 exec, exec, s[2:3]
                                        ; implicit-def: $vgpr44
	s_and_saveexec_b64 s[2:3], s[34:35]
	s_cbranch_execz .LBB48_209
.LBB48_66:
	global_load_ushort v44, v[2:3], off offset:1792
	s_or_b64 exec, exec, s[2:3]
                                        ; implicit-def: $vgpr45
	s_and_saveexec_b64 s[2:3], s[36:37]
	s_cbranch_execnz .LBB48_210
.LBB48_67:
	s_or_b64 exec, exec, s[2:3]
                                        ; implicit-def: $vgpr46
	s_and_saveexec_b64 s[2:3], s[38:39]
	s_cbranch_execz .LBB48_211
.LBB48_68:
	global_load_ushort v46, v[2:3], off offset:2048
	s_or_b64 exec, exec, s[2:3]
                                        ; implicit-def: $vgpr47
	s_and_saveexec_b64 s[2:3], s[40:41]
	s_cbranch_execnz .LBB48_212
.LBB48_69:
	s_or_b64 exec, exec, s[2:3]
                                        ; implicit-def: $vgpr48
	s_and_saveexec_b64 s[2:3], s[42:43]
	s_cbranch_execz .LBB48_213
.LBB48_70:
	global_load_ushort v48, v[2:3], off offset:2304
	s_or_b64 exec, exec, s[2:3]
                                        ; implicit-def: $vgpr49
	s_and_saveexec_b64 s[2:3], s[44:45]
	s_cbranch_execnz .LBB48_214
.LBB48_71:
	s_or_b64 exec, exec, s[2:3]
                                        ; implicit-def: $vgpr50
	s_and_saveexec_b64 s[2:3], s[46:47]
	s_cbranch_execz .LBB48_215
.LBB48_72:
	global_load_ushort v50, v[2:3], off offset:2560
	s_or_b64 exec, exec, s[2:3]
                                        ; implicit-def: $vgpr51
	s_and_saveexec_b64 s[2:3], s[48:49]
	s_cbranch_execnz .LBB48_216
.LBB48_73:
	s_or_b64 exec, exec, s[2:3]
                                        ; implicit-def: $vgpr52
	s_and_saveexec_b64 s[2:3], s[50:51]
	s_cbranch_execz .LBB48_75
.LBB48_74:
	global_load_ushort v52, v[2:3], off offset:2816
.LBB48_75:
	s_or_b64 exec, exec, s[2:3]
	v_mul_u32_u24_e32 v60, 24, v0
                                        ; implicit-def: $vgpr53
	s_and_saveexec_b64 s[2:3], s[52:53]
	s_cbranch_execz .LBB48_77
; %bb.76:
	global_load_ushort v53, v[2:3], off offset:2944
.LBB48_77:
	s_or_b64 exec, exec, s[2:3]
	v_sub_u32_e32 v2, v1, v5
	s_waitcnt vmcnt(0)
	ds_write_b16 v2, v9
	ds_write_b16 v2, v18 offset:128
	ds_write_b16 v2, v19 offset:256
	;; [unrolled: 1-line block ×23, first 2 shown]
	v_cmp_gt_u32_e32 vcc, s66, v60
	s_mov_b64 s[12:13], 0
	s_mov_b32 s7, 0
	v_mov_b32_e32 v32, 0
	v_mov_b32_e32 v52, 0
	;; [unrolled: 1-line block ×4, first 2 shown]
	s_mov_b64 s[10:11], 0
	v_mov_b32_e32 v39, 0
	v_mov_b32_e32 v41, 0
	;; [unrolled: 1-line block ×19, first 2 shown]
	s_waitcnt lgkmcnt(0)
	; wave barrier
	s_waitcnt lgkmcnt(0)
                                        ; implicit-def: $sgpr8_sgpr9
                                        ; implicit-def: $vgpr18
                                        ; implicit-def: $vgpr9
                                        ; implicit-def: $vgpr5
                                        ; implicit-def: $vgpr49
                                        ; implicit-def: $vgpr51
                                        ; implicit-def: $vgpr53
                                        ; implicit-def: $vgpr55
                                        ; implicit-def: $vgpr57
	s_and_saveexec_b64 s[14:15], vcc
	s_cbranch_execz .LBB48_123
; %bb.78:
	v_mad_u32_u24 v1, v0, 46, v2
	ds_read_u16 v1, v1
	s_waitcnt lgkmcnt(14)
	v_cmp_ne_u32_e32 vcc, v4, v6
	v_or_b32_e32 v3, 1, v60
	v_cndmask_b32_e64 v19, 0, 1, vcc
	v_cmp_gt_u32_e32 vcc, s66, v3
	s_mov_b64 s[2:3], 0
	v_mov_b32_e32 v32, 0
	v_mov_b32_e32 v52, 0
	;; [unrolled: 1-line block ×21, first 2 shown]
                                        ; implicit-def: $sgpr8_sgpr9
                                        ; implicit-def: $vgpr18
                                        ; implicit-def: $vgpr9
                                        ; implicit-def: $vgpr5
                                        ; implicit-def: $vgpr49
                                        ; implicit-def: $vgpr51
                                        ; implicit-def: $vgpr53
                                        ; implicit-def: $vgpr55
                                        ; implicit-def: $vgpr57
	s_and_saveexec_b64 s[16:17], vcc
	s_cbranch_execz .LBB48_122
; %bb.79:
	v_mul_u32_u24_e32 v3, 46, v0
	v_add_u32_e32 v61, v2, v3
	ds_read_b128 v[2:5], v61 offset:2
	v_or_b32_e32 v9, 2, v60
	v_cmp_ne_u32_e32 vcc, v6, v7
	v_cndmask_b32_e64 v35, 0, 1, vcc
	v_cmp_gt_u32_e32 vcc, s66, v9
	s_waitcnt lgkmcnt(0)
	v_and_b32_e32 v58, 0xffff, v2
	v_mov_b32_e32 v32, 0
	v_mov_b32_e32 v52, 0
	;; [unrolled: 1-line block ×19, first 2 shown]
                                        ; implicit-def: $sgpr8_sgpr9
                                        ; implicit-def: $vgpr18
                                        ; implicit-def: $vgpr9
                                        ; implicit-def: $vgpr49
                                        ; implicit-def: $vgpr51
                                        ; implicit-def: $vgpr53
                                        ; implicit-def: $vgpr55
                                        ; implicit-def: $vgpr57
	s_and_saveexec_b64 s[18:19], vcc
	s_cbranch_execz .LBB48_121
; %bb.80:
	v_or_b32_e32 v6, 3, v60
	v_cmp_ne_u32_e32 vcc, v7, v8
	v_cndmask_b32_e64 v33, 0, 1, vcc
	v_cmp_gt_u32_e32 vcc, s66, v6
	v_mov_b32_e32 v32, 0
	v_mov_b32_e32 v52, 0
	;; [unrolled: 1-line block ×18, first 2 shown]
                                        ; implicit-def: $sgpr8_sgpr9
                                        ; implicit-def: $vgpr18
                                        ; implicit-def: $vgpr9
                                        ; implicit-def: $vgpr49
                                        ; implicit-def: $vgpr51
                                        ; implicit-def: $vgpr53
                                        ; implicit-def: $vgpr55
                                        ; implicit-def: $vgpr57
	s_and_saveexec_b64 s[20:21], vcc
	s_cbranch_execz .LBB48_120
; %bb.81:
	v_or_b32_e32 v6, 4, v60
	v_cmp_ne_u32_e32 vcc, v8, v30
	v_cndmask_b32_e64 v34, 0, 1, vcc
	v_cmp_gt_u32_e32 vcc, s66, v6
	v_and_b32_e32 v56, 0xffff, v3
	v_mov_b32_e32 v32, 0
	v_mov_b32_e32 v52, 0
	;; [unrolled: 1-line block ×16, first 2 shown]
                                        ; implicit-def: $sgpr8_sgpr9
                                        ; implicit-def: $vgpr18
                                        ; implicit-def: $vgpr9
                                        ; implicit-def: $vgpr49
                                        ; implicit-def: $vgpr51
                                        ; implicit-def: $vgpr53
                                        ; implicit-def: $vgpr55
                                        ; implicit-def: $vgpr57
	s_and_saveexec_b64 s[22:23], vcc
	s_cbranch_execz .LBB48_119
; %bb.82:
	v_or_b32_e32 v6, 5, v60
	v_cmp_ne_u32_e64 s[10:11], v30, v31
	v_cmp_ne_u32_e32 vcc, v28, v29
	v_cmp_ne_u32_e64 s[2:3], v29, v26
	v_cmp_ne_u32_e64 s[8:9], v31, v28
	v_cndmask_b32_e64 v52, 0, 1, s[10:11]
	v_cmp_gt_u32_e64 s[10:11], s66, v6
	s_mov_b64 s[26:27], 0
	v_mov_b32_e32 v32, 0
	v_mov_b32_e32 v47, 0
	;; [unrolled: 1-line block ×15, first 2 shown]
                                        ; implicit-def: $sgpr28_sgpr29
                                        ; implicit-def: $vgpr18
                                        ; implicit-def: $vgpr9
                                        ; implicit-def: $vgpr49
                                        ; implicit-def: $vgpr51
                                        ; implicit-def: $vgpr53
                                        ; implicit-def: $vgpr55
                                        ; implicit-def: $vgpr57
	s_and_saveexec_b64 s[24:25], s[10:11]
	s_cbranch_execz .LBB48_118
; %bb.83:
	v_cndmask_b32_e64 v6, 0, 1, s[8:9]
	v_cndmask_b32_e64 v7, 0, 1, s[2:3]
	v_lshlrev_b16_e32 v6, 8, v6
	v_lshlrev_b16_e32 v7, 8, v7
	v_cndmask_b32_e64 v8, 0, 1, vcc
	v_or_b32_e32 v6, v52, v6
	v_or_b32_sdwa v7, v8, v7 dst_sel:WORD_1 dst_unused:UNUSED_PAD src0_sel:DWORD src1_sel:DWORD
	v_or_b32_sdwa v49, v6, v7 dst_sel:DWORD dst_unused:UNUSED_PAD src0_sel:WORD_0 src1_sel:DWORD
	v_or_b32_e32 v6, 6, v60
	v_and_b32_e32 v52, 0xffff, v49
	v_cmp_gt_u32_e32 vcc, s66, v6
	v_and_b32_e32 v54, 0xffff, v4
	s_mov_b64 s[2:3], 0
	v_mov_b32_e32 v32, 0
	v_mov_b32_e32 v47, 0
	;; [unrolled: 1-line block ×14, first 2 shown]
                                        ; implicit-def: $sgpr8_sgpr9
                                        ; implicit-def: $vgpr18
                                        ; implicit-def: $vgpr9
                                        ; implicit-def: $vgpr51
                                        ; implicit-def: $vgpr53
                                        ; implicit-def: $vgpr55
                                        ; implicit-def: $vgpr57
	s_and_saveexec_b64 s[26:27], vcc
	s_cbranch_execz .LBB48_117
; %bb.84:
	v_or_b32_e32 v6, 7, v60
	v_cmp_gt_u32_e32 vcc, s66, v6
	v_and_b32_e32 v52, 0xffffff, v49
	v_mov_b32_e32 v32, 0
	v_mov_b32_e32 v47, 0
	;; [unrolled: 1-line block ×14, first 2 shown]
                                        ; implicit-def: $sgpr8_sgpr9
                                        ; implicit-def: $vgpr18
                                        ; implicit-def: $vgpr9
                                        ; implicit-def: $vgpr51
                                        ; implicit-def: $vgpr53
                                        ; implicit-def: $vgpr55
                                        ; implicit-def: $vgpr57
	s_and_saveexec_b64 s[28:29], vcc
	s_cbranch_execz .LBB48_116
; %bb.85:
	v_add_u32_e32 v6, 8, v60
	v_cmp_gt_u32_e32 vcc, s66, v6
	v_and_b32_e32 v50, 0xffff, v5
	v_mov_b32_e32 v32, 0
	v_mov_b32_e32 v47, 0
	;; [unrolled: 1-line block ×13, first 2 shown]
                                        ; implicit-def: $sgpr8_sgpr9
                                        ; implicit-def: $vgpr18
                                        ; implicit-def: $vgpr9
                                        ; implicit-def: $vgpr51
                                        ; implicit-def: $vgpr53
                                        ; implicit-def: $vgpr55
                                        ; implicit-def: $vgpr57
	s_and_saveexec_b64 s[30:31], vcc
	s_cbranch_execz .LBB48_115
; %bb.86:
	v_add_u32_e32 v6, 9, v60
	v_cmp_ne_u32_e32 vcc, v26, v14
	v_cndmask_b32_e64 v37, 0, 1, vcc
	v_cmp_gt_u32_e32 vcc, s66, v6
	v_mov_b32_e32 v32, 0
	v_mov_b32_e32 v47, 0
	;; [unrolled: 1-line block ×12, first 2 shown]
                                        ; implicit-def: $sgpr8_sgpr9
                                        ; implicit-def: $vgpr18
                                        ; implicit-def: $vgpr9
                                        ; implicit-def: $vgpr51
                                        ; implicit-def: $vgpr53
                                        ; implicit-def: $vgpr55
                                        ; implicit-def: $vgpr57
	s_and_saveexec_b64 s[34:35], vcc
	s_cbranch_execz .LBB48_114
; %bb.87:
	ds_read_b128 v[6:9], v61 offset:18
	v_add_u32_e32 v18, 10, v60
	v_cmp_ne_u32_e64 s[10:11], v14, v15
	v_cmp_ne_u32_e32 vcc, v16, v17
	v_cmp_ne_u32_e64 s[2:3], v17, v27
	v_cmp_ne_u32_e64 s[8:9], v15, v16
	v_cndmask_b32_e64 v47, 0, 1, s[10:11]
	v_cmp_gt_u32_e64 s[10:11], s66, v18
	s_waitcnt lgkmcnt(0)
	v_and_b32_e32 v48, 0xffff, v6
	s_mov_b64 s[38:39], 0
	v_mov_b32_e32 v32, 0
	v_mov_b32_e32 v44, 0
	v_mov_b32_e32 v36, 0
	v_mov_b32_e32 v39, 0
	v_mov_b32_e32 v41, 0
	v_mov_b32_e32 v43, 0
	v_mov_b32_e32 v45, 0
	v_mov_b32_e32 v46, 0
	v_mov_b32_e32 v40, 0
	v_mov_b32_e32 v38, 0
                                        ; implicit-def: $sgpr40_sgpr41
                                        ; implicit-def: $vgpr18
                                        ; implicit-def: $vgpr51
                                        ; implicit-def: $vgpr53
                                        ; implicit-def: $vgpr55
                                        ; implicit-def: $vgpr57
	s_and_saveexec_b64 s[36:37], s[10:11]
	s_cbranch_execz .LBB48_113
; %bb.88:
	v_cndmask_b32_e64 v14, 0, 1, s[8:9]
	v_cndmask_b32_e64 v15, 0, 1, s[2:3]
	v_lshlrev_b16_e32 v14, 8, v14
	v_lshlrev_b16_e32 v15, 8, v15
	v_cndmask_b32_e64 v16, 0, 1, vcc
	v_or_b32_e32 v14, v47, v14
	v_or_b32_sdwa v15, v16, v15 dst_sel:WORD_1 dst_unused:UNUSED_PAD src0_sel:DWORD src1_sel:DWORD
	v_or_b32_sdwa v51, v14, v15 dst_sel:DWORD dst_unused:UNUSED_PAD src0_sel:WORD_0 src1_sel:DWORD
	v_add_u32_e32 v14, 11, v60
	v_and_b32_e32 v47, 0xffff, v51
	v_cmp_gt_u32_e32 vcc, s66, v14
	s_mov_b64 s[2:3], 0
	v_mov_b32_e32 v32, 0
	v_mov_b32_e32 v44, 0
	;; [unrolled: 1-line block ×10, first 2 shown]
                                        ; implicit-def: $sgpr8_sgpr9
                                        ; implicit-def: $vgpr18
                                        ; implicit-def: $vgpr53
                                        ; implicit-def: $vgpr55
                                        ; implicit-def: $vgpr57
	s_and_saveexec_b64 s[38:39], vcc
	s_cbranch_execz .LBB48_112
; %bb.89:
	v_add_u32_e32 v14, 12, v60
	v_cmp_gt_u32_e32 vcc, s66, v14
	v_and_b32_e32 v47, 0xffffff, v51
	v_and_b32_e32 v46, 0xffff, v7
	v_mov_b32_e32 v32, 0
	v_mov_b32_e32 v44, 0
	;; [unrolled: 1-line block ×9, first 2 shown]
                                        ; implicit-def: $sgpr8_sgpr9
                                        ; implicit-def: $vgpr18
                                        ; implicit-def: $vgpr53
                                        ; implicit-def: $vgpr55
                                        ; implicit-def: $vgpr57
	s_and_saveexec_b64 s[40:41], vcc
	s_cbranch_execz .LBB48_111
; %bb.90:
	v_add_u32_e32 v14, 13, v60
	v_cmp_gt_u32_e32 vcc, s66, v14
	v_mov_b32_e32 v32, 0
	v_mov_b32_e32 v44, 0
	;; [unrolled: 1-line block ×9, first 2 shown]
                                        ; implicit-def: $sgpr8_sgpr9
                                        ; implicit-def: $vgpr18
                                        ; implicit-def: $vgpr53
                                        ; implicit-def: $vgpr55
                                        ; implicit-def: $vgpr57
	s_and_saveexec_b64 s[42:43], vcc
	s_cbranch_execz .LBB48_110
; %bb.91:
	v_add_u32_e32 v14, 14, v60
	v_cmp_ne_u32_e32 vcc, v27, v24
	v_cndmask_b32_e64 v38, 0, 1, vcc
	v_cmp_gt_u32_e32 vcc, s66, v14
	v_and_b32_e32 v45, 0xffff, v8
	v_mov_b32_e32 v32, 0
	v_mov_b32_e32 v44, 0
	;; [unrolled: 1-line block ×7, first 2 shown]
                                        ; implicit-def: $sgpr8_sgpr9
                                        ; implicit-def: $vgpr18
                                        ; implicit-def: $vgpr53
                                        ; implicit-def: $vgpr55
                                        ; implicit-def: $vgpr57
	s_and_saveexec_b64 s[44:45], vcc
	s_cbranch_execz .LBB48_109
; %bb.92:
	v_add_u32_e32 v14, 15, v60
	v_cmp_ne_u32_e64 s[10:11], v24, v25
	v_cmp_ne_u32_e32 vcc, v22, v23
	v_cmp_ne_u32_e64 s[2:3], v23, v59
	v_cmp_ne_u32_e64 s[8:9], v25, v22
	v_cndmask_b32_e64 v44, 0, 1, s[10:11]
	v_cmp_gt_u32_e64 s[10:11], s66, v14
	s_mov_b64 s[48:49], 0
	v_mov_b32_e32 v32, 0
	v_mov_b32_e32 v40, 0
	;; [unrolled: 1-line block ×6, first 2 shown]
                                        ; implicit-def: $sgpr50_sgpr51
                                        ; implicit-def: $vgpr18
                                        ; implicit-def: $vgpr53
                                        ; implicit-def: $vgpr55
                                        ; implicit-def: $vgpr57
	s_and_saveexec_b64 s[46:47], s[10:11]
	s_cbranch_execz .LBB48_108
; %bb.93:
	v_cndmask_b32_e64 v14, 0, 1, s[8:9]
	v_cndmask_b32_e64 v15, 0, 1, s[2:3]
	v_lshlrev_b16_e32 v14, 8, v14
	v_lshlrev_b16_e32 v15, 8, v15
	v_cndmask_b32_e64 v16, 0, 1, vcc
	v_or_b32_e32 v14, v44, v14
	v_or_b32_sdwa v15, v16, v15 dst_sel:WORD_1 dst_unused:UNUSED_PAD src0_sel:DWORD src1_sel:DWORD
	v_or_b32_sdwa v53, v14, v15 dst_sel:DWORD dst_unused:UNUSED_PAD src0_sel:WORD_0 src1_sel:DWORD
	v_add_u32_e32 v14, 16, v60
	v_and_b32_e32 v44, 0xffff, v53
	v_cmp_gt_u32_e32 vcc, s66, v14
	v_and_b32_e32 v43, 0xffff, v9
	s_mov_b64 s[2:3], 0
	v_mov_b32_e32 v32, 0
	v_mov_b32_e32 v40, 0
	;; [unrolled: 1-line block ×5, first 2 shown]
                                        ; implicit-def: $sgpr8_sgpr9
                                        ; implicit-def: $vgpr18
                                        ; implicit-def: $vgpr55
                                        ; implicit-def: $vgpr57
	s_and_saveexec_b64 s[48:49], vcc
	s_cbranch_execz .LBB48_107
; %bb.94:
	v_add_u32_e32 v14, 17, v60
	v_cmp_gt_u32_e32 vcc, s66, v14
	v_and_b32_e32 v44, 0xffffff, v53
	v_mov_b32_e32 v32, 0
	v_mov_b32_e32 v40, 0
	;; [unrolled: 1-line block ×5, first 2 shown]
                                        ; implicit-def: $sgpr8_sgpr9
                                        ; implicit-def: $vgpr18
                                        ; implicit-def: $vgpr55
                                        ; implicit-def: $vgpr57
	s_and_saveexec_b64 s[50:51], vcc
	s_cbranch_execz .LBB48_106
; %bb.95:
	ds_read_b96 v[16:18], v61 offset:34
	v_add_u32_e32 v14, 18, v60
	v_mov_b32_e32 v32, 0
	v_cmp_gt_u32_e32 vcc, s66, v14
	v_mov_b32_e32 v40, 0
	s_waitcnt lgkmcnt(0)
	v_and_b32_e32 v41, 0xffff, v16
	v_mov_b32_e32 v36, 0
	v_mov_b32_e32 v39, 0
                                        ; implicit-def: $sgpr8_sgpr9
                                        ; implicit-def: $vgpr55
                                        ; implicit-def: $vgpr57
	s_and_saveexec_b64 s[52:53], vcc
	s_cbranch_execz .LBB48_105
; %bb.96:
	v_add_u32_e32 v14, 19, v60
	v_cmp_ne_u32_e32 vcc, v59, v10
	v_cndmask_b32_e64 v36, 0, 1, vcc
	v_cmp_gt_u32_e32 vcc, s66, v14
	v_mov_b32_e32 v32, 0
	v_mov_b32_e32 v40, 0
	;; [unrolled: 1-line block ×3, first 2 shown]
                                        ; implicit-def: $sgpr8_sgpr9
                                        ; implicit-def: $vgpr55
                                        ; implicit-def: $vgpr57
	s_and_saveexec_b64 s[54:55], vcc
	s_cbranch_execz .LBB48_104
; %bb.97:
	v_add_u32_e32 v14, 20, v60
	v_cmp_ne_u32_e64 s[10:11], v10, v11
	v_cmp_ne_u32_e32 vcc, v12, v13
	v_cmp_ne_u32_e64 s[2:3], v13, v20
	v_cmp_ne_u32_e64 s[8:9], v11, v12
	v_cndmask_b32_e64 v40, 0, 1, s[10:11]
	v_cmp_gt_u32_e64 s[10:11], s66, v14
	v_and_b32_e32 v39, 0xffff, v17
	s_mov_b64 s[62:63], 0
	v_mov_b32_e32 v32, 0
                                        ; implicit-def: $sgpr64_sgpr65
                                        ; implicit-def: $vgpr55
                                        ; implicit-def: $vgpr57
	s_and_saveexec_b64 s[60:61], s[10:11]
	s_cbranch_execz .LBB48_103
; %bb.98:
	v_cndmask_b32_e64 v10, 0, 1, s[8:9]
	v_cndmask_b32_e64 v11, 0, 1, s[2:3]
	v_lshlrev_b16_e32 v10, 8, v10
	v_lshlrev_b16_e32 v11, 8, v11
	v_cndmask_b32_e64 v12, 0, 1, vcc
	v_or_b32_e32 v10, v40, v10
	v_or_b32_sdwa v11, v12, v11 dst_sel:WORD_1 dst_unused:UNUSED_PAD src0_sel:DWORD src1_sel:DWORD
	v_or_b32_sdwa v55, v10, v11 dst_sel:DWORD dst_unused:UNUSED_PAD src0_sel:WORD_0 src1_sel:DWORD
	v_add_u32_e32 v10, 21, v60
	v_and_b32_e32 v40, 0xffff, v55
	v_cmp_gt_u32_e32 vcc, s66, v10
	s_mov_b64 s[2:3], 0
	v_mov_b32_e32 v32, 0
                                        ; implicit-def: $sgpr10_sgpr11
                                        ; implicit-def: $vgpr57
	s_and_saveexec_b64 s[8:9], vcc
	s_cbranch_execz .LBB48_102
; %bb.99:
	v_add_u32_e32 v10, 22, v60
	v_cmp_gt_u32_e32 vcc, s66, v10
	v_and_b32_e32 v40, 0xffffff, v55
	v_and_b32_e32 v32, 0xffff, v18
                                        ; implicit-def: $sgpr10_sgpr11
                                        ; implicit-def: $vgpr57
	s_and_saveexec_b64 s[62:63], vcc
	s_xor_b64 s[62:63], exec, s[62:63]
	s_cbranch_execz .LBB48_101
; %bb.100:
	ds_read_u16 v57, v61 offset:46
	v_add_u32_e32 v10, 23, v60
	v_cmp_ne_u32_e32 vcc, v20, v21
	v_cmp_gt_u32_e64 s[2:3], s66, v10
	s_and_b64 s[10:11], vcc, exec
	s_and_b64 s[2:3], s[2:3], exec
	v_mov_b32_e32 v32, v18
	v_mov_b32_e32 v40, v55
.LBB48_101:
	s_or_b64 exec, exec, s[62:63]
	s_and_b64 s[10:11], s[10:11], exec
	s_and_b64 s[2:3], s[2:3], exec
.LBB48_102:
	s_or_b64 exec, exec, s[8:9]
	s_and_b64 s[64:65], s[10:11], exec
	s_and_b64 s[62:63], s[2:3], exec
	v_mov_b32_e32 v39, v17
.LBB48_103:
	s_or_b64 exec, exec, s[60:61]
	s_and_b64 s[8:9], s[64:65], exec
	s_and_b64 s[2:3], s[62:63], exec
.LBB48_104:
	s_or_b64 exec, exec, s[54:55]
	s_and_b64 s[8:9], s[8:9], exec
	s_and_b64 s[2:3], s[2:3], exec
	v_mov_b32_e32 v41, v16
.LBB48_105:
	s_or_b64 exec, exec, s[52:53]
	s_and_b64 s[8:9], s[8:9], exec
	s_and_b64 s[2:3], s[2:3], exec
	v_mov_b32_e32 v44, v53
.LBB48_106:
	s_or_b64 exec, exec, s[50:51]
	s_and_b64 s[8:9], s[8:9], exec
	s_and_b64 s[2:3], s[2:3], exec
	v_mov_b32_e32 v43, v9
.LBB48_107:
	s_or_b64 exec, exec, s[48:49]
	s_and_b64 s[50:51], s[8:9], exec
	s_and_b64 s[48:49], s[2:3], exec
.LBB48_108:
	s_or_b64 exec, exec, s[46:47]
	s_and_b64 s[8:9], s[50:51], exec
	s_and_b64 s[2:3], s[48:49], exec
	v_mov_b32_e32 v45, v8
.LBB48_109:
	s_or_b64 exec, exec, s[44:45]
	s_and_b64 s[8:9], s[8:9], exec
	s_and_b64 s[2:3], s[2:3], exec
.LBB48_110:
	s_or_b64 exec, exec, s[42:43]
	s_and_b64 s[8:9], s[8:9], exec
	s_and_b64 s[2:3], s[2:3], exec
	v_mov_b32_e32 v46, v7
	v_mov_b32_e32 v47, v51
.LBB48_111:
	s_or_b64 exec, exec, s[40:41]
	s_and_b64 s[8:9], s[8:9], exec
	s_and_b64 s[2:3], s[2:3], exec
.LBB48_112:
	s_or_b64 exec, exec, s[38:39]
	s_and_b64 s[40:41], s[8:9], exec
	s_and_b64 s[38:39], s[2:3], exec
	v_mov_b32_e32 v48, v6
.LBB48_113:
	s_or_b64 exec, exec, s[36:37]
	s_and_b64 s[8:9], s[40:41], exec
	s_and_b64 s[2:3], s[38:39], exec
.LBB48_114:
	s_or_b64 exec, exec, s[34:35]
	s_and_b64 s[8:9], s[8:9], exec
	s_and_b64 s[2:3], s[2:3], exec
	v_mov_b32_e32 v50, v5
.LBB48_115:
	s_or_b64 exec, exec, s[30:31]
	s_and_b64 s[8:9], s[8:9], exec
	s_and_b64 s[2:3], s[2:3], exec
	v_mov_b32_e32 v52, v49
.LBB48_116:
	s_or_b64 exec, exec, s[28:29]
	s_and_b64 s[8:9], s[8:9], exec
	s_and_b64 s[2:3], s[2:3], exec
	v_mov_b32_e32 v54, v4
.LBB48_117:
	s_or_b64 exec, exec, s[26:27]
	s_and_b64 s[28:29], s[8:9], exec
	s_and_b64 s[26:27], s[2:3], exec
.LBB48_118:
	s_or_b64 exec, exec, s[24:25]
	s_and_b64 s[8:9], s[28:29], exec
	s_and_b64 s[2:3], s[26:27], exec
	v_mov_b32_e32 v56, v3
.LBB48_119:
	s_or_b64 exec, exec, s[22:23]
	s_and_b64 s[8:9], s[8:9], exec
	s_and_b64 s[2:3], s[2:3], exec
.LBB48_120:
	s_or_b64 exec, exec, s[20:21]
	s_and_b64 s[8:9], s[8:9], exec
	s_and_b64 s[2:3], s[2:3], exec
	v_mov_b32_e32 v58, v2
.LBB48_121:
	s_or_b64 exec, exec, s[18:19]
	s_and_b64 s[8:9], s[8:9], exec
	s_and_b64 s[2:3], s[2:3], exec
.LBB48_122:
	s_or_b64 exec, exec, s[16:17]
	s_and_b64 s[8:9], s[8:9], exec
	s_and_b64 s[10:11], s[2:3], exec
.LBB48_123:
	s_or_b64 exec, exec, s[14:15]
	s_mov_b32 s14, 0
	s_and_b64 vcc, exec, s[12:13]
	v_cmp_ne_u32_e64 s[2:3], 0, v0
	s_cbranch_vccnz .LBB48_125
	s_branch .LBB48_128
.LBB48_124:
	s_mov_b64 s[10:11], 0
                                        ; implicit-def: $sgpr8_sgpr9
                                        ; implicit-def: $vgpr18
                                        ; implicit-def: $vgpr9
                                        ; implicit-def: $vgpr5
                                        ; implicit-def: $vgpr49
                                        ; implicit-def: $vgpr51
                                        ; implicit-def: $vgpr53
                                        ; implicit-def: $vgpr55
                                        ; implicit-def: $vgpr57
                                        ; implicit-def: $vgpr19
                                        ; implicit-def: $vgpr1
                                        ; implicit-def: $vgpr35
                                        ; implicit-def: $vgpr33
                                        ; implicit-def: $vgpr36
                                        ; implicit-def: $vgpr34
                                        ; implicit-def: $vgpr38
                                        ; implicit-def: $vgpr37
                                        ; implicit-def: $vgpr32
                                        ; implicit-def: $vgpr39
                                        ; implicit-def: $vgpr41
                                        ; implicit-def: $vgpr43
                                        ; implicit-def: $vgpr45
                                        ; implicit-def: $vgpr46
                                        ; implicit-def: $vgpr48
                                        ; implicit-def: $vgpr50
                                        ; implicit-def: $vgpr54
                                        ; implicit-def: $vgpr56
                                        ; implicit-def: $vgpr58
                                        ; implicit-def: $vgpr52
                                        ; implicit-def: $vgpr47
                                        ; implicit-def: $vgpr44
                                        ; implicit-def: $vgpr40
                                        ; implicit-def: $sgpr14
                                        ; implicit-def: $sgpr7
	s_and_b64 vcc, exec, s[12:13]
	v_cmp_ne_u32_e64 s[2:3], 0, v0
	s_cbranch_vccz .LBB48_128
.LBB48_125:
	s_waitcnt lgkmcnt(0)
	v_mov_b32_e32 v1, s59
	v_add_co_u32_e32 v2, vcc, s58, v42
	v_addc_co_u32_e32 v1, vcc, 0, v1, vcc
	s_movk_i32 s7, 0x1000
	v_add_co_u32_e32 v2, vcc, s7, v2
	v_addc_co_u32_e32 v3, vcc, 0, v1, vcc
	global_load_dword v4, v42, s[58:59]
	global_load_dword v5, v42, s[58:59] offset:256
	global_load_dword v6, v42, s[58:59] offset:512
	;; [unrolled: 1-line block ×15, first 2 shown]
	global_load_dword v20, v[2:3], off
	global_load_dword v21, v[2:3], off offset:256
	global_load_dword v22, v[2:3], off offset:512
	;; [unrolled: 1-line block ×7, first 2 shown]
	s_sub_u32 s8, 0, s6
	s_subb_u32 s9, 0, 0
	s_cmp_eq_u64 s[8:9], s[72:73]
	s_movk_i32 s7, 0x5c
	s_cselect_b32 s8, 0, -4
	v_mad_u32_u24 v28, v0, s7, v42
	s_cselect_b32 s7, 0, -1
	s_add_u32 s8, s58, s8
	s_addc_u32 s9, s59, s7
	s_movk_i32 s10, 0xffa4
	v_mad_i32_i24 v1, v0, s10, v28
	s_waitcnt vmcnt(22)
	ds_write2st64_b32 v42, v4, v5 offset1:1
	s_waitcnt vmcnt(20)
	ds_write2st64_b32 v42, v6, v7 offset0:2 offset1:3
	s_waitcnt vmcnt(18)
	ds_write2st64_b32 v42, v8, v9 offset0:4 offset1:5
	;; [unrolled: 2-line block ×11, first 2 shown]
	s_waitcnt lgkmcnt(0)
	; wave barrier
	s_waitcnt lgkmcnt(0)
	s_load_dword s7, s[8:9], 0x0
	ds_read2_b32 v[14:15], v28 offset0:7 offset1:12
	ds_read_b64 v[24:25], v28 offset:88
	ds_read2_b64 v[6:9], v28 offset0:9 offset1:10
	ds_read_b32 v26, v28 offset:68
	ds_read2_b32 v[22:23], v28 offset0:15 offset1:16
	ds_read2_b32 v[20:21], v28 offset0:13 offset1:14
	ds_read_b128 v[2:5], v28 offset:32
	ds_read2_b32 v[18:19], v28 offset0:5 offset1:6
	ds_read_b96 v[10:12], v28
	ds_read2_b32 v[16:17], v28 offset0:3 offset1:4
	s_waitcnt lgkmcnt(0)
	ds_write_b32 v1, v25 offset:6144
	s_waitcnt lgkmcnt(0)
	v_mov_b32_e32 v13, s7
	; wave barrier
	s_and_saveexec_b64 s[8:9], s[2:3]
	s_cbranch_execz .LBB48_127
; %bb.126:
	ds_read_b32 v13, v1 offset:6140
.LBB48_127:
	s_or_b64 exec, exec, s[8:9]
	v_cmp_ne_u32_e32 vcc, v7, v8
	v_cmp_ne_u32_e64 s[8:9], v24, v25
	v_cndmask_b32_e64 v25, 0, 1, vcc
	v_cmp_ne_u32_e32 vcc, v6, v7
	v_lshlrev_b16_e32 v25, 8, v25
	v_cndmask_b32_e64 v7, 0, 1, vcc
	v_or_b32_e32 v7, v7, v25
	v_lshlrev_b32_e32 v25, 1, v0
	s_waitcnt lgkmcnt(0)
	; wave barrier
	s_waitcnt lgkmcnt(0)
	global_load_ushort v27, v25, s[56:57]
	global_load_ushort v28, v25, s[56:57] offset:128
	global_load_ushort v29, v25, s[56:57] offset:256
	;; [unrolled: 1-line block ×23, first 2 shown]
	v_cmp_ne_u32_e32 vcc, v9, v24
	v_cndmask_b32_e64 v24, 0, 1, vcc
	v_cmp_ne_u32_e32 vcc, v8, v9
	v_cndmask_b32_e64 v8, 0, 1, vcc
	v_cmp_ne_u32_e32 vcc, v26, v6
	v_lshlrev_b16_e32 v24, 8, v24
	v_cndmask_b32_e64 v36, 0, 1, vcc
	v_cmp_ne_u32_e32 vcc, v21, v22
	v_or_b32_sdwa v8, v8, v24 dst_sel:WORD_1 dst_unused:UNUSED_PAD src0_sel:DWORD src1_sel:DWORD
	v_cndmask_b32_e64 v6, 0, 1, vcc
	v_cmp_ne_u32_e32 vcc, v20, v21
	v_or_b32_sdwa v55, v7, v8 dst_sel:DWORD dst_unused:UNUSED_PAD src0_sel:WORD_0 src1_sel:DWORD
	v_lshlrev_b16_e32 v6, 8, v6
	v_cndmask_b32_e64 v7, 0, 1, vcc
	v_cmp_ne_u32_e32 vcc, v23, v26
	v_or_b32_e32 v6, v7, v6
	v_cndmask_b32_e64 v7, 0, 1, vcc
	v_cmp_ne_u32_e32 vcc, v22, v23
	v_lshlrev_b16_e32 v7, 8, v7
	v_cndmask_b32_e64 v8, 0, 1, vcc
	v_cmp_ne_u32_e32 vcc, v15, v20
	v_or_b32_sdwa v7, v8, v7 dst_sel:WORD_1 dst_unused:UNUSED_PAD src0_sel:DWORD src1_sel:DWORD
	v_cndmask_b32_e64 v38, 0, 1, vcc
	v_cmp_ne_u32_e32 vcc, v3, v4
	v_or_b32_sdwa v53, v6, v7 dst_sel:DWORD dst_unused:UNUSED_PAD src0_sel:WORD_0 src1_sel:DWORD
	v_cndmask_b32_e64 v6, 0, 1, vcc
	v_cmp_ne_u32_e32 vcc, v2, v3
	v_lshlrev_b16_e32 v6, 8, v6
	v_cndmask_b32_e64 v3, 0, 1, vcc
	v_cmp_ne_u32_e32 vcc, v5, v15
	v_or_b32_e32 v3, v3, v6
	v_cndmask_b32_e64 v6, 0, 1, vcc
	v_cmp_ne_u32_e32 vcc, v4, v5
	v_cndmask_b32_e64 v4, 0, 1, vcc
	v_cmp_ne_u32_e32 vcc, v14, v2
	v_lshlrev_b16_e32 v6, 8, v6
	v_cndmask_b32_e64 v37, 0, 1, vcc
	v_cmp_ne_u32_e32 vcc, v17, v18
	v_or_b32_sdwa v4, v4, v6 dst_sel:WORD_1 dst_unused:UNUSED_PAD src0_sel:DWORD src1_sel:DWORD
	v_cndmask_b32_e64 v2, 0, 1, vcc
	v_cmp_ne_u32_e32 vcc, v16, v17
	v_or_b32_sdwa v51, v3, v4 dst_sel:DWORD dst_unused:UNUSED_PAD src0_sel:WORD_0 src1_sel:DWORD
	v_lshlrev_b16_e32 v2, 8, v2
	v_cndmask_b32_e64 v3, 0, 1, vcc
	v_cmp_ne_u32_e32 vcc, v19, v14
	v_or_b32_e32 v2, v3, v2
	v_cndmask_b32_e64 v3, 0, 1, vcc
	v_cmp_ne_u32_e32 vcc, v18, v19
	v_lshlrev_b16_e32 v3, 8, v3
	v_cndmask_b32_e64 v4, 0, 1, vcc
	v_cmp_ne_u32_e32 vcc, v12, v16
	v_sub_u32_e32 v1, v1, v25
	v_or_b32_sdwa v3, v4, v3 dst_sel:WORD_1 dst_unused:UNUSED_PAD src0_sel:DWORD src1_sel:DWORD
	v_cndmask_b32_e64 v34, 0, 1, vcc
	v_cmp_ne_u32_e32 vcc, v11, v12
	v_mad_u32_u24 v12, v0, 46, v1
	v_or_b32_sdwa v49, v2, v3 dst_sel:DWORD dst_unused:UNUSED_PAD src0_sel:WORD_0 src1_sel:DWORD
	v_cndmask_b32_e64 v33, 0, 1, vcc
	v_cmp_ne_u32_e32 vcc, v10, v11
	s_mov_b64 s[10:11], -1
                                        ; implicit-def: $sgpr14
                                        ; implicit-def: $sgpr7
	s_waitcnt vmcnt(23)
	ds_write_b16 v1, v27
	s_waitcnt vmcnt(22)
	ds_write_b16 v1, v28 offset:128
	s_waitcnt vmcnt(21)
	ds_write_b16 v1, v29 offset:256
	;; [unrolled: 2-line block ×23, first 2 shown]
	s_waitcnt lgkmcnt(0)
	; wave barrier
	s_waitcnt lgkmcnt(0)
	ds_read_u16 v1, v12
	ds_read_b128 v[2:5], v12 offset:2
	ds_read_b128 v[6:9], v12 offset:18
	ds_read_b96 v[16:18], v12 offset:34
	ds_read_u16 v57, v12 offset:46
	v_cndmask_b32_e64 v35, 0, 1, vcc
	v_cmp_ne_u32_e32 vcc, v13, v10
	v_cndmask_b32_e64 v19, 0, 1, vcc
                                        ; implicit-def: $vgpr32
                                        ; implicit-def: $vgpr39
                                        ; implicit-def: $vgpr41
                                        ; implicit-def: $vgpr43
                                        ; implicit-def: $vgpr45
                                        ; implicit-def: $vgpr46
                                        ; implicit-def: $vgpr48
                                        ; implicit-def: $vgpr50
                                        ; implicit-def: $vgpr54
                                        ; implicit-def: $vgpr56
                                        ; implicit-def: $vgpr58
                                        ; implicit-def: $vgpr52
                                        ; implicit-def: $vgpr47
                                        ; implicit-def: $vgpr44
                                        ; implicit-def: $vgpr40
.LBB48_128:
	v_mov_b32_e32 v25, s7
	v_mov_b32_e32 v12, s14
	s_and_saveexec_b64 s[2:3], s[10:11]
	s_cbranch_execz .LBB48_130
; %bb.129:
	v_cndmask_b32_e64 v25, 0, 1, s[8:9]
	s_waitcnt lgkmcnt(0)
	v_mov_b32_e32 v12, v57
	v_mov_b32_e32 v40, v55
	;; [unrolled: 1-line block ×16, first 2 shown]
.LBB48_130:
	s_or_b64 exec, exec, s[2:3]
	v_and_b32_e32 v51, 1, v35
	v_and_b32_e32 v30, 1, v38
	;; [unrolled: 1-line block ×4, first 2 shown]
	s_cmp_lg_u32 s6, 0
	v_cmp_eq_u32_e32 vcc, 1, v51
	v_lshrrev_b32_e32 v24, 16, v58
	v_lshrrev_b32_e32 v23, 16, v56
	;; [unrolled: 1-line block ×7, first 2 shown]
	s_waitcnt lgkmcnt(1)
	v_lshrrev_b32_e32 v18, 16, v46
	v_cmp_eq_u32_e64 s[52:53], 1, v30
	v_lshrrev_b32_e32 v17, 16, v45
	v_lshrrev_b32_e32 v31, 8, v44
	v_lshrrev_b32_e32 v16, 16, v43
	v_lshrrev_b32_e32 v15, 16, v41
	v_cmp_eq_u32_e64 s[54:55], 1, v28
	v_lshrrev_b32_e32 v29, 8, v40
	v_lshrrev_b32_e32 v14, 16, v39
	;; [unrolled: 1-line block ×3, first 2 shown]
	v_cmp_eq_u32_e64 s[50:51], 1, v27
	v_mbcnt_lo_u32_b32 v26, -1, 0
	s_waitcnt lgkmcnt(0)
	; wave barrier
	s_waitcnt lgkmcnt(0)
	s_cbranch_scc0 .LBB48_217
; %bb.131:
	v_mov_b32_e32 v2, 0
	v_cmp_gt_f16_e64 s[2:3], v58, v1
	v_cndmask_b32_e64 v3, v1, v58, s[2:3]
	v_cmp_eq_u16_sdwa s[2:3], v35, v2 src0_sel:BYTE_0 src1_sel:DWORD
	v_cndmask_b32_e64 v3, v58, v3, s[2:3]
	v_cmp_lt_f16_e64 s[8:9], v3, v24
	v_cndmask_b32_e64 v3, v3, v24, s[8:9]
	v_cmp_eq_u16_sdwa s[76:77], v33, v2 src0_sel:BYTE_0 src1_sel:DWORD
	v_cndmask_b32_e64 v3, v24, v3, s[76:77]
	v_cmp_lt_f16_e64 s[8:9], v3, v56
	;; [unrolled: 4-line block ×3, first 2 shown]
	v_cndmask_b32_e64 v3, v3, v23, s[10:11]
	v_cmp_eq_u16_sdwa s[10:11], v52, v2 src0_sel:BYTE_0 src1_sel:DWORD
	v_and_b32_e32 v4, 1, v33
	v_cndmask_b32_e64 v3, v23, v3, s[10:11]
	v_cmp_eq_u32_e64 s[56:57], 1, v4
	v_and_b32_e32 v4, 1, v34
	v_cmp_lt_f16_e64 s[12:13], v3, v54
	v_cmp_eq_u32_e64 s[58:59], 1, v4
	v_and_b32_e32 v4, 1, v52
	v_cndmask_b32_e64 v3, v3, v54, s[12:13]
	v_cmp_eq_u16_sdwa s[12:13], v49, v2 src0_sel:BYTE_0 src1_sel:DWORD
	s_movk_i32 s7, 0xff
	v_cmp_eq_u32_e64 s[60:61], 1, v4
	v_cndmask_b32_e64 v3, v54, v3, s[12:13]
	v_and_b32_e32 v4, 0x100, v52
	v_cmp_ne_u32_e64 s[62:63], 0, v4
	v_and_b32_sdwa v4, v52, s7 dst_sel:DWORD dst_unused:UNUSED_PAD src0_sel:WORD_1 src1_sel:DWORD
	v_cmp_lt_f16_e64 s[14:15], v3, v22
	v_cndmask_b32_e64 v3, v3, v22, s[14:15]
	v_cmp_eq_u16_e64 s[14:15], 0, v4
	v_cndmask_b32_e64 v3, v22, v3, s[14:15]
	v_cmp_lt_f16_e64 s[16:17], v3, v50
	v_cndmask_b32_e64 v3, v3, v50, s[16:17]
	v_cmp_eq_u16_sdwa s[16:17], v52, v2 src0_sel:BYTE_3 src1_sel:DWORD
	v_cndmask_b32_e64 v3, v50, v3, s[16:17]
	v_cmp_lt_f16_e64 s[18:19], v3, v21
	v_cndmask_b32_e64 v3, v3, v21, s[18:19]
	v_cmp_eq_u16_sdwa s[18:19], v37, v2 src0_sel:BYTE_0 src1_sel:DWORD
	v_cndmask_b32_e64 v3, v21, v3, s[18:19]
	v_cmp_lt_f16_e64 s[20:21], v3, v48
	v_and_b32_e32 v4, 0x10000, v52
	v_cndmask_b32_e64 v3, v3, v48, s[20:21]
	v_cmp_eq_u16_sdwa s[20:21], v47, v2 src0_sel:BYTE_0 src1_sel:DWORD
	v_cmp_ne_u32_e64 s[64:65], 0, v4
	v_and_b32_e32 v4, 0x1000000, v52
	v_cndmask_b32_e64 v3, v48, v3, s[20:21]
	v_cmp_ne_u32_e64 s[66:67], 0, v4
	v_and_b32_e32 v4, 1, v37
	v_cmp_lt_f16_e64 s[22:23], v3, v20
	v_cmp_eq_u32_e64 s[68:69], 1, v4
	v_and_b32_e32 v4, 1, v47
	v_cndmask_b32_e64 v3, v3, v20, s[22:23]
	v_cmp_eq_u16_sdwa s[22:23], v42, v2 src0_sel:BYTE_0 src1_sel:DWORD
	v_cmp_eq_u32_e64 s[70:71], 1, v4
	v_cndmask_b32_e64 v3, v20, v3, s[22:23]
	v_and_b32_e32 v4, 0x100, v47
	v_cmp_ne_u32_e64 s[72:73], 0, v4
	v_and_b32_sdwa v4, v47, s7 dst_sel:DWORD dst_unused:UNUSED_PAD src0_sel:WORD_1 src1_sel:DWORD
	v_cmp_lt_f16_e64 s[24:25], v3, v46
	v_cndmask_b32_e64 v3, v3, v46, s[24:25]
	v_cmp_eq_u16_e64 s[24:25], 0, v4
	v_cndmask_b32_e64 v3, v46, v3, s[24:25]
	v_cmp_lt_f16_e64 s[26:27], v3, v18
	v_cndmask_b32_e64 v3, v3, v18, s[26:27]
	v_cmp_eq_u16_sdwa s[26:27], v47, v2 src0_sel:BYTE_3 src1_sel:DWORD
	v_cndmask_b32_e64 v3, v18, v3, s[26:27]
	v_cmp_lt_f16_e64 s[28:29], v3, v45
	v_cndmask_b32_e64 v3, v3, v45, s[28:29]
	v_cmp_eq_u16_sdwa s[28:29], v38, v2 src0_sel:BYTE_0 src1_sel:DWORD
	v_cndmask_b32_e64 v3, v45, v3, s[28:29]
	v_cmp_lt_f16_e64 s[30:31], v3, v17
	v_cndmask_b32_e64 v3, v3, v17, s[30:31]
	v_cmp_eq_u16_sdwa s[30:31], v44, v2 src0_sel:BYTE_0 src1_sel:DWORD
	v_and_b32_e32 v4, 0x10000, v47
	v_cndmask_b32_e64 v3, v17, v3, s[30:31]
	v_cmp_ne_u32_e64 s[74:75], 0, v4
	v_and_b32_e32 v4, 0x1000000, v47
	v_cmp_lt_f16_e64 s[34:35], v3, v43
	v_cmp_ne_u32_e64 s[78:79], 0, v4
	v_and_b32_e32 v4, 1, v44
	v_cndmask_b32_e64 v3, v3, v43, s[34:35]
	v_cmp_eq_u16_sdwa s[34:35], v31, v2 src0_sel:BYTE_0 src1_sel:DWORD
	v_cmp_eq_u32_e64 s[80:81], 1, v4
	v_cndmask_b32_e64 v3, v43, v3, s[34:35]
	v_and_b32_e32 v4, 0x100, v44
	v_cmp_ne_u32_e64 s[82:83], 0, v4
	v_and_b32_sdwa v4, v44, s7 dst_sel:DWORD dst_unused:UNUSED_PAD src0_sel:WORD_1 src1_sel:DWORD
	v_cmp_lt_f16_e64 s[36:37], v3, v16
	v_cndmask_b32_e64 v3, v3, v16, s[36:37]
	v_cmp_eq_u16_e64 s[36:37], 0, v4
	v_cndmask_b32_e64 v3, v16, v3, s[36:37]
	v_cmp_lt_f16_e64 s[38:39], v3, v41
	v_cndmask_b32_e64 v3, v3, v41, s[38:39]
	v_cmp_eq_u16_sdwa s[38:39], v44, v2 src0_sel:BYTE_3 src1_sel:DWORD
	v_cndmask_b32_e64 v3, v41, v3, s[38:39]
	v_cmp_lt_f16_e64 s[40:41], v3, v15
	v_cndmask_b32_e64 v3, v3, v15, s[40:41]
	v_cmp_eq_u16_sdwa s[40:41], v36, v2 src0_sel:BYTE_0 src1_sel:DWORD
	v_cndmask_b32_e64 v3, v15, v3, s[40:41]
	v_cmp_lt_f16_e64 s[42:43], v3, v39
	v_cndmask_b32_e64 v3, v3, v39, s[42:43]
	v_cmp_eq_u16_sdwa s[42:43], v40, v2 src0_sel:BYTE_0 src1_sel:DWORD
	v_cndmask_b32_e64 v3, v39, v3, s[42:43]
	v_cmp_lt_f16_e64 s[44:45], v3, v14
	v_cndmask_b32_e64 v3, v3, v14, s[44:45]
	v_cmp_eq_u16_sdwa s[44:45], v29, v2 src0_sel:BYTE_0 src1_sel:DWORD
	v_cndmask_b32_e64 v3, v14, v3, s[44:45]
	v_and_b32_sdwa v6, v40, s7 dst_sel:DWORD dst_unused:UNUSED_PAD src0_sel:WORD_1 src1_sel:DWORD
	v_cmp_lt_f16_e64 s[46:47], v3, v32
	v_cndmask_b32_e64 v3, v3, v32, s[46:47]
	v_cmp_eq_u16_e64 s[46:47], 0, v6
	v_cndmask_b32_e64 v3, v32, v3, s[46:47]
	v_cmp_lt_f16_e64 s[48:49], v3, v13
	v_cndmask_b32_e64 v3, v3, v13, s[48:49]
	v_cmp_eq_u16_sdwa s[48:49], v40, v2 src0_sel:BYTE_3 src1_sel:DWORD
	v_cndmask_b32_e64 v3, v13, v3, s[48:49]
	v_and_b32_e32 v7, 0x1000000, v40
	v_cmp_lt_f16_e64 s[88:89], v3, v12
	v_and_b32_e32 v4, 0x10000, v44
	v_and_b32_e32 v6, 0x10000, v40
	v_cndmask_b32_e64 v3, v3, v12, s[88:89]
	v_cmp_ne_u32_e64 s[88:89], 0, v7
	v_cmp_ne_u32_e64 s[84:85], 0, v4
	v_and_b32_e32 v4, 0x1000000, v44
	v_and_b32_e32 v5, 0x100, v40
	s_or_b64 s[88:89], s[50:51], s[88:89]
	v_cmp_ne_u32_e64 s[50:51], 0, v6
	v_cmp_ne_u32_e64 s[86:87], 0, v4
	v_and_b32_e32 v4, 1, v40
	s_or_b64 s[88:89], s[88:89], s[50:51]
	v_cmp_ne_u32_e64 s[50:51], 0, v5
	s_or_b64 s[88:89], s[88:89], s[50:51]
	v_cmp_eq_u32_e64 s[50:51], 1, v4
	s_or_b64 s[88:89], s[88:89], s[50:51]
	s_or_b64 s[54:55], s[88:89], s[54:55]
	;; [unrolled: 1-line block ×18, first 2 shown]
	v_cmp_eq_u16_sdwa s[50:51], v25, v2 src0_sel:BYTE_0 src1_sel:DWORD
	s_or_b64 s[52:53], s[52:53], vcc
	v_cndmask_b32_e64 v2, v12, v3, s[50:51]
	v_cndmask_b32_e64 v3, v19, 1, s[52:53]
	v_mbcnt_hi_u32_b32 v5, -1, v26
	v_and_b32_e32 v8, 0xff, v3
	v_and_b32_e32 v4, 0xffff, v2
	;; [unrolled: 1-line block ×3, first 2 shown]
	v_lshl_or_b32 v4, v8, 16, v4
	v_cmp_ne_u32_e32 vcc, 0, v7
	s_nop 0
	v_mov_b32_dpp v6, v4 row_shr:1 row_mask:0xf bank_mask:0xf
	s_and_saveexec_b64 s[52:53], vcc
; %bb.132:
	v_cmp_gt_f16_e32 vcc, v2, v6
	v_cndmask_b32_e32 v4, v6, v2, vcc
	v_cmp_eq_u16_e32 vcc, 0, v8
	v_cndmask_b32_e32 v2, v2, v4, vcc
	v_and_b32_e32 v3, 1, v3
	v_mov_b32_e32 v4, 1
	v_and_b32_sdwa v4, v6, v4 dst_sel:DWORD dst_unused:UNUSED_PAD src0_sel:WORD_1 src1_sel:DWORD
	v_cmp_eq_u32_e32 vcc, 1, v3
	v_cndmask_b32_e64 v3, v4, 1, vcc
	v_lshlrev_b32_e32 v4, 16, v3
	v_or_b32_sdwa v4, v4, v2 dst_sel:DWORD dst_unused:UNUSED_PAD src0_sel:DWORD src1_sel:WORD_0
; %bb.133:
	s_or_b64 exec, exec, s[52:53]
	v_lshrrev_b32_e32 v6, 16, v4
	v_mov_b32_dpp v8, v4 row_shr:2 row_mask:0xf bank_mask:0xf
	v_cmp_lt_u32_e32 vcc, 1, v7
	s_and_saveexec_b64 s[52:53], vcc
	s_cbranch_execz .LBB48_135
; %bb.134:
	s_mov_b32 s7, 0x10000
	v_cmp_gt_f16_e32 vcc, v2, v8
	v_cndmask_b32_e32 v3, v8, v2, vcc
	v_cmp_gt_u32_e32 vcc, s7, v4
	v_cndmask_b32_e32 v2, v2, v3, vcc
	v_and_b32_e32 v3, 0x10000, v4
	v_mov_b32_e32 v4, 1
	v_and_b32_sdwa v4, v8, v4 dst_sel:DWORD dst_unused:UNUSED_PAD src0_sel:WORD_1 src1_sel:DWORD
	v_cmp_ne_u32_e32 vcc, 0, v3
	v_cndmask_b32_e64 v3, v4, 1, vcc
	v_lshlrev_b32_e32 v4, 16, v3
	v_or_b32_sdwa v4, v4, v2 dst_sel:DWORD dst_unused:UNUSED_PAD src0_sel:DWORD src1_sel:WORD_0
	v_mov_b32_e32 v6, v3
.LBB48_135:
	s_or_b64 exec, exec, s[52:53]
	v_mov_b32_dpp v8, v4 row_shr:4 row_mask:0xf bank_mask:0xf
	v_cmp_lt_u32_e32 vcc, 3, v7
	s_and_saveexec_b64 s[52:53], vcc
	s_load_dwordx8 s[68:75], s[4:5], 0x28
	s_cbranch_execz .LBB48_137
; %bb.136:
	v_cmp_gt_f16_e32 vcc, v2, v8
	v_cndmask_b32_e32 v3, v8, v2, vcc
	v_cmp_eq_u16_e32 vcc, 0, v6
	v_cndmask_b32_e32 v2, v2, v3, vcc
	v_and_b32_e32 v3, 1, v6
	v_mov_b32_e32 v4, 1
	v_and_b32_sdwa v4, v8, v4 dst_sel:DWORD dst_unused:UNUSED_PAD src0_sel:WORD_1 src1_sel:DWORD
	v_cmp_eq_u32_e32 vcc, 1, v3
	v_cndmask_b32_e64 v3, v4, 1, vcc
	v_lshlrev_b32_e32 v4, 16, v3
	v_or_b32_sdwa v4, v4, v2 dst_sel:DWORD dst_unused:UNUSED_PAD src0_sel:DWORD src1_sel:WORD_0
	v_mov_b32_e32 v6, v3
.LBB48_137:
	s_or_b64 exec, exec, s[52:53]
	v_mov_b32_dpp v8, v4 row_shr:8 row_mask:0xf bank_mask:0xf
	v_cmp_lt_u32_e32 vcc, 7, v7
	s_and_saveexec_b64 s[52:53], vcc
	s_cbranch_execz .LBB48_139
; %bb.138:
	v_cmp_gt_f16_e32 vcc, v2, v8
	v_cndmask_b32_e32 v3, v8, v2, vcc
	v_cmp_eq_u16_e32 vcc, 0, v6
	v_cndmask_b32_e32 v2, v2, v3, vcc
	v_and_b32_e32 v3, 1, v6
	v_mov_b32_e32 v4, 1
	v_and_b32_sdwa v4, v8, v4 dst_sel:DWORD dst_unused:UNUSED_PAD src0_sel:WORD_1 src1_sel:DWORD
	v_cmp_eq_u32_e32 vcc, 1, v3
	v_cndmask_b32_e64 v3, v4, 1, vcc
	v_lshlrev_b32_e32 v4, 16, v3
	v_or_b32_sdwa v4, v4, v2 dst_sel:DWORD dst_unused:UNUSED_PAD src0_sel:DWORD src1_sel:WORD_0
	v_mov_b32_e32 v6, v3
.LBB48_139:
	s_or_b64 exec, exec, s[52:53]
	v_and_b32_e32 v8, 16, v5
	v_mov_b32_dpp v7, v4 row_bcast:15 row_mask:0xf bank_mask:0xf
	v_cmp_ne_u32_e32 vcc, 0, v8
	s_and_saveexec_b64 s[52:53], vcc
	s_cbranch_execz .LBB48_141
; %bb.140:
	v_cmp_gt_f16_e32 vcc, v2, v7
	v_cndmask_b32_e32 v3, v7, v2, vcc
	v_cmp_eq_u16_e32 vcc, 0, v6
	v_cndmask_b32_e32 v2, v2, v3, vcc
	v_and_b32_e32 v3, 1, v6
	v_mov_b32_e32 v4, 1
	v_and_b32_sdwa v4, v7, v4 dst_sel:DWORD dst_unused:UNUSED_PAD src0_sel:WORD_1 src1_sel:DWORD
	v_cmp_eq_u32_e32 vcc, 1, v3
	v_cndmask_b32_e64 v3, v4, 1, vcc
	v_lshlrev_b32_e32 v4, 16, v3
	v_or_b32_sdwa v4, v4, v2 dst_sel:DWORD dst_unused:UNUSED_PAD src0_sel:DWORD src1_sel:WORD_0
	v_mov_b32_e32 v6, v3
.LBB48_141:
	s_or_b64 exec, exec, s[52:53]
	v_mov_b32_dpp v4, v4 row_bcast:31 row_mask:0xf bank_mask:0xf
	v_cmp_lt_u32_e32 vcc, 31, v5
	s_and_saveexec_b64 s[52:53], vcc
; %bb.142:
	v_and_b32_e32 v3, 1, v6
	v_mov_b32_e32 v7, 1
	v_and_b32_sdwa v7, v4, v7 dst_sel:DWORD dst_unused:UNUSED_PAD src0_sel:WORD_1 src1_sel:DWORD
	v_cmp_eq_u32_e32 vcc, 1, v3
	v_cndmask_b32_e64 v3, v7, 1, vcc
	v_cmp_gt_f16_e32 vcc, v2, v4
	v_cndmask_b32_e32 v4, v4, v2, vcc
	v_cmp_eq_u16_e32 vcc, 0, v6
	v_cndmask_b32_e32 v2, v2, v4, vcc
; %bb.143:
	s_or_b64 exec, exec, s[52:53]
	v_cmp_eq_u32_e32 vcc, 63, v0
	s_and_saveexec_b64 s[52:53], vcc
	s_cbranch_execz .LBB48_145
; %bb.144:
	v_mov_b32_e32 v4, 0
	ds_write_b16 v4, v2
	ds_write_b8 v4, v3 offset:2
.LBB48_145:
	s_or_b64 exec, exec, s[52:53]
	v_and_b32_e32 v3, 0xff, v3
	v_and_b32_e32 v2, 0xffff, v2
	v_lshl_or_b32 v2, v3, 16, v2
	v_add_u32_e32 v3, -1, v5
	v_and_b32_e32 v4, 64, v5
	v_cmp_lt_i32_e32 vcc, v3, v4
	v_cndmask_b32_e32 v3, v3, v5, vcc
	v_lshlrev_b32_e32 v3, 2, v3
	ds_bpermute_b32 v53, v3, v2
	v_cmp_gt_u32_e32 vcc, 64, v0
	s_waitcnt lgkmcnt(0)
	; wave barrier
	s_waitcnt lgkmcnt(0)
	s_and_saveexec_b64 s[54:55], vcc
	s_cbranch_execz .LBB48_192
; %bb.146:
	v_mov_b32_e32 v9, 0
	ds_read_b32 v2, v9
	s_mov_b32 s59, 0
	v_cmp_eq_u32_e64 s[52:53], 0, v5
	s_and_saveexec_b64 s[56:57], s[52:53]
	s_cbranch_execz .LBB48_148
; %bb.147:
	s_add_i32 s58, s6, 64
	s_lshl_b64 s[58:59], s[58:59], 3
	s_add_u32 s58, s68, s58
	s_addc_u32 s59, s69, s59
	v_mov_b32_e32 v3, 1
	s_waitcnt lgkmcnt(0)
	global_store_dwordx2 v9, v[2:3], s[58:59]
.LBB48_148:
	s_or_b64 exec, exec, s[56:57]
	v_xad_u32 v4, v5, -1, s6
	v_add_u32_e32 v8, 64, v4
	v_lshlrev_b64 v[6:7], 3, v[8:9]
	v_mov_b32_e32 v3, s69
	v_add_co_u32_e32 v10, vcc, s68, v6
	v_addc_co_u32_e32 v11, vcc, v3, v7, vcc
	global_load_dwordx2 v[6:7], v[10:11], off glc
	s_waitcnt vmcnt(0)
	v_cmp_eq_u16_sdwa s[58:59], v7, v9 src0_sel:BYTE_0 src1_sel:DWORD
	s_and_saveexec_b64 s[56:57], s[58:59]
	s_cbranch_execz .LBB48_152
; %bb.149:
	s_mov_b64 s[58:59], 0
	v_mov_b32_e32 v3, 0
.LBB48_150:                             ; =>This Inner Loop Header: Depth=1
	global_load_dwordx2 v[6:7], v[10:11], off glc
	s_waitcnt vmcnt(0)
	v_cmp_ne_u16_sdwa s[60:61], v7, v3 src0_sel:BYTE_0 src1_sel:DWORD
	s_or_b64 s[58:59], s[60:61], s[58:59]
	s_andn2_b64 exec, exec, s[58:59]
	s_cbranch_execnz .LBB48_150
; %bb.151:
	s_or_b64 exec, exec, s[58:59]
.LBB48_152:
	s_or_b64 exec, exec, s[56:57]
	v_mov_b32_e32 v3, 2
	v_cmp_eq_u16_sdwa s[56:57], v7, v3 src0_sel:BYTE_0 src1_sel:DWORD
	v_lshlrev_b64 v[8:9], v5, -1
	v_and_b32_e32 v3, s57, v9
	v_or_b32_e32 v3, 0x80000000, v3
	v_and_b32_e32 v10, s56, v8
	v_ffbl_b32_e32 v3, v3
	v_and_b32_e32 v11, 63, v5
	v_add_u32_e32 v3, 32, v3
	v_ffbl_b32_e32 v10, v10
	v_cmp_ne_u32_e32 vcc, 63, v11
	v_min_u32_e32 v10, v10, v3
	v_addc_co_u32_e32 v3, vcc, 0, v5, vcc
	v_and_b32_e32 v66, 0xffffff, v6
	v_lshlrev_b32_e32 v3, 2, v3
	ds_bpermute_b32 v57, v3, v66
	v_add_u32_e32 v55, 1, v5
	v_lshrrev_b32_e32 v72, 16, v6
	v_cmp_le_u32_e32 vcc, v55, v10
	v_bfe_u32 v67, v6, 16, 8
	s_and_saveexec_b64 s[56:57], vcc
	s_cbranch_execz .LBB48_154
; %bb.153:
	v_and_b32_e32 v59, 0xff0000, v6
	s_waitcnt lgkmcnt(0)
	v_cmp_gt_f16_e32 vcc, v6, v57
	v_cndmask_b32_e32 v60, v57, v6, vcc
	v_cmp_eq_u32_e32 vcc, 0, v59
	v_cndmask_b32_e32 v6, v6, v60, vcc
	v_and_b32_e32 v59, 0x10000, v59
	v_mov_b32_e32 v60, 1
	v_and_b32_sdwa v57, v57, v60 dst_sel:DWORD dst_unused:UNUSED_PAD src0_sel:WORD_1 src1_sel:DWORD
	v_cmp_ne_u32_e32 vcc, 0, v59
	v_cndmask_b32_e64 v72, v57, 1, vcc
	v_lshlrev_b32_e32 v57, 16, v72
	v_or_b32_sdwa v66, v57, v6 dst_sel:DWORD dst_unused:UNUSED_PAD src0_sel:DWORD src1_sel:WORD_0
	v_mov_b32_e32 v67, v72
.LBB48_154:
	s_or_b64 exec, exec, s[56:57]
	v_cmp_gt_u32_e32 vcc, 62, v11
	s_waitcnt lgkmcnt(0)
	v_cndmask_b32_e64 v57, 0, 1, vcc
	v_lshlrev_b32_e32 v57, 1, v57
	v_add_lshl_u32 v57, v57, v5, 2
	ds_bpermute_b32 v60, v57, v66
	v_add_u32_e32 v59, 2, v5
	v_cmp_le_u32_e32 vcc, v59, v10
	s_and_saveexec_b64 s[56:57], vcc
	s_cbranch_execz .LBB48_156
; %bb.155:
	s_waitcnt lgkmcnt(0)
	v_cmp_gt_f16_e32 vcc, v6, v60
	v_cndmask_b32_e32 v61, v60, v6, vcc
	v_cmp_eq_u16_e32 vcc, 0, v67
	v_cndmask_b32_e32 v6, v6, v61, vcc
	v_and_b32_e32 v61, 1, v67
	v_mov_b32_e32 v62, 1
	v_and_b32_sdwa v60, v60, v62 dst_sel:DWORD dst_unused:UNUSED_PAD src0_sel:WORD_1 src1_sel:DWORD
	v_cmp_eq_u32_e32 vcc, 1, v61
	v_cndmask_b32_e64 v72, v60, 1, vcc
	v_lshlrev_b32_e32 v60, 16, v72
	v_or_b32_sdwa v66, v60, v6 dst_sel:DWORD dst_unused:UNUSED_PAD src0_sel:DWORD src1_sel:WORD_0
	v_mov_b32_e32 v67, v72
.LBB48_156:
	s_or_b64 exec, exec, s[56:57]
	v_cmp_gt_u32_e32 vcc, 60, v11
	s_waitcnt lgkmcnt(0)
	v_cndmask_b32_e64 v60, 0, 1, vcc
	v_lshlrev_b32_e32 v60, 2, v60
	v_add_lshl_u32 v60, v60, v5, 2
	ds_bpermute_b32 v62, v60, v66
	v_add_u32_e32 v61, 4, v5
	v_cmp_le_u32_e32 vcc, v61, v10
	s_and_saveexec_b64 s[56:57], vcc
	s_cbranch_execz .LBB48_158
; %bb.157:
	s_waitcnt lgkmcnt(0)
	v_cmp_gt_f16_e32 vcc, v6, v62
	v_cndmask_b32_e32 v63, v62, v6, vcc
	v_cmp_eq_u16_e32 vcc, 0, v67
	v_cndmask_b32_e32 v6, v6, v63, vcc
	v_and_b32_e32 v63, 1, v67
	v_mov_b32_e32 v64, 1
	v_and_b32_sdwa v62, v62, v64 dst_sel:DWORD dst_unused:UNUSED_PAD src0_sel:WORD_1 src1_sel:DWORD
	v_cmp_eq_u32_e32 vcc, 1, v63
	v_cndmask_b32_e64 v72, v62, 1, vcc
	v_lshlrev_b32_e32 v62, 16, v72
	v_or_b32_sdwa v66, v62, v6 dst_sel:DWORD dst_unused:UNUSED_PAD src0_sel:DWORD src1_sel:WORD_0
	v_mov_b32_e32 v67, v72
.LBB48_158:
	;; [unrolled: 26-line block ×3, first 2 shown]
	s_or_b64 exec, exec, s[56:57]
	v_cmp_gt_u32_e32 vcc, 48, v11
	s_waitcnt lgkmcnt(0)
	v_cndmask_b32_e64 v64, 0, 1, vcc
	v_lshlrev_b32_e32 v64, 4, v64
	v_add_lshl_u32 v64, v64, v5, 2
	ds_bpermute_b32 v68, v64, v66
	v_add_u32_e32 v65, 16, v5
	v_cmp_le_u32_e32 vcc, v65, v10
	s_and_saveexec_b64 s[56:57], vcc
	s_xor_b64 s[56:57], exec, s[56:57]
	s_cbranch_execz .LBB48_162
; %bb.161:
	s_waitcnt lgkmcnt(0)
	v_cmp_gt_f16_e32 vcc, v6, v68
	v_cndmask_b32_e32 v66, v68, v6, vcc
	v_cmp_eq_u16_e32 vcc, 0, v67
	v_cndmask_b32_e32 v6, v6, v66, vcc
	v_and_b32_e32 v66, 1, v67
	v_mov_b32_e32 v67, 1
	v_and_b32_sdwa v67, v68, v67 dst_sel:DWORD dst_unused:UNUSED_PAD src0_sel:WORD_1 src1_sel:DWORD
	v_cmp_eq_u32_e32 vcc, 1, v66
	v_cndmask_b32_e64 v72, v67, 1, vcc
	v_lshlrev_b32_e32 v66, 16, v72
	v_or_b32_sdwa v66, v66, v6 dst_sel:DWORD dst_unused:UNUSED_PAD src0_sel:DWORD src1_sel:WORD_0
                                        ; implicit-def: $vgpr67
.LBB48_162:
	s_or_saveexec_b64 s[56:57], s[56:57]
	v_mov_b32_e32 v69, v72
	s_xor_b64 exec, exec, s[56:57]
; %bb.163:
	v_mov_b32_e32 v69, v67
; %bb.164:
	s_or_b64 exec, exec, s[56:57]
	v_cmp_gt_u32_e32 vcc, 32, v11
	v_cndmask_b32_e64 v11, 0, 1, vcc
	v_lshlrev_b32_e32 v11, 5, v11
	v_add_lshl_u32 v67, v11, v5, 2
	ds_bpermute_b32 v11, v67, v66
	s_waitcnt lgkmcnt(1)
	v_add_u32_e32 v68, 32, v5
	v_cmp_le_u32_e32 vcc, v68, v10
	s_and_saveexec_b64 s[56:57], vcc
	s_cbranch_execz .LBB48_166
; %bb.165:
	s_waitcnt lgkmcnt(0)
	v_cmp_gt_f16_e32 vcc, v6, v11
	v_and_b32_e32 v66, 1, v69
	v_mov_b32_e32 v70, 1
	v_mov_b32_e32 v5, 0
	v_cndmask_b32_e32 v10, v11, v6, vcc
	v_and_b32_sdwa v11, v11, v70 dst_sel:DWORD dst_unused:UNUSED_PAD src0_sel:WORD_1 src1_sel:DWORD
	v_cmp_eq_u32_e32 vcc, 1, v66
	v_cndmask_b32_e64 v72, v11, 1, vcc
	v_cmp_eq_u16_sdwa vcc, v69, v5 src0_sel:BYTE_0 src1_sel:DWORD
	v_cndmask_b32_e32 v6, v6, v10, vcc
.LBB48_166:
	s_or_b64 exec, exec, s[56:57]
	v_mov_b32_e32 v5, 0
	v_mov_b32_e32 v70, 2
	;; [unrolled: 1-line block ×3, first 2 shown]
	s_branch .LBB48_168
.LBB48_167:                             ;   in Loop: Header=BB48_168 Depth=1
	s_or_b64 exec, exec, s[56:57]
	v_cmp_gt_f16_e32 vcc, v69, v6
	v_cndmask_b32_e32 v6, v6, v69, vcc
	v_cmp_eq_u16_sdwa vcc, v66, v5 src0_sel:BYTE_0 src1_sel:DWORD
	v_and_b32_e32 v10, 1, v66
	v_cndmask_b32_e32 v6, v69, v6, vcc
	v_and_b32_e32 v11, 1, v11
	v_cmp_eq_u32_e32 vcc, 1, v10
	v_subrev_u32_e32 v4, 64, v4
	s_waitcnt lgkmcnt(0)
	v_cndmask_b32_e64 v72, v11, 1, vcc
.LBB48_168:                             ; =>This Loop Header: Depth=1
                                        ;     Child Loop BB48_171 Depth 2
	v_cmp_ne_u16_sdwa s[56:57], v7, v70 src0_sel:BYTE_0 src1_sel:DWORD
	v_cndmask_b32_e64 v7, 0, 1, s[56:57]
	;;#ASMSTART
	;;#ASMEND
	v_cmp_ne_u32_e32 vcc, 0, v7
	v_mov_b32_e32 v66, v72
	s_cmp_lg_u64 vcc, exec
	v_mov_b32_e32 v69, v6
	s_cbranch_scc1 .LBB48_187
; %bb.169:                              ;   in Loop: Header=BB48_168 Depth=1
	v_lshlrev_b64 v[6:7], 3, v[4:5]
	s_waitcnt lgkmcnt(0)
	v_mov_b32_e32 v11, s69
	v_add_co_u32_e32 v10, vcc, s68, v6
	v_addc_co_u32_e32 v11, vcc, v11, v7, vcc
	global_load_dwordx2 v[6:7], v[10:11], off glc
	s_waitcnt vmcnt(0)
	v_cmp_eq_u16_sdwa s[58:59], v7, v5 src0_sel:BYTE_0 src1_sel:DWORD
	s_and_saveexec_b64 s[56:57], s[58:59]
	s_cbranch_execz .LBB48_173
; %bb.170:                              ;   in Loop: Header=BB48_168 Depth=1
	s_mov_b64 s[58:59], 0
.LBB48_171:                             ;   Parent Loop BB48_168 Depth=1
                                        ; =>  This Inner Loop Header: Depth=2
	global_load_dwordx2 v[6:7], v[10:11], off glc
	s_waitcnt vmcnt(0)
	v_cmp_ne_u16_sdwa s[60:61], v7, v5 src0_sel:BYTE_0 src1_sel:DWORD
	s_or_b64 s[58:59], s[60:61], s[58:59]
	s_andn2_b64 exec, exec, s[58:59]
	s_cbranch_execnz .LBB48_171
; %bb.172:                              ;   in Loop: Header=BB48_168 Depth=1
	s_or_b64 exec, exec, s[58:59]
.LBB48_173:                             ;   in Loop: Header=BB48_168 Depth=1
	s_or_b64 exec, exec, s[56:57]
	v_cmp_eq_u16_sdwa s[56:57], v7, v70 src0_sel:BYTE_0 src1_sel:DWORD
	v_and_b32_e32 v10, s57, v9
	v_and_b32_e32 v72, 0xffffff, v6
	v_or_b32_e32 v10, 0x80000000, v10
	ds_bpermute_b32 v74, v3, v72
	v_and_b32_e32 v11, s56, v8
	v_ffbl_b32_e32 v10, v10
	v_add_u32_e32 v10, 32, v10
	v_ffbl_b32_e32 v11, v11
	v_min_u32_e32 v10, v11, v10
	v_lshrrev_b32_e32 v11, 16, v6
	v_cmp_le_u32_e32 vcc, v55, v10
	v_bfe_u32 v73, v6, 16, 8
	s_and_saveexec_b64 s[56:57], vcc
	s_cbranch_execz .LBB48_175
; %bb.174:                              ;   in Loop: Header=BB48_168 Depth=1
	v_and_b32_e32 v11, 0xff0000, v6
	s_waitcnt lgkmcnt(0)
	v_cmp_gt_f16_e32 vcc, v6, v74
	v_cndmask_b32_e32 v72, v74, v6, vcc
	v_cmp_eq_u32_e32 vcc, 0, v11
	v_and_b32_e32 v11, 0x10000, v11
	v_cndmask_b32_e32 v6, v6, v72, vcc
	v_and_b32_sdwa v72, v74, v71 dst_sel:DWORD dst_unused:UNUSED_PAD src0_sel:WORD_1 src1_sel:DWORD
	v_cmp_ne_u32_e32 vcc, 0, v11
	v_cndmask_b32_e64 v11, v72, 1, vcc
	v_lshlrev_b32_e32 v72, 16, v11
	v_or_b32_sdwa v72, v72, v6 dst_sel:DWORD dst_unused:UNUSED_PAD src0_sel:DWORD src1_sel:WORD_0
	v_mov_b32_e32 v73, v11
.LBB48_175:                             ;   in Loop: Header=BB48_168 Depth=1
	s_or_b64 exec, exec, s[56:57]
	s_waitcnt lgkmcnt(0)
	ds_bpermute_b32 v74, v57, v72
	v_cmp_le_u32_e32 vcc, v59, v10
	s_and_saveexec_b64 s[56:57], vcc
	s_cbranch_execz .LBB48_177
; %bb.176:                              ;   in Loop: Header=BB48_168 Depth=1
	s_waitcnt lgkmcnt(0)
	v_cmp_gt_f16_e32 vcc, v6, v74
	v_cndmask_b32_e32 v11, v74, v6, vcc
	v_cmp_eq_u16_e32 vcc, 0, v73
	v_cndmask_b32_e32 v6, v6, v11, vcc
	v_and_b32_e32 v11, 1, v73
	v_and_b32_sdwa v72, v74, v71 dst_sel:DWORD dst_unused:UNUSED_PAD src0_sel:WORD_1 src1_sel:DWORD
	v_cmp_eq_u32_e32 vcc, 1, v11
	v_cndmask_b32_e64 v11, v72, 1, vcc
	v_lshlrev_b32_e32 v72, 16, v11
	v_or_b32_sdwa v72, v72, v6 dst_sel:DWORD dst_unused:UNUSED_PAD src0_sel:DWORD src1_sel:WORD_0
	v_mov_b32_e32 v73, v11
.LBB48_177:                             ;   in Loop: Header=BB48_168 Depth=1
	s_or_b64 exec, exec, s[56:57]
	s_waitcnt lgkmcnt(0)
	ds_bpermute_b32 v74, v60, v72
	v_cmp_le_u32_e32 vcc, v61, v10
	s_and_saveexec_b64 s[56:57], vcc
	s_cbranch_execz .LBB48_179
; %bb.178:                              ;   in Loop: Header=BB48_168 Depth=1
	s_waitcnt lgkmcnt(0)
	v_cmp_gt_f16_e32 vcc, v6, v74
	v_cndmask_b32_e32 v11, v74, v6, vcc
	v_cmp_eq_u16_e32 vcc, 0, v73
	v_cndmask_b32_e32 v6, v6, v11, vcc
	v_and_b32_e32 v11, 1, v73
	v_and_b32_sdwa v72, v74, v71 dst_sel:DWORD dst_unused:UNUSED_PAD src0_sel:WORD_1 src1_sel:DWORD
	v_cmp_eq_u32_e32 vcc, 1, v11
	v_cndmask_b32_e64 v11, v72, 1, vcc
	v_lshlrev_b32_e32 v72, 16, v11
	v_or_b32_sdwa v72, v72, v6 dst_sel:DWORD dst_unused:UNUSED_PAD src0_sel:DWORD src1_sel:WORD_0
	v_mov_b32_e32 v73, v11
.LBB48_179:                             ;   in Loop: Header=BB48_168 Depth=1
	;; [unrolled: 20-line block ×3, first 2 shown]
	s_or_b64 exec, exec, s[56:57]
	s_waitcnt lgkmcnt(0)
	ds_bpermute_b32 v74, v64, v72
	v_cmp_le_u32_e32 vcc, v65, v10
	s_and_saveexec_b64 s[56:57], vcc
	s_xor_b64 s[56:57], exec, s[56:57]
	s_cbranch_execz .LBB48_183
; %bb.182:                              ;   in Loop: Header=BB48_168 Depth=1
	s_waitcnt lgkmcnt(0)
	v_cmp_gt_f16_e32 vcc, v6, v74
	v_cndmask_b32_e32 v11, v74, v6, vcc
	v_cmp_eq_u16_e32 vcc, 0, v73
	v_cndmask_b32_e32 v6, v6, v11, vcc
	v_and_b32_e32 v11, 1, v73
	v_and_b32_sdwa v72, v74, v71 dst_sel:DWORD dst_unused:UNUSED_PAD src0_sel:WORD_1 src1_sel:DWORD
	v_cmp_eq_u32_e32 vcc, 1, v11
	v_cndmask_b32_e64 v11, v72, 1, vcc
	v_lshlrev_b32_e32 v72, 16, v11
	v_or_b32_sdwa v72, v72, v6 dst_sel:DWORD dst_unused:UNUSED_PAD src0_sel:DWORD src1_sel:WORD_0
                                        ; implicit-def: $vgpr73
.LBB48_183:                             ;   in Loop: Header=BB48_168 Depth=1
	s_or_saveexec_b64 s[56:57], s[56:57]
	s_waitcnt lgkmcnt(0)
	v_mov_b32_e32 v74, v11
	s_xor_b64 exec, exec, s[56:57]
; %bb.184:                              ;   in Loop: Header=BB48_168 Depth=1
	v_mov_b32_e32 v74, v73
; %bb.185:                              ;   in Loop: Header=BB48_168 Depth=1
	s_or_b64 exec, exec, s[56:57]
	ds_bpermute_b32 v72, v67, v72
	v_cmp_le_u32_e32 vcc, v68, v10
	s_and_saveexec_b64 s[56:57], vcc
	s_cbranch_execz .LBB48_167
; %bb.186:                              ;   in Loop: Header=BB48_168 Depth=1
	s_waitcnt lgkmcnt(0)
	v_cmp_gt_f16_e32 vcc, v6, v72
	v_and_b32_e32 v11, 1, v74
	v_cndmask_b32_e32 v10, v72, v6, vcc
	v_lshrrev_b32_e32 v72, 16, v72
	v_cmp_eq_u32_e32 vcc, 1, v11
	v_cndmask_b32_e64 v11, v72, 1, vcc
	v_cmp_eq_u16_sdwa vcc, v74, v5 src0_sel:BYTE_0 src1_sel:DWORD
	v_cndmask_b32_e32 v6, v6, v10, vcc
	s_branch .LBB48_167
.LBB48_187:                             ;   in Loop: Header=BB48_168 Depth=1
                                        ; implicit-def: $vgpr72
                                        ; implicit-def: $vgpr6
	s_cbranch_execz .LBB48_168
; %bb.188:
	s_and_saveexec_b64 s[56:57], s[52:53]
	s_cbranch_execz .LBB48_190
; %bb.189:
	v_and_b32_e32 v3, 0xff0000, v2
	v_cmp_lt_f16_e32 vcc, v69, v2
	v_cndmask_b32_e32 v4, v69, v2, vcc
	v_cmp_eq_u32_e32 vcc, 0, v3
	s_mov_b32 s7, 0
	v_cndmask_b32_e32 v3, v2, v4, vcc
	v_and_b32_e32 v2, 0x10000, v2
	v_mov_b32_e32 v4, 1
	s_add_i32 s6, s6, 64
	v_and_b32_sdwa v4, v66, v4 dst_sel:WORD_1 dst_unused:UNUSED_PAD src0_sel:DWORD src1_sel:DWORD
	v_mov_b32_e32 v5, 0x10000
	v_cmp_eq_u32_e32 vcc, 0, v2
	s_lshl_b64 s[6:7], s[6:7], 3
	v_cndmask_b32_e32 v2, v5, v4, vcc
	s_add_u32 s6, s68, s6
	s_addc_u32 s7, s69, s7
	v_mov_b32_e32 v4, 0
	v_or_b32_sdwa v2, v2, v3 dst_sel:DWORD dst_unused:UNUSED_PAD src0_sel:DWORD src1_sel:WORD_0
	v_mov_b32_e32 v3, 2
	global_store_dwordx2 v4, v[2:3], s[6:7]
.LBB48_190:
	s_or_b64 exec, exec, s[56:57]
	v_cmp_eq_u32_e32 vcc, 0, v0
	s_and_b64 exec, exec, vcc
	s_cbranch_execz .LBB48_192
; %bb.191:
	v_mov_b32_e32 v2, 0
	ds_write_b16 v2, v69
	ds_write_b8 v2, v66 offset:2
.LBB48_192:
	s_or_b64 exec, exec, s[54:55]
	v_mov_b32_e32 v2, 0
	s_waitcnt lgkmcnt(0)
	; wave barrier
	s_waitcnt lgkmcnt(0)
	ds_read_u16 v3, v2
	v_cmp_ne_u32_e32 vcc, 0, v0
	v_mov_b32_e32 v4, v1
	v_mov_b32_e32 v5, v19
	s_and_saveexec_b64 s[6:7], vcc
; %bb.193:
	v_cmp_gt_f16_e32 vcc, v1, v53
	v_cndmask_b32_e32 v4, v53, v1, vcc
	v_cmp_eq_u16_sdwa vcc, v19, v2 src0_sel:BYTE_0 src1_sel:DWORD
	v_and_b32_e32 v5, 1, v19
	v_mov_b32_e32 v6, 1
	v_cndmask_b32_e32 v4, v1, v4, vcc
	v_and_b32_sdwa v6, v53, v6 dst_sel:DWORD dst_unused:UNUSED_PAD src0_sel:WORD_1 src1_sel:DWORD
	v_cmp_eq_u32_e32 vcc, 1, v5
	v_cndmask_b32_e64 v5, v6, 1, vcc
; %bb.194:
	s_or_b64 exec, exec, s[6:7]
	s_waitcnt lgkmcnt(0)
	v_cmp_lt_f16_e32 vcc, v3, v4
	v_cndmask_b32_e32 v3, v3, v4, vcc
	v_cmp_eq_u16_sdwa vcc, v5, v2 src0_sel:BYTE_0 src1_sel:DWORD
	v_cndmask_b32_e32 v5, v4, v3, vcc
	v_cmp_gt_f16_e32 vcc, v58, v5
	v_cndmask_b32_e32 v2, v5, v58, vcc
	v_cndmask_b32_e64 v4, v58, v2, s[2:3]
	v_cmp_lt_f16_e32 vcc, v4, v24
	v_cndmask_b32_e32 v2, v4, v24, vcc
	v_cndmask_b32_e64 v6, v24, v2, s[76:77]
	v_cmp_lt_f16_e32 vcc, v6, v56
	;; [unrolled: 3-line block ×22, first 2 shown]
	v_cndmask_b32_e32 v2, v70, v12, vcc
	v_cndmask_b32_e64 v71, v12, v2, s[50:51]
	s_branch .LBB48_239
.LBB48_195:
	s_or_b64 exec, exec, s[60:61]
                                        ; implicit-def: $vgpr18
	s_and_saveexec_b64 s[2:3], s[54:55]
	s_cbranch_execz .LBB48_53
.LBB48_196:
	global_load_ushort v18, v[2:3], off offset:128
	s_or_b64 exec, exec, s[2:3]
                                        ; implicit-def: $vgpr19
	s_and_saveexec_b64 s[2:3], s[8:9]
	s_cbranch_execnz .LBB48_54
.LBB48_197:
	s_or_b64 exec, exec, s[2:3]
                                        ; implicit-def: $vgpr32
	s_and_saveexec_b64 s[2:3], s[10:11]
	s_cbranch_execz .LBB48_55
.LBB48_198:
	global_load_ushort v32, v[2:3], off offset:384
	s_or_b64 exec, exec, s[2:3]
                                        ; implicit-def: $vgpr33
	s_and_saveexec_b64 s[2:3], s[12:13]
	s_cbranch_execnz .LBB48_56
.LBB48_199:
	s_or_b64 exec, exec, s[2:3]
                                        ; implicit-def: $vgpr34
	s_and_saveexec_b64 s[2:3], s[14:15]
	s_cbranch_execz .LBB48_57
.LBB48_200:
	global_load_ushort v34, v[2:3], off offset:640
	s_or_b64 exec, exec, s[2:3]
                                        ; implicit-def: $vgpr35
	s_and_saveexec_b64 s[2:3], s[16:17]
	s_cbranch_execnz .LBB48_58
.LBB48_201:
	s_or_b64 exec, exec, s[2:3]
                                        ; implicit-def: $vgpr36
	s_and_saveexec_b64 s[2:3], s[18:19]
	s_cbranch_execz .LBB48_59
.LBB48_202:
	global_load_ushort v36, v[2:3], off offset:896
	s_or_b64 exec, exec, s[2:3]
                                        ; implicit-def: $vgpr37
	s_and_saveexec_b64 s[2:3], s[20:21]
	s_cbranch_execnz .LBB48_60
.LBB48_203:
	s_or_b64 exec, exec, s[2:3]
                                        ; implicit-def: $vgpr38
	s_and_saveexec_b64 s[2:3], s[22:23]
	s_cbranch_execz .LBB48_61
.LBB48_204:
	global_load_ushort v38, v[2:3], off offset:1152
	s_or_b64 exec, exec, s[2:3]
                                        ; implicit-def: $vgpr39
	s_and_saveexec_b64 s[2:3], s[24:25]
	s_cbranch_execnz .LBB48_62
.LBB48_205:
	s_or_b64 exec, exec, s[2:3]
                                        ; implicit-def: $vgpr40
	s_and_saveexec_b64 s[2:3], s[26:27]
	s_cbranch_execz .LBB48_63
.LBB48_206:
	global_load_ushort v40, v[2:3], off offset:1408
	s_or_b64 exec, exec, s[2:3]
                                        ; implicit-def: $vgpr41
	s_and_saveexec_b64 s[2:3], s[28:29]
	s_cbranch_execnz .LBB48_64
.LBB48_207:
	s_or_b64 exec, exec, s[2:3]
                                        ; implicit-def: $vgpr43
	s_and_saveexec_b64 s[2:3], s[30:31]
	s_cbranch_execz .LBB48_65
.LBB48_208:
	global_load_ushort v43, v[2:3], off offset:1664
	s_or_b64 exec, exec, s[2:3]
                                        ; implicit-def: $vgpr44
	s_and_saveexec_b64 s[2:3], s[34:35]
	s_cbranch_execnz .LBB48_66
.LBB48_209:
	s_or_b64 exec, exec, s[2:3]
                                        ; implicit-def: $vgpr45
	s_and_saveexec_b64 s[2:3], s[36:37]
	s_cbranch_execz .LBB48_67
.LBB48_210:
	global_load_ushort v45, v[2:3], off offset:1920
	s_or_b64 exec, exec, s[2:3]
                                        ; implicit-def: $vgpr46
	s_and_saveexec_b64 s[2:3], s[38:39]
	s_cbranch_execnz .LBB48_68
.LBB48_211:
	s_or_b64 exec, exec, s[2:3]
                                        ; implicit-def: $vgpr47
	s_and_saveexec_b64 s[2:3], s[40:41]
	s_cbranch_execz .LBB48_69
.LBB48_212:
	global_load_ushort v47, v[2:3], off offset:2176
	s_or_b64 exec, exec, s[2:3]
                                        ; implicit-def: $vgpr48
	s_and_saveexec_b64 s[2:3], s[42:43]
	s_cbranch_execnz .LBB48_70
.LBB48_213:
	s_or_b64 exec, exec, s[2:3]
                                        ; implicit-def: $vgpr49
	s_and_saveexec_b64 s[2:3], s[44:45]
	s_cbranch_execz .LBB48_71
.LBB48_214:
	global_load_ushort v49, v[2:3], off offset:2432
	s_or_b64 exec, exec, s[2:3]
                                        ; implicit-def: $vgpr50
	s_and_saveexec_b64 s[2:3], s[46:47]
	s_cbranch_execnz .LBB48_72
.LBB48_215:
	s_or_b64 exec, exec, s[2:3]
                                        ; implicit-def: $vgpr51
	s_and_saveexec_b64 s[2:3], s[48:49]
	s_cbranch_execz .LBB48_73
.LBB48_216:
	global_load_ushort v51, v[2:3], off offset:2688
	s_or_b64 exec, exec, s[2:3]
                                        ; implicit-def: $vgpr52
	s_and_saveexec_b64 s[2:3], s[50:51]
	s_cbranch_execz .LBB48_75
	s_branch .LBB48_74
.LBB48_217:
                                        ; implicit-def: $vgpr71
                                        ; implicit-def: $vgpr70
                                        ; implicit-def: $vgpr5
                                        ; implicit-def: $vgpr69
                                        ; implicit-def: $vgpr68
                                        ; implicit-def: $vgpr4
                                        ; implicit-def: $vgpr67
                                        ; implicit-def: $vgpr66
                                        ; implicit-def: $vgpr6
                                        ; implicit-def: $vgpr64
                                        ; implicit-def: $vgpr62
                                        ; implicit-def: $vgpr7
                                        ; implicit-def: $vgpr65
                                        ; implicit-def: $vgpr63
                                        ; implicit-def: $vgpr8
                                        ; implicit-def: $vgpr61
                                        ; implicit-def: $vgpr60
                                        ; implicit-def: $vgpr9
                                        ; implicit-def: $vgpr59
                                        ; implicit-def: $vgpr57
                                        ; implicit-def: $vgpr10
                                        ; implicit-def: $vgpr53
                                        ; implicit-def: $vgpr11
                                        ; implicit-def: $vgpr55
	s_cbranch_execz .LBB48_239
; %bb.218:
	s_cmp_lg_u64 s[92:93], 0
	s_cselect_b64 s[2:3], -1, 0
	v_cmp_eq_u32_e32 vcc, 0, v0
	s_and_b64 s[2:3], vcc, s[2:3]
	s_and_saveexec_b64 s[6:7], s[2:3]
	s_cbranch_execz .LBB48_222
; %bb.219:
	v_mov_b32_e32 v3, 0
	global_load_ubyte v2, v3, s[92:93] offset:2
	v_cmp_eq_u16_sdwa s[2:3], v19, v3 src0_sel:BYTE_0 src1_sel:DWORD
	s_and_saveexec_b64 s[8:9], s[2:3]
	s_cbranch_execz .LBB48_221
; %bb.220:
	global_load_ushort v3, v3, s[92:93]
	s_waitcnt vmcnt(0)
	v_cmp_lt_f16_e64 s[2:3], v3, v1
	v_cndmask_b32_e64 v1, v3, v1, s[2:3]
.LBB48_221:
	s_or_b64 exec, exec, s[8:9]
	v_and_b32_e32 v3, 1, v19
	s_waitcnt vmcnt(0)
	v_and_b32_e32 v2, 1, v2
	v_cmp_eq_u32_e64 s[2:3], 1, v3
	v_cndmask_b32_e64 v19, v2, 1, s[2:3]
.LBB48_222:
	s_or_b64 exec, exec, s[6:7]
	v_mov_b32_e32 v2, 0
	v_cmp_gt_f16_e64 s[2:3], v58, v1
	v_cndmask_b32_e64 v3, v1, v58, s[2:3]
	v_cmp_eq_u16_sdwa s[2:3], v35, v2 src0_sel:BYTE_0 src1_sel:DWORD
	v_cndmask_b32_e64 v3, v58, v3, s[2:3]
	v_cmp_lt_f16_e64 s[6:7], v3, v24
	v_cndmask_b32_e64 v3, v3, v24, s[6:7]
	v_cmp_eq_u16_sdwa s[6:7], v33, v2 src0_sel:BYTE_0 src1_sel:DWORD
	v_cndmask_b32_e64 v3, v24, v3, s[6:7]
	v_cmp_lt_f16_e64 s[8:9], v3, v56
	;; [unrolled: 4-line block ×4, first 2 shown]
	v_cndmask_b32_e64 v3, v3, v54, s[12:13]
	v_cmp_eq_u16_sdwa s[12:13], v49, v2 src0_sel:BYTE_0 src1_sel:DWORD
	s_movk_i32 s48, 0xff
	v_cndmask_b32_e64 v3, v54, v3, s[12:13]
	v_and_b32_sdwa v4, v52, s48 dst_sel:DWORD dst_unused:UNUSED_PAD src0_sel:WORD_1 src1_sel:DWORD
	v_cmp_lt_f16_e64 s[14:15], v3, v22
	v_cndmask_b32_e64 v3, v3, v22, s[14:15]
	v_cmp_eq_u16_e64 s[14:15], 0, v4
	v_cndmask_b32_e64 v3, v22, v3, s[14:15]
	v_cmp_lt_f16_e64 s[16:17], v3, v50
	v_cndmask_b32_e64 v3, v3, v50, s[16:17]
	v_cmp_eq_u16_sdwa s[16:17], v52, v2 src0_sel:BYTE_3 src1_sel:DWORD
	v_cndmask_b32_e64 v3, v50, v3, s[16:17]
	v_cmp_lt_f16_e64 s[18:19], v3, v21
	v_cndmask_b32_e64 v3, v3, v21, s[18:19]
	v_cmp_eq_u16_sdwa s[18:19], v37, v2 src0_sel:BYTE_0 src1_sel:DWORD
	v_cndmask_b32_e64 v3, v21, v3, s[18:19]
	v_cmp_lt_f16_e64 s[20:21], v3, v48
	v_cndmask_b32_e64 v3, v3, v48, s[20:21]
	v_cmp_eq_u16_sdwa s[20:21], v47, v2 src0_sel:BYTE_0 src1_sel:DWORD
	v_cndmask_b32_e64 v3, v48, v3, s[20:21]
	v_cmp_lt_f16_e64 s[22:23], v3, v20
	v_cndmask_b32_e64 v3, v3, v20, s[22:23]
	v_cmp_eq_u16_sdwa s[22:23], v42, v2 src0_sel:BYTE_0 src1_sel:DWORD
	v_cndmask_b32_e64 v3, v20, v3, s[22:23]
	v_and_b32_sdwa v4, v47, s48 dst_sel:DWORD dst_unused:UNUSED_PAD src0_sel:WORD_1 src1_sel:DWORD
	v_cmp_lt_f16_e64 s[24:25], v3, v46
	v_cndmask_b32_e64 v3, v3, v46, s[24:25]
	v_cmp_eq_u16_e64 s[24:25], 0, v4
	v_cndmask_b32_e64 v3, v46, v3, s[24:25]
	v_cmp_lt_f16_e64 s[26:27], v3, v18
	v_cndmask_b32_e64 v3, v3, v18, s[26:27]
	v_cmp_eq_u16_sdwa s[26:27], v47, v2 src0_sel:BYTE_3 src1_sel:DWORD
	v_cndmask_b32_e64 v3, v18, v3, s[26:27]
	v_cmp_lt_f16_e64 s[28:29], v3, v45
	v_cndmask_b32_e64 v3, v3, v45, s[28:29]
	v_cmp_eq_u16_sdwa s[28:29], v38, v2 src0_sel:BYTE_0 src1_sel:DWORD
	v_cndmask_b32_e64 v3, v45, v3, s[28:29]
	v_cmp_lt_f16_e64 s[30:31], v3, v17
	v_cndmask_b32_e64 v3, v3, v17, s[30:31]
	v_cmp_eq_u16_sdwa s[34:35], v44, v2 src0_sel:BYTE_0 src1_sel:DWORD
	v_cndmask_b32_e64 v3, v17, v3, s[34:35]
	v_cmp_lt_f16_e64 s[30:31], v3, v43
	v_cndmask_b32_e64 v3, v3, v43, s[30:31]
	v_cmp_eq_u16_sdwa s[36:37], v31, v2 src0_sel:BYTE_0 src1_sel:DWORD
	;; [unrolled: 21-line block ×3, first 2 shown]
	v_cndmask_b32_e64 v3, v14, v3, s[46:47]
	v_and_b32_sdwa v4, v40, s48 dst_sel:DWORD dst_unused:UNUSED_PAD src0_sel:WORD_1 src1_sel:DWORD
	v_cmp_lt_f16_e64 s[30:31], v3, v32
	v_cndmask_b32_e64 v3, v3, v32, s[30:31]
	v_cmp_eq_u16_e64 s[48:49], 0, v4
	v_cndmask_b32_e64 v3, v32, v3, s[48:49]
	v_cmp_lt_f16_e64 s[30:31], v3, v13
	v_cndmask_b32_e64 v3, v3, v13, s[30:31]
	v_cmp_eq_u16_sdwa s[50:51], v40, v2 src0_sel:BYTE_3 src1_sel:DWORD
	v_cndmask_b32_e64 v3, v13, v3, s[50:51]
	v_cmp_lt_f16_e64 s[30:31], v3, v12
	v_cndmask_b32_e64 v3, v3, v12, s[30:31]
	v_cmp_eq_u16_sdwa s[30:31], v25, v2 src0_sel:BYTE_0 src1_sel:DWORD
	v_cndmask_b32_e64 v2, v12, v3, s[30:31]
	v_or_b32_e32 v3, v40, v44
	v_or3_b32 v3, v3, v47, v52
	v_lshrrev_b16_e32 v5, 7, v3
	v_and_b32_e32 v4, 1, v3
	v_and_b32_e32 v5, 2, v5
	v_or_b32_e32 v4, v4, v5
	v_lshrrev_b32_e32 v5, 23, v3
	v_mov_b32_e32 v6, 1
	v_and_b32_e32 v5, 2, v5
	v_and_b32_sdwa v3, v3, v6 dst_sel:DWORD dst_unused:UNUSED_PAD src0_sel:WORD_1 src1_sel:DWORD
	v_or_b32_e32 v3, v3, v5
	v_lshlrev_b16_e32 v3, 2, v3
	v_or_b32_e32 v3, v4, v3
	v_cmp_eq_u32_e64 s[58:59], 1, v27
	v_cmp_ne_u16_e64 s[60:61], 0, v3
	v_or_b32_e32 v3, v37, v34
	v_cmp_eq_u32_e64 s[56:57], 1, v28
	s_or_b64 s[58:59], s[60:61], s[58:59]
	v_or_b32_e32 v3, v3, v33
	v_cmp_eq_u32_e64 s[54:55], 1, v30
	s_or_b64 s[56:57], s[58:59], s[56:57]
	v_and_b32_e32 v3, 1, v3
	s_or_b64 s[56:57], s[56:57], s[54:55]
	v_cmp_eq_u32_e64 s[54:55], 1, v3
	v_cmp_eq_u32_e64 s[52:53], 1, v51
	s_or_b64 s[54:55], s[56:57], s[54:55]
	s_or_b64 s[52:53], s[54:55], s[52:53]
	v_cndmask_b32_e64 v4, v19, 1, s[52:53]
	v_mbcnt_hi_u32_b32 v3, -1, v26
	v_and_b32_e32 v9, 0xff, v4
	v_and_b32_e32 v5, 0xffff, v2
	;; [unrolled: 1-line block ×3, first 2 shown]
	v_lshl_or_b32 v5, v9, 16, v5
	v_cmp_ne_u32_e64 s[52:53], 0, v7
	s_nop 0
	v_mov_b32_dpp v8, v5 row_shr:1 row_mask:0xf bank_mask:0xf
	s_and_saveexec_b64 s[54:55], s[52:53]
; %bb.223:
	v_cmp_gt_f16_e64 s[52:53], v2, v8
	v_cndmask_b32_e64 v5, v8, v2, s[52:53]
	v_cmp_eq_u16_e64 s[52:53], 0, v9
	v_and_b32_e32 v4, 1, v4
	v_cndmask_b32_e64 v2, v2, v5, s[52:53]
	v_and_b32_sdwa v5, v8, v6 dst_sel:DWORD dst_unused:UNUSED_PAD src0_sel:WORD_1 src1_sel:DWORD
	v_cmp_eq_u32_e64 s[52:53], 1, v4
	v_cndmask_b32_e64 v4, v5, 1, s[52:53]
	v_lshlrev_b32_e32 v5, 16, v4
	v_or_b32_sdwa v5, v5, v2 dst_sel:DWORD dst_unused:UNUSED_PAD src0_sel:DWORD src1_sel:WORD_0
; %bb.224:
	s_or_b64 exec, exec, s[54:55]
	v_lshrrev_b32_e32 v6, 16, v5
	v_mov_b32_dpp v8, v5 row_shr:2 row_mask:0xf bank_mask:0xf
	v_cmp_lt_u32_e64 s[52:53], 1, v7
	s_and_saveexec_b64 s[54:55], s[52:53]
	s_cbranch_execz .LBB48_226
; %bb.225:
	s_mov_b32 s56, 0x10000
	v_cmp_gt_f16_e64 s[52:53], v2, v8
	v_cndmask_b32_e64 v4, v8, v2, s[52:53]
	v_cmp_gt_u32_e64 s[52:53], s56, v5
	v_cndmask_b32_e64 v2, v2, v4, s[52:53]
	v_and_b32_e32 v4, 0x10000, v5
	v_mov_b32_e32 v5, 1
	v_and_b32_sdwa v5, v8, v5 dst_sel:DWORD dst_unused:UNUSED_PAD src0_sel:WORD_1 src1_sel:DWORD
	v_cmp_ne_u32_e64 s[52:53], 0, v4
	v_cndmask_b32_e64 v4, v5, 1, s[52:53]
	v_lshlrev_b32_e32 v5, 16, v4
	v_or_b32_sdwa v5, v5, v2 dst_sel:DWORD dst_unused:UNUSED_PAD src0_sel:DWORD src1_sel:WORD_0
	v_mov_b32_e32 v6, v4
.LBB48_226:
	s_or_b64 exec, exec, s[54:55]
	v_mov_b32_dpp v8, v5 row_shr:4 row_mask:0xf bank_mask:0xf
	v_cmp_lt_u32_e64 s[52:53], 3, v7
	s_and_saveexec_b64 s[54:55], s[52:53]
	s_cbranch_execz .LBB48_228
; %bb.227:
	v_cmp_gt_f16_e64 s[52:53], v2, v8
	v_cndmask_b32_e64 v4, v8, v2, s[52:53]
	v_cmp_eq_u16_e64 s[52:53], 0, v6
	v_cndmask_b32_e64 v2, v2, v4, s[52:53]
	v_and_b32_e32 v4, 1, v6
	v_mov_b32_e32 v5, 1
	v_and_b32_sdwa v5, v8, v5 dst_sel:DWORD dst_unused:UNUSED_PAD src0_sel:WORD_1 src1_sel:DWORD
	v_cmp_eq_u32_e64 s[52:53], 1, v4
	v_cndmask_b32_e64 v4, v5, 1, s[52:53]
	v_lshlrev_b32_e32 v5, 16, v4
	v_or_b32_sdwa v5, v5, v2 dst_sel:DWORD dst_unused:UNUSED_PAD src0_sel:DWORD src1_sel:WORD_0
	v_mov_b32_e32 v6, v4
.LBB48_228:
	s_or_b64 exec, exec, s[54:55]
	v_mov_b32_dpp v8, v5 row_shr:8 row_mask:0xf bank_mask:0xf
	v_cmp_lt_u32_e64 s[52:53], 7, v7
	s_and_saveexec_b64 s[54:55], s[52:53]
	s_cbranch_execz .LBB48_230
; %bb.229:
	v_cmp_gt_f16_e64 s[52:53], v2, v8
	v_cndmask_b32_e64 v4, v8, v2, s[52:53]
	v_cmp_eq_u16_e64 s[52:53], 0, v6
	v_cndmask_b32_e64 v2, v2, v4, s[52:53]
	v_and_b32_e32 v4, 1, v6
	v_mov_b32_e32 v5, 1
	v_and_b32_sdwa v5, v8, v5 dst_sel:DWORD dst_unused:UNUSED_PAD src0_sel:WORD_1 src1_sel:DWORD
	v_cmp_eq_u32_e64 s[52:53], 1, v4
	v_cndmask_b32_e64 v4, v5, 1, s[52:53]
	v_lshlrev_b32_e32 v5, 16, v4
	v_or_b32_sdwa v5, v5, v2 dst_sel:DWORD dst_unused:UNUSED_PAD src0_sel:DWORD src1_sel:WORD_0
	v_mov_b32_e32 v6, v4
.LBB48_230:
	s_or_b64 exec, exec, s[54:55]
	v_and_b32_e32 v8, 16, v3
	v_mov_b32_dpp v7, v5 row_bcast:15 row_mask:0xf bank_mask:0xf
	v_cmp_ne_u32_e64 s[52:53], 0, v8
	s_and_saveexec_b64 s[54:55], s[52:53]
	s_cbranch_execz .LBB48_232
; %bb.231:
	v_cmp_gt_f16_e64 s[52:53], v2, v7
	v_cndmask_b32_e64 v4, v7, v2, s[52:53]
	v_cmp_eq_u16_e64 s[52:53], 0, v6
	v_cndmask_b32_e64 v2, v2, v4, s[52:53]
	v_and_b32_e32 v4, 1, v6
	v_mov_b32_e32 v5, 1
	v_and_b32_sdwa v5, v7, v5 dst_sel:DWORD dst_unused:UNUSED_PAD src0_sel:WORD_1 src1_sel:DWORD
	v_cmp_eq_u32_e64 s[52:53], 1, v4
	v_cndmask_b32_e64 v4, v5, 1, s[52:53]
	v_lshlrev_b32_e32 v5, 16, v4
	v_or_b32_sdwa v5, v5, v2 dst_sel:DWORD dst_unused:UNUSED_PAD src0_sel:DWORD src1_sel:WORD_0
	v_mov_b32_e32 v6, v4
.LBB48_232:
	s_or_b64 exec, exec, s[54:55]
	v_mov_b32_dpp v5, v5 row_bcast:31 row_mask:0xf bank_mask:0xf
	v_cmp_lt_u32_e64 s[52:53], 31, v3
	s_and_saveexec_b64 s[54:55], s[52:53]
; %bb.233:
	v_and_b32_e32 v4, 1, v6
	v_mov_b32_e32 v7, 1
	v_and_b32_sdwa v7, v5, v7 dst_sel:DWORD dst_unused:UNUSED_PAD src0_sel:WORD_1 src1_sel:DWORD
	v_cmp_eq_u32_e64 s[52:53], 1, v4
	v_cndmask_b32_e64 v4, v7, 1, s[52:53]
	v_cmp_gt_f16_e64 s[52:53], v2, v5
	v_cndmask_b32_e64 v5, v5, v2, s[52:53]
	v_cmp_eq_u16_e64 s[52:53], 0, v6
	v_cndmask_b32_e64 v2, v2, v5, s[52:53]
; %bb.234:
	s_or_b64 exec, exec, s[54:55]
	v_cmp_eq_u32_e64 s[52:53], 63, v0
	s_and_saveexec_b64 s[54:55], s[52:53]
	s_cbranch_execz .LBB48_236
; %bb.235:
	v_mov_b32_e32 v5, 0
	ds_write_b16 v5, v2
	ds_write_b8 v5, v4 offset:2
.LBB48_236:
	s_or_b64 exec, exec, s[54:55]
	v_and_b32_e32 v4, 0xff, v4
	v_and_b32_e32 v2, 0xffff, v2
	v_lshl_or_b32 v2, v4, 16, v2
	v_add_u32_e32 v4, -1, v3
	v_and_b32_e32 v5, 64, v3
	v_cmp_lt_i32_e64 s[52:53], v4, v5
	v_cndmask_b32_e64 v3, v4, v3, s[52:53]
	v_lshlrev_b32_e32 v3, 2, v3
	ds_bpermute_b32 v3, v3, v2
	v_mov_b32_e32 v2, 0
	s_waitcnt lgkmcnt(0)
	; wave barrier
	s_waitcnt lgkmcnt(0)
	v_cmp_gt_f16_e64 s[52:53], v1, v3
	v_cndmask_b32_e64 v3, v3, v1, s[52:53]
	v_cmp_eq_u16_sdwa s[52:53], v19, v2 src0_sel:BYTE_0 src1_sel:DWORD
	v_cndmask_b32_e64 v5, v1, v3, s[52:53]
	v_cndmask_b32_e32 v3, v5, v1, vcc
	v_cmp_lt_f16_e64 s[52:53], v3, v58
	v_cndmask_b32_e64 v3, v3, v58, s[52:53]
	v_cndmask_b32_e64 v4, v58, v3, s[2:3]
	v_cmp_lt_f16_e64 s[2:3], v4, v24
	v_cndmask_b32_e64 v3, v4, v24, s[2:3]
	v_cndmask_b32_e64 v6, v24, v3, s[6:7]
	;; [unrolled: 3-line block ×22, first 2 shown]
	v_cmp_lt_f16_e64 s[2:3], v70, v12
	v_cndmask_b32_e64 v3, v70, v12, s[2:3]
	s_and_saveexec_b64 s[2:3], vcc
	s_cbranch_execz .LBB48_238
; %bb.237:
	ds_read_u8 v5, v2 offset:2
	ds_read_u16 v13, v2
	v_mov_b32_e32 v15, 2
	s_waitcnt lgkmcnt(1)
	v_lshlrev_b32_e32 v5, 16, v5
	s_waitcnt lgkmcnt(0)
	v_or_b32_e32 v14, v5, v13
	v_mov_b32_e32 v5, v1
	global_store_dwordx2 v2, v[14:15], s[68:69] offset:512
.LBB48_238:
	s_or_b64 exec, exec, s[2:3]
	v_cndmask_b32_e64 v71, v12, v3, s[30:31]
.LBB48_239:
	s_load_dwordx2 s[2:3], s[4:5], 0x18
	v_mul_u32_u24_e32 v1, 24, v0
	v_lshlrev_b32_e32 v13, 1, v1
	v_lshlrev_b32_e32 v12, 1, v0
	s_waitcnt lgkmcnt(0)
	s_add_u32 s2, s2, s90
	s_addc_u32 s3, s3, s91
	s_and_b64 vcc, exec, s[0:1]
	s_cbranch_vccz .LBB48_287
; %bb.240:
	s_mov_b32 s0, 0x5040100
	v_perm_b32 v17, v55, v10, s0
	v_perm_b32 v16, v9, v8, s0
	;; [unrolled: 1-line block ×4, first 2 shown]
	s_waitcnt lgkmcnt(0)
	; wave barrier
	ds_write_b128 v13, v[14:17]
	v_perm_b32 v17, v65, v63, s0
	v_perm_b32 v16, v61, v60, s0
	;; [unrolled: 1-line block ×4, first 2 shown]
	ds_write_b128 v13, v[14:17] offset:16
	v_perm_b32 v17, v71, v70, s0
	v_perm_b32 v16, v69, v68, s0
	v_perm_b32 v15, v67, v66, s0
	v_perm_b32 v14, v64, v62, s0
	s_movk_i32 s0, 0xffd2
	v_mad_i32_i24 v2, v0, s0, v13
	ds_write_b128 v13, v[14:17] offset:32
	s_waitcnt lgkmcnt(0)
	; wave barrier
	s_waitcnt lgkmcnt(0)
	ds_read_u16 v36, v2 offset:128
	ds_read_u16 v35, v2 offset:256
	;; [unrolled: 1-line block ×23, first 2 shown]
	v_mov_b32_e32 v3, s3
	v_add_co_u32_e32 v2, vcc, s2, v12
	s_add_i32 s33, s33, s70
	v_addc_co_u32_e32 v3, vcc, 0, v3, vcc
	v_mov_b32_e32 v1, 0
	v_cmp_gt_u32_e32 vcc, s33, v0
	s_and_saveexec_b64 s[0:1], vcc
	s_cbranch_execz .LBB48_242
; %bb.241:
	v_mul_i32_i24_e32 v37, 0xffffffd2, v0
	v_add_u32_e32 v37, v13, v37
	ds_read_u16 v37, v37
	s_waitcnt lgkmcnt(0)
	global_store_short v[2:3], v37, off
.LBB48_242:
	s_or_b64 exec, exec, s[0:1]
	v_or_b32_e32 v37, 64, v0
	v_cmp_gt_u32_e32 vcc, s33, v37
	s_and_saveexec_b64 s[0:1], vcc
	s_cbranch_execz .LBB48_244
; %bb.243:
	s_waitcnt lgkmcnt(14)
	global_store_short v[2:3], v36, off offset:128
.LBB48_244:
	s_or_b64 exec, exec, s[0:1]
	s_waitcnt lgkmcnt(14)
	v_or_b32_e32 v36, 0x80, v0
	v_cmp_gt_u32_e32 vcc, s33, v36
	s_and_saveexec_b64 s[0:1], vcc
	s_cbranch_execz .LBB48_246
; %bb.245:
	global_store_short v[2:3], v35, off offset:256
.LBB48_246:
	s_or_b64 exec, exec, s[0:1]
	v_or_b32_e32 v35, 0xc0, v0
	v_cmp_gt_u32_e32 vcc, s33, v35
	s_and_saveexec_b64 s[0:1], vcc
	s_cbranch_execz .LBB48_248
; %bb.247:
	global_store_short v[2:3], v34, off offset:384
.LBB48_248:
	s_or_b64 exec, exec, s[0:1]
	;; [unrolled: 8-line block ×8, first 2 shown]
	v_or_b32_e32 v28, 0x280, v0
	v_cmp_gt_u32_e32 vcc, s33, v28
	s_and_saveexec_b64 s[0:1], vcc
	s_cbranch_execz .LBB48_262
; %bb.261:
	s_waitcnt lgkmcnt(13)
	global_store_short v[2:3], v27, off offset:1280
.LBB48_262:
	s_or_b64 exec, exec, s[0:1]
	s_waitcnt lgkmcnt(13)
	v_or_b32_e32 v27, 0x2c0, v0
	v_cmp_gt_u32_e32 vcc, s33, v27
	s_and_saveexec_b64 s[0:1], vcc
	s_cbranch_execz .LBB48_264
; %bb.263:
	s_waitcnt lgkmcnt(12)
	global_store_short v[2:3], v26, off offset:1408
.LBB48_264:
	s_or_b64 exec, exec, s[0:1]
	s_waitcnt lgkmcnt(12)
	;; [unrolled: 10-line block ×12, first 2 shown]
	v_or_b32_e32 v16, 0x580, v0
	v_cmp_gt_u32_e32 vcc, s33, v16
	s_and_saveexec_b64 s[0:1], vcc
	s_cbranch_execz .LBB48_286
; %bb.285:
	s_waitcnt lgkmcnt(1)
	global_store_short v[2:3], v15, off offset:2816
.LBB48_286:
	s_or_b64 exec, exec, s[0:1]
	v_or_b32_e32 v2, 0x5c0, v0
	v_cmp_gt_u32_e64 s[0:1], s33, v2
	s_branch .LBB48_289
.LBB48_287:
	s_mov_b64 s[0:1], 0
                                        ; implicit-def: $vgpr14
	s_cbranch_execz .LBB48_289
; %bb.288:
	s_mov_b32 s4, 0x5040100
	s_waitcnt lgkmcnt(0)
	v_perm_b32 v14, v4, v5, s4
	v_perm_b32 v5, v65, v63, s4
	;; [unrolled: 1-line block ×5, first 2 shown]
	s_waitcnt lgkmcnt(0)
	; wave barrier
	v_perm_b32 v17, v55, v10, s4
	v_perm_b32 v16, v9, v8, s4
	;; [unrolled: 1-line block ×3, first 2 shown]
	ds_write_b128 v13, v[2:5] offset:16
	v_perm_b32 v5, v71, v70, s4
	v_perm_b32 v4, v69, v68, s4
	;; [unrolled: 1-line block ×4, first 2 shown]
	s_movk_i32 s4, 0xffd2
	ds_write_b128 v13, v[2:5] offset:32
	v_mad_i32_i24 v2, v0, s4, v13
	ds_write_b128 v13, v[14:17]
	s_waitcnt lgkmcnt(0)
	; wave barrier
	s_waitcnt lgkmcnt(0)
	ds_read_u16 v3, v2
	ds_read_u16 v4, v2 offset:128
	ds_read_u16 v5, v2 offset:256
	;; [unrolled: 1-line block ×23, first 2 shown]
	v_mov_b32_e32 v1, 0
	s_or_b64 s[0:1], s[0:1], exec
	s_waitcnt lgkmcnt(14)
	global_store_short v12, v3, s[2:3]
	global_store_short v12, v4, s[2:3] offset:128
	global_store_short v12, v5, s[2:3] offset:256
	;; [unrolled: 1-line block ×9, first 2 shown]
	s_waitcnt lgkmcnt(13)
	global_store_short v12, v15, s[2:3] offset:1280
	s_waitcnt lgkmcnt(12)
	global_store_short v12, v16, s[2:3] offset:1408
	;; [unrolled: 2-line block ×13, first 2 shown]
.LBB48_289:
	s_and_saveexec_b64 s[4:5], s[0:1]
	s_cbranch_execz .LBB48_291
; %bb.290:
	v_lshlrev_b64 v[0:1], 1, v[0:1]
	v_mov_b32_e32 v2, s3
	v_add_co_u32_e32 v0, vcc, s2, v0
	v_addc_co_u32_e32 v1, vcc, v2, v1, vcc
	s_waitcnt lgkmcnt(0)
	global_store_short v[0:1], v14, off offset:2944
	s_endpgm
.LBB48_291:
	s_endpgm
	.section	.rodata,"a",@progbits
	.p2align	6, 0x0
	.amdhsa_kernel _ZN7rocprim6detail25device_scan_by_key_kernelILNS0_25lookback_scan_determinismE0ELb0ENS0_26wrapped_scan_by_key_configINS_14default_configEi6__halfEEPiN6hipcub22TransformInputIteratorIS5_NS8_6CastOpIS5_EEPS5_lEESC_S5_NS8_8EqualityENS8_3MaxENS0_19lookback_scan_stateINS_5tupleIJS5_bEEELb0ELb1EEES5_EEvT2_T3_T4_T5_T6_T7_T8_mmmPKNSH_IJT9_bEEE
		.amdhsa_group_segment_fixed_size 6656
		.amdhsa_private_segment_fixed_size 0
		.amdhsa_kernarg_size 80
		.amdhsa_user_sgpr_count 6
		.amdhsa_user_sgpr_private_segment_buffer 1
		.amdhsa_user_sgpr_dispatch_ptr 0
		.amdhsa_user_sgpr_queue_ptr 0
		.amdhsa_user_sgpr_kernarg_segment_ptr 1
		.amdhsa_user_sgpr_dispatch_id 0
		.amdhsa_user_sgpr_flat_scratch_init 0
		.amdhsa_user_sgpr_kernarg_preload_length 0
		.amdhsa_user_sgpr_kernarg_preload_offset 0
		.amdhsa_user_sgpr_private_segment_size 0
		.amdhsa_uses_dynamic_stack 0
		.amdhsa_system_sgpr_private_segment_wavefront_offset 0
		.amdhsa_system_sgpr_workgroup_id_x 1
		.amdhsa_system_sgpr_workgroup_id_y 0
		.amdhsa_system_sgpr_workgroup_id_z 0
		.amdhsa_system_sgpr_workgroup_info 0
		.amdhsa_system_vgpr_workitem_id 0
		.amdhsa_next_free_vgpr 75
		.amdhsa_next_free_sgpr 94
		.amdhsa_accum_offset 76
		.amdhsa_reserve_vcc 1
		.amdhsa_reserve_flat_scratch 0
		.amdhsa_float_round_mode_32 0
		.amdhsa_float_round_mode_16_64 0
		.amdhsa_float_denorm_mode_32 3
		.amdhsa_float_denorm_mode_16_64 3
		.amdhsa_dx10_clamp 1
		.amdhsa_ieee_mode 1
		.amdhsa_fp16_overflow 0
		.amdhsa_tg_split 0
		.amdhsa_exception_fp_ieee_invalid_op 0
		.amdhsa_exception_fp_denorm_src 0
		.amdhsa_exception_fp_ieee_div_zero 0
		.amdhsa_exception_fp_ieee_overflow 0
		.amdhsa_exception_fp_ieee_underflow 0
		.amdhsa_exception_fp_ieee_inexact 0
		.amdhsa_exception_int_div_zero 0
	.end_amdhsa_kernel
	.section	.text._ZN7rocprim6detail25device_scan_by_key_kernelILNS0_25lookback_scan_determinismE0ELb0ENS0_26wrapped_scan_by_key_configINS_14default_configEi6__halfEEPiN6hipcub22TransformInputIteratorIS5_NS8_6CastOpIS5_EEPS5_lEESC_S5_NS8_8EqualityENS8_3MaxENS0_19lookback_scan_stateINS_5tupleIJS5_bEEELb0ELb1EEES5_EEvT2_T3_T4_T5_T6_T7_T8_mmmPKNSH_IJT9_bEEE,"axG",@progbits,_ZN7rocprim6detail25device_scan_by_key_kernelILNS0_25lookback_scan_determinismE0ELb0ENS0_26wrapped_scan_by_key_configINS_14default_configEi6__halfEEPiN6hipcub22TransformInputIteratorIS5_NS8_6CastOpIS5_EEPS5_lEESC_S5_NS8_8EqualityENS8_3MaxENS0_19lookback_scan_stateINS_5tupleIJS5_bEEELb0ELb1EEES5_EEvT2_T3_T4_T5_T6_T7_T8_mmmPKNSH_IJT9_bEEE,comdat
.Lfunc_end48:
	.size	_ZN7rocprim6detail25device_scan_by_key_kernelILNS0_25lookback_scan_determinismE0ELb0ENS0_26wrapped_scan_by_key_configINS_14default_configEi6__halfEEPiN6hipcub22TransformInputIteratorIS5_NS8_6CastOpIS5_EEPS5_lEESC_S5_NS8_8EqualityENS8_3MaxENS0_19lookback_scan_stateINS_5tupleIJS5_bEEELb0ELb1EEES5_EEvT2_T3_T4_T5_T6_T7_T8_mmmPKNSH_IJT9_bEEE, .Lfunc_end48-_ZN7rocprim6detail25device_scan_by_key_kernelILNS0_25lookback_scan_determinismE0ELb0ENS0_26wrapped_scan_by_key_configINS_14default_configEi6__halfEEPiN6hipcub22TransformInputIteratorIS5_NS8_6CastOpIS5_EEPS5_lEESC_S5_NS8_8EqualityENS8_3MaxENS0_19lookback_scan_stateINS_5tupleIJS5_bEEELb0ELb1EEES5_EEvT2_T3_T4_T5_T6_T7_T8_mmmPKNSH_IJT9_bEEE
                                        ; -- End function
	.section	.AMDGPU.csdata,"",@progbits
; Kernel info:
; codeLenInByte = 15252
; NumSgprs: 98
; NumVgprs: 75
; NumAgprs: 0
; TotalNumVgprs: 75
; ScratchSize: 0
; MemoryBound: 0
; FloatMode: 240
; IeeeMode: 1
; LDSByteSize: 6656 bytes/workgroup (compile time only)
; SGPRBlocks: 12
; VGPRBlocks: 9
; NumSGPRsForWavesPerEU: 98
; NumVGPRsForWavesPerEU: 75
; AccumOffset: 76
; Occupancy: 3
; WaveLimiterHint : 1
; COMPUTE_PGM_RSRC2:SCRATCH_EN: 0
; COMPUTE_PGM_RSRC2:USER_SGPR: 6
; COMPUTE_PGM_RSRC2:TRAP_HANDLER: 0
; COMPUTE_PGM_RSRC2:TGID_X_EN: 1
; COMPUTE_PGM_RSRC2:TGID_Y_EN: 0
; COMPUTE_PGM_RSRC2:TGID_Z_EN: 0
; COMPUTE_PGM_RSRC2:TIDIG_COMP_CNT: 0
; COMPUTE_PGM_RSRC3_GFX90A:ACCUM_OFFSET: 18
; COMPUTE_PGM_RSRC3_GFX90A:TG_SPLIT: 0
	.section	.text._ZN7rocprim6detail31init_lookback_scan_state_kernelINS0_19lookback_scan_stateINS_5tupleIJ12hip_bfloat16bEEELb1ELb1EEEEEvT_jjPNS7_10value_typeE,"axG",@progbits,_ZN7rocprim6detail31init_lookback_scan_state_kernelINS0_19lookback_scan_stateINS_5tupleIJ12hip_bfloat16bEEELb1ELb1EEEEEvT_jjPNS7_10value_typeE,comdat
	.protected	_ZN7rocprim6detail31init_lookback_scan_state_kernelINS0_19lookback_scan_stateINS_5tupleIJ12hip_bfloat16bEEELb1ELb1EEEEEvT_jjPNS7_10value_typeE ; -- Begin function _ZN7rocprim6detail31init_lookback_scan_state_kernelINS0_19lookback_scan_stateINS_5tupleIJ12hip_bfloat16bEEELb1ELb1EEEEEvT_jjPNS7_10value_typeE
	.globl	_ZN7rocprim6detail31init_lookback_scan_state_kernelINS0_19lookback_scan_stateINS_5tupleIJ12hip_bfloat16bEEELb1ELb1EEEEEvT_jjPNS7_10value_typeE
	.p2align	8
	.type	_ZN7rocprim6detail31init_lookback_scan_state_kernelINS0_19lookback_scan_stateINS_5tupleIJ12hip_bfloat16bEEELb1ELb1EEEEEvT_jjPNS7_10value_typeE,@function
_ZN7rocprim6detail31init_lookback_scan_state_kernelINS0_19lookback_scan_stateINS_5tupleIJ12hip_bfloat16bEEELb1ELb1EEEEEvT_jjPNS7_10value_typeE: ; @_ZN7rocprim6detail31init_lookback_scan_state_kernelINS0_19lookback_scan_stateINS_5tupleIJ12hip_bfloat16bEEELb1ELb1EEEEEvT_jjPNS7_10value_typeE
; %bb.0:
	s_load_dword s7, s[4:5], 0x24
	s_load_dwordx2 s[8:9], s[4:5], 0x10
	s_load_dwordx4 s[0:3], s[4:5], 0x0
	s_waitcnt lgkmcnt(0)
	s_and_b32 s4, s7, 0xffff
	s_mul_i32 s6, s6, s4
	s_cmp_eq_u64 s[8:9], 0
	v_add_u32_e32 v0, s6, v0
	s_cbranch_scc1 .LBB49_9
; %bb.1:
	s_cmp_lt_u32 s3, s2
	s_cselect_b32 s4, s3, 0
	s_mov_b32 s7, 0
	v_cmp_eq_u32_e32 vcc, s4, v0
	s_and_saveexec_b64 s[4:5], vcc
	s_cbranch_execz .LBB49_8
; %bb.2:
	s_add_i32 s6, s3, 64
	s_lshl_b64 s[6:7], s[6:7], 3
	s_add_u32 s6, s0, s6
	s_addc_u32 s7, s1, s7
	v_mov_b32_e32 v2, 0
	global_load_dwordx2 v[4:5], v2, s[6:7] glc
	s_waitcnt vmcnt(0)
	v_and_b32_e32 v3, 0xff, v5
	v_cmp_ne_u64_e32 vcc, 0, v[2:3]
	s_cbranch_vccnz .LBB49_7
; %bb.3:
	s_mov_b32 s3, 1
.LBB49_4:                               ; =>This Loop Header: Depth=1
                                        ;     Child Loop BB49_5 Depth 2
	s_max_u32 s10, s3, 1
.LBB49_5:                               ;   Parent Loop BB49_4 Depth=1
                                        ; =>  This Inner Loop Header: Depth=2
	s_add_i32 s10, s10, -1
	s_cmp_eq_u32 s10, 0
	s_sleep 1
	s_cbranch_scc0 .LBB49_5
; %bb.6:                                ;   in Loop: Header=BB49_4 Depth=1
	global_load_dwordx2 v[4:5], v2, s[6:7] glc
	s_cmp_lt_u32 s3, 32
	s_cselect_b64 s[10:11], -1, 0
	s_cmp_lg_u64 s[10:11], 0
	s_addc_u32 s3, s3, 0
	s_waitcnt vmcnt(0)
	v_and_b32_e32 v3, 0xff, v5
	v_cmp_ne_u64_e32 vcc, 0, v[2:3]
	s_cbranch_vccz .LBB49_4
.LBB49_7:
	v_mov_b32_e32 v1, 0
	global_store_short v1, v4, s[8:9]
	global_store_byte_d16_hi v1, v4, s[8:9] offset:2
.LBB49_8:
	s_or_b64 exec, exec, s[4:5]
.LBB49_9:
	v_cmp_gt_u32_e32 vcc, s2, v0
	s_and_saveexec_b64 s[2:3], vcc
	s_cbranch_execnz .LBB49_12
; %bb.10:
	s_or_b64 exec, exec, s[2:3]
	v_cmp_gt_u32_e32 vcc, 64, v0
	s_and_saveexec_b64 s[2:3], vcc
	s_cbranch_execnz .LBB49_13
.LBB49_11:
	s_endpgm
.LBB49_12:
	v_add_u32_e32 v2, 64, v0
	v_mov_b32_e32 v3, 0
	v_lshlrev_b64 v[4:5], 3, v[2:3]
	v_mov_b32_e32 v1, s1
	v_add_co_u32_e32 v4, vcc, s0, v4
	v_addc_co_u32_e32 v5, vcc, v1, v5, vcc
	v_mov_b32_e32 v2, v3
	global_store_dwordx2 v[4:5], v[2:3], off
	s_or_b64 exec, exec, s[2:3]
	v_cmp_gt_u32_e32 vcc, 64, v0
	s_and_saveexec_b64 s[2:3], vcc
	s_cbranch_execz .LBB49_11
.LBB49_13:
	v_mov_b32_e32 v1, 0
	v_lshlrev_b64 v[2:3], 3, v[0:1]
	v_mov_b32_e32 v0, s1
	v_add_co_u32_e32 v2, vcc, s0, v2
	v_addc_co_u32_e32 v3, vcc, v0, v3, vcc
	v_mov_b32_e32 v5, 0xff
	v_mov_b32_e32 v4, v1
	global_store_dwordx2 v[2:3], v[4:5], off
	s_endpgm
	.section	.rodata,"a",@progbits
	.p2align	6, 0x0
	.amdhsa_kernel _ZN7rocprim6detail31init_lookback_scan_state_kernelINS0_19lookback_scan_stateINS_5tupleIJ12hip_bfloat16bEEELb1ELb1EEEEEvT_jjPNS7_10value_typeE
		.amdhsa_group_segment_fixed_size 0
		.amdhsa_private_segment_fixed_size 0
		.amdhsa_kernarg_size 280
		.amdhsa_user_sgpr_count 6
		.amdhsa_user_sgpr_private_segment_buffer 1
		.amdhsa_user_sgpr_dispatch_ptr 0
		.amdhsa_user_sgpr_queue_ptr 0
		.amdhsa_user_sgpr_kernarg_segment_ptr 1
		.amdhsa_user_sgpr_dispatch_id 0
		.amdhsa_user_sgpr_flat_scratch_init 0
		.amdhsa_user_sgpr_kernarg_preload_length 0
		.amdhsa_user_sgpr_kernarg_preload_offset 0
		.amdhsa_user_sgpr_private_segment_size 0
		.amdhsa_uses_dynamic_stack 0
		.amdhsa_system_sgpr_private_segment_wavefront_offset 0
		.amdhsa_system_sgpr_workgroup_id_x 1
		.amdhsa_system_sgpr_workgroup_id_y 0
		.amdhsa_system_sgpr_workgroup_id_z 0
		.amdhsa_system_sgpr_workgroup_info 0
		.amdhsa_system_vgpr_workitem_id 0
		.amdhsa_next_free_vgpr 6
		.amdhsa_next_free_sgpr 12
		.amdhsa_accum_offset 8
		.amdhsa_reserve_vcc 1
		.amdhsa_reserve_flat_scratch 0
		.amdhsa_float_round_mode_32 0
		.amdhsa_float_round_mode_16_64 0
		.amdhsa_float_denorm_mode_32 3
		.amdhsa_float_denorm_mode_16_64 3
		.amdhsa_dx10_clamp 1
		.amdhsa_ieee_mode 1
		.amdhsa_fp16_overflow 0
		.amdhsa_tg_split 0
		.amdhsa_exception_fp_ieee_invalid_op 0
		.amdhsa_exception_fp_denorm_src 0
		.amdhsa_exception_fp_ieee_div_zero 0
		.amdhsa_exception_fp_ieee_overflow 0
		.amdhsa_exception_fp_ieee_underflow 0
		.amdhsa_exception_fp_ieee_inexact 0
		.amdhsa_exception_int_div_zero 0
	.end_amdhsa_kernel
	.section	.text._ZN7rocprim6detail31init_lookback_scan_state_kernelINS0_19lookback_scan_stateINS_5tupleIJ12hip_bfloat16bEEELb1ELb1EEEEEvT_jjPNS7_10value_typeE,"axG",@progbits,_ZN7rocprim6detail31init_lookback_scan_state_kernelINS0_19lookback_scan_stateINS_5tupleIJ12hip_bfloat16bEEELb1ELb1EEEEEvT_jjPNS7_10value_typeE,comdat
.Lfunc_end49:
	.size	_ZN7rocprim6detail31init_lookback_scan_state_kernelINS0_19lookback_scan_stateINS_5tupleIJ12hip_bfloat16bEEELb1ELb1EEEEEvT_jjPNS7_10value_typeE, .Lfunc_end49-_ZN7rocprim6detail31init_lookback_scan_state_kernelINS0_19lookback_scan_stateINS_5tupleIJ12hip_bfloat16bEEELb1ELb1EEEEEvT_jjPNS7_10value_typeE
                                        ; -- End function
	.section	.AMDGPU.csdata,"",@progbits
; Kernel info:
; codeLenInByte = 352
; NumSgprs: 16
; NumVgprs: 6
; NumAgprs: 0
; TotalNumVgprs: 6
; ScratchSize: 0
; MemoryBound: 0
; FloatMode: 240
; IeeeMode: 1
; LDSByteSize: 0 bytes/workgroup (compile time only)
; SGPRBlocks: 1
; VGPRBlocks: 0
; NumSGPRsForWavesPerEU: 16
; NumVGPRsForWavesPerEU: 6
; AccumOffset: 8
; Occupancy: 8
; WaveLimiterHint : 0
; COMPUTE_PGM_RSRC2:SCRATCH_EN: 0
; COMPUTE_PGM_RSRC2:USER_SGPR: 6
; COMPUTE_PGM_RSRC2:TRAP_HANDLER: 0
; COMPUTE_PGM_RSRC2:TGID_X_EN: 1
; COMPUTE_PGM_RSRC2:TGID_Y_EN: 0
; COMPUTE_PGM_RSRC2:TGID_Z_EN: 0
; COMPUTE_PGM_RSRC2:TIDIG_COMP_CNT: 0
; COMPUTE_PGM_RSRC3_GFX90A:ACCUM_OFFSET: 1
; COMPUTE_PGM_RSRC3_GFX90A:TG_SPLIT: 0
	.section	.text._ZN7rocprim6detail31init_lookback_scan_state_kernelINS0_19lookback_scan_stateINS_5tupleIJ12hip_bfloat16bEEELb0ELb1EEEEEvT_jjPNS7_10value_typeE,"axG",@progbits,_ZN7rocprim6detail31init_lookback_scan_state_kernelINS0_19lookback_scan_stateINS_5tupleIJ12hip_bfloat16bEEELb0ELb1EEEEEvT_jjPNS7_10value_typeE,comdat
	.protected	_ZN7rocprim6detail31init_lookback_scan_state_kernelINS0_19lookback_scan_stateINS_5tupleIJ12hip_bfloat16bEEELb0ELb1EEEEEvT_jjPNS7_10value_typeE ; -- Begin function _ZN7rocprim6detail31init_lookback_scan_state_kernelINS0_19lookback_scan_stateINS_5tupleIJ12hip_bfloat16bEEELb0ELb1EEEEEvT_jjPNS7_10value_typeE
	.globl	_ZN7rocprim6detail31init_lookback_scan_state_kernelINS0_19lookback_scan_stateINS_5tupleIJ12hip_bfloat16bEEELb0ELb1EEEEEvT_jjPNS7_10value_typeE
	.p2align	8
	.type	_ZN7rocprim6detail31init_lookback_scan_state_kernelINS0_19lookback_scan_stateINS_5tupleIJ12hip_bfloat16bEEELb0ELb1EEEEEvT_jjPNS7_10value_typeE,@function
_ZN7rocprim6detail31init_lookback_scan_state_kernelINS0_19lookback_scan_stateINS_5tupleIJ12hip_bfloat16bEEELb0ELb1EEEEEvT_jjPNS7_10value_typeE: ; @_ZN7rocprim6detail31init_lookback_scan_state_kernelINS0_19lookback_scan_stateINS_5tupleIJ12hip_bfloat16bEEELb0ELb1EEEEEvT_jjPNS7_10value_typeE
; %bb.0:
	s_load_dword s7, s[4:5], 0x24
	s_load_dwordx2 s[8:9], s[4:5], 0x10
	s_load_dwordx4 s[0:3], s[4:5], 0x0
	s_waitcnt lgkmcnt(0)
	s_and_b32 s4, s7, 0xffff
	s_mul_i32 s6, s6, s4
	s_cmp_eq_u64 s[8:9], 0
	v_add_u32_e32 v0, s6, v0
	s_cbranch_scc1 .LBB50_6
; %bb.1:
	s_cmp_lt_u32 s3, s2
	s_cselect_b32 s4, s3, 0
	s_mov_b32 s7, 0
	v_cmp_eq_u32_e32 vcc, s4, v0
	s_and_saveexec_b64 s[4:5], vcc
	s_cbranch_execz .LBB50_5
; %bb.2:
	s_add_i32 s6, s3, 64
	s_lshl_b64 s[6:7], s[6:7], 3
	s_add_u32 s6, s0, s6
	s_addc_u32 s7, s1, s7
	v_mov_b32_e32 v4, 0
	global_load_dwordx2 v[2:3], v4, s[6:7] glc
	s_waitcnt vmcnt(0)
	v_and_b32_e32 v5, 0xff, v3
	v_cmp_ne_u64_e32 vcc, 0, v[4:5]
	s_cbranch_vccnz .LBB50_4
.LBB50_3:                               ; =>This Inner Loop Header: Depth=1
	global_load_dwordx2 v[2:3], v4, s[6:7] glc
	s_waitcnt vmcnt(0)
	v_and_b32_e32 v5, 0xff, v3
	v_cmp_eq_u64_e32 vcc, 0, v[4:5]
	s_cbranch_vccnz .LBB50_3
.LBB50_4:
	v_mov_b32_e32 v1, 0
	global_store_short v1, v2, s[8:9]
	global_store_byte_d16_hi v1, v2, s[8:9] offset:2
.LBB50_5:
	s_or_b64 exec, exec, s[4:5]
.LBB50_6:
	v_cmp_gt_u32_e32 vcc, s2, v0
	s_and_saveexec_b64 s[2:3], vcc
	s_cbranch_execnz .LBB50_9
; %bb.7:
	s_or_b64 exec, exec, s[2:3]
	v_cmp_gt_u32_e32 vcc, 64, v0
	s_and_saveexec_b64 s[2:3], vcc
	s_cbranch_execnz .LBB50_10
.LBB50_8:
	s_endpgm
.LBB50_9:
	v_add_u32_e32 v2, 64, v0
	v_mov_b32_e32 v3, 0
	v_lshlrev_b64 v[4:5], 3, v[2:3]
	v_mov_b32_e32 v1, s1
	v_add_co_u32_e32 v4, vcc, s0, v4
	v_addc_co_u32_e32 v5, vcc, v1, v5, vcc
	v_mov_b32_e32 v2, v3
	global_store_dwordx2 v[4:5], v[2:3], off
	s_or_b64 exec, exec, s[2:3]
	v_cmp_gt_u32_e32 vcc, 64, v0
	s_and_saveexec_b64 s[2:3], vcc
	s_cbranch_execz .LBB50_8
.LBB50_10:
	v_mov_b32_e32 v1, 0
	v_lshlrev_b64 v[2:3], 3, v[0:1]
	v_mov_b32_e32 v0, s1
	v_add_co_u32_e32 v2, vcc, s0, v2
	v_addc_co_u32_e32 v3, vcc, v0, v3, vcc
	v_mov_b32_e32 v5, 0xff
	v_mov_b32_e32 v4, v1
	global_store_dwordx2 v[2:3], v[4:5], off
	s_endpgm
	.section	.rodata,"a",@progbits
	.p2align	6, 0x0
	.amdhsa_kernel _ZN7rocprim6detail31init_lookback_scan_state_kernelINS0_19lookback_scan_stateINS_5tupleIJ12hip_bfloat16bEEELb0ELb1EEEEEvT_jjPNS7_10value_typeE
		.amdhsa_group_segment_fixed_size 0
		.amdhsa_private_segment_fixed_size 0
		.amdhsa_kernarg_size 280
		.amdhsa_user_sgpr_count 6
		.amdhsa_user_sgpr_private_segment_buffer 1
		.amdhsa_user_sgpr_dispatch_ptr 0
		.amdhsa_user_sgpr_queue_ptr 0
		.amdhsa_user_sgpr_kernarg_segment_ptr 1
		.amdhsa_user_sgpr_dispatch_id 0
		.amdhsa_user_sgpr_flat_scratch_init 0
		.amdhsa_user_sgpr_kernarg_preload_length 0
		.amdhsa_user_sgpr_kernarg_preload_offset 0
		.amdhsa_user_sgpr_private_segment_size 0
		.amdhsa_uses_dynamic_stack 0
		.amdhsa_system_sgpr_private_segment_wavefront_offset 0
		.amdhsa_system_sgpr_workgroup_id_x 1
		.amdhsa_system_sgpr_workgroup_id_y 0
		.amdhsa_system_sgpr_workgroup_id_z 0
		.amdhsa_system_sgpr_workgroup_info 0
		.amdhsa_system_vgpr_workitem_id 0
		.amdhsa_next_free_vgpr 6
		.amdhsa_next_free_sgpr 10
		.amdhsa_accum_offset 8
		.amdhsa_reserve_vcc 1
		.amdhsa_reserve_flat_scratch 0
		.amdhsa_float_round_mode_32 0
		.amdhsa_float_round_mode_16_64 0
		.amdhsa_float_denorm_mode_32 3
		.amdhsa_float_denorm_mode_16_64 3
		.amdhsa_dx10_clamp 1
		.amdhsa_ieee_mode 1
		.amdhsa_fp16_overflow 0
		.amdhsa_tg_split 0
		.amdhsa_exception_fp_ieee_invalid_op 0
		.amdhsa_exception_fp_denorm_src 0
		.amdhsa_exception_fp_ieee_div_zero 0
		.amdhsa_exception_fp_ieee_overflow 0
		.amdhsa_exception_fp_ieee_underflow 0
		.amdhsa_exception_fp_ieee_inexact 0
		.amdhsa_exception_int_div_zero 0
	.end_amdhsa_kernel
	.section	.text._ZN7rocprim6detail31init_lookback_scan_state_kernelINS0_19lookback_scan_stateINS_5tupleIJ12hip_bfloat16bEEELb0ELb1EEEEEvT_jjPNS7_10value_typeE,"axG",@progbits,_ZN7rocprim6detail31init_lookback_scan_state_kernelINS0_19lookback_scan_stateINS_5tupleIJ12hip_bfloat16bEEELb0ELb1EEEEEvT_jjPNS7_10value_typeE,comdat
.Lfunc_end50:
	.size	_ZN7rocprim6detail31init_lookback_scan_state_kernelINS0_19lookback_scan_stateINS_5tupleIJ12hip_bfloat16bEEELb0ELb1EEEEEvT_jjPNS7_10value_typeE, .Lfunc_end50-_ZN7rocprim6detail31init_lookback_scan_state_kernelINS0_19lookback_scan_stateINS_5tupleIJ12hip_bfloat16bEEELb0ELb1EEEEEvT_jjPNS7_10value_typeE
                                        ; -- End function
	.section	.AMDGPU.csdata,"",@progbits
; Kernel info:
; codeLenInByte = 312
; NumSgprs: 14
; NumVgprs: 6
; NumAgprs: 0
; TotalNumVgprs: 6
; ScratchSize: 0
; MemoryBound: 0
; FloatMode: 240
; IeeeMode: 1
; LDSByteSize: 0 bytes/workgroup (compile time only)
; SGPRBlocks: 1
; VGPRBlocks: 0
; NumSGPRsForWavesPerEU: 14
; NumVGPRsForWavesPerEU: 6
; AccumOffset: 8
; Occupancy: 8
; WaveLimiterHint : 0
; COMPUTE_PGM_RSRC2:SCRATCH_EN: 0
; COMPUTE_PGM_RSRC2:USER_SGPR: 6
; COMPUTE_PGM_RSRC2:TRAP_HANDLER: 0
; COMPUTE_PGM_RSRC2:TGID_X_EN: 1
; COMPUTE_PGM_RSRC2:TGID_Y_EN: 0
; COMPUTE_PGM_RSRC2:TGID_Z_EN: 0
; COMPUTE_PGM_RSRC2:TIDIG_COMP_CNT: 0
; COMPUTE_PGM_RSRC3_GFX90A:ACCUM_OFFSET: 1
; COMPUTE_PGM_RSRC3_GFX90A:TG_SPLIT: 0
	.section	.text._ZN7rocprim6detail25device_scan_by_key_kernelILNS0_25lookback_scan_determinismE0ELb0ENS0_26wrapped_scan_by_key_configINS_14default_configEi12hip_bfloat16EEPiN6hipcub22TransformInputIteratorIS5_NS8_6CastOpIS5_EEPS5_lEESC_S5_NS8_8EqualityENS8_3SumENS0_19lookback_scan_stateINS_5tupleIJS5_bEEELb1ELb1EEES5_EEvT2_T3_T4_T5_T6_T7_T8_mmmPKNSH_IJT9_bEEE,"axG",@progbits,_ZN7rocprim6detail25device_scan_by_key_kernelILNS0_25lookback_scan_determinismE0ELb0ENS0_26wrapped_scan_by_key_configINS_14default_configEi12hip_bfloat16EEPiN6hipcub22TransformInputIteratorIS5_NS8_6CastOpIS5_EEPS5_lEESC_S5_NS8_8EqualityENS8_3SumENS0_19lookback_scan_stateINS_5tupleIJS5_bEEELb1ELb1EEES5_EEvT2_T3_T4_T5_T6_T7_T8_mmmPKNSH_IJT9_bEEE,comdat
	.protected	_ZN7rocprim6detail25device_scan_by_key_kernelILNS0_25lookback_scan_determinismE0ELb0ENS0_26wrapped_scan_by_key_configINS_14default_configEi12hip_bfloat16EEPiN6hipcub22TransformInputIteratorIS5_NS8_6CastOpIS5_EEPS5_lEESC_S5_NS8_8EqualityENS8_3SumENS0_19lookback_scan_stateINS_5tupleIJS5_bEEELb1ELb1EEES5_EEvT2_T3_T4_T5_T6_T7_T8_mmmPKNSH_IJT9_bEEE ; -- Begin function _ZN7rocprim6detail25device_scan_by_key_kernelILNS0_25lookback_scan_determinismE0ELb0ENS0_26wrapped_scan_by_key_configINS_14default_configEi12hip_bfloat16EEPiN6hipcub22TransformInputIteratorIS5_NS8_6CastOpIS5_EEPS5_lEESC_S5_NS8_8EqualityENS8_3SumENS0_19lookback_scan_stateINS_5tupleIJS5_bEEELb1ELb1EEES5_EEvT2_T3_T4_T5_T6_T7_T8_mmmPKNSH_IJT9_bEEE
	.globl	_ZN7rocprim6detail25device_scan_by_key_kernelILNS0_25lookback_scan_determinismE0ELb0ENS0_26wrapped_scan_by_key_configINS_14default_configEi12hip_bfloat16EEPiN6hipcub22TransformInputIteratorIS5_NS8_6CastOpIS5_EEPS5_lEESC_S5_NS8_8EqualityENS8_3SumENS0_19lookback_scan_stateINS_5tupleIJS5_bEEELb1ELb1EEES5_EEvT2_T3_T4_T5_T6_T7_T8_mmmPKNSH_IJT9_bEEE
	.p2align	8
	.type	_ZN7rocprim6detail25device_scan_by_key_kernelILNS0_25lookback_scan_determinismE0ELb0ENS0_26wrapped_scan_by_key_configINS_14default_configEi12hip_bfloat16EEPiN6hipcub22TransformInputIteratorIS5_NS8_6CastOpIS5_EEPS5_lEESC_S5_NS8_8EqualityENS8_3SumENS0_19lookback_scan_stateINS_5tupleIJS5_bEEELb1ELb1EEES5_EEvT2_T3_T4_T5_T6_T7_T8_mmmPKNSH_IJT9_bEEE,@function
_ZN7rocprim6detail25device_scan_by_key_kernelILNS0_25lookback_scan_determinismE0ELb0ENS0_26wrapped_scan_by_key_configINS_14default_configEi12hip_bfloat16EEPiN6hipcub22TransformInputIteratorIS5_NS8_6CastOpIS5_EEPS5_lEESC_S5_NS8_8EqualityENS8_3SumENS0_19lookback_scan_stateINS_5tupleIJS5_bEEELb1ELb1EEES5_EEvT2_T3_T4_T5_T6_T7_T8_mmmPKNSH_IJT9_bEEE: ; @_ZN7rocprim6detail25device_scan_by_key_kernelILNS0_25lookback_scan_determinismE0ELb0ENS0_26wrapped_scan_by_key_configINS_14default_configEi12hip_bfloat16EEPiN6hipcub22TransformInputIteratorIS5_NS8_6CastOpIS5_EEPS5_lEESC_S5_NS8_8EqualityENS8_3SumENS0_19lookback_scan_stateINS_5tupleIJS5_bEEELb1ELb1EEES5_EEvT2_T3_T4_T5_T6_T7_T8_mmmPKNSH_IJT9_bEEE
; %bb.0:
	s_endpgm
	.section	.rodata,"a",@progbits
	.p2align	6, 0x0
	.amdhsa_kernel _ZN7rocprim6detail25device_scan_by_key_kernelILNS0_25lookback_scan_determinismE0ELb0ENS0_26wrapped_scan_by_key_configINS_14default_configEi12hip_bfloat16EEPiN6hipcub22TransformInputIteratorIS5_NS8_6CastOpIS5_EEPS5_lEESC_S5_NS8_8EqualityENS8_3SumENS0_19lookback_scan_stateINS_5tupleIJS5_bEEELb1ELb1EEES5_EEvT2_T3_T4_T5_T6_T7_T8_mmmPKNSH_IJT9_bEEE
		.amdhsa_group_segment_fixed_size 0
		.amdhsa_private_segment_fixed_size 0
		.amdhsa_kernarg_size 80
		.amdhsa_user_sgpr_count 6
		.amdhsa_user_sgpr_private_segment_buffer 1
		.amdhsa_user_sgpr_dispatch_ptr 0
		.amdhsa_user_sgpr_queue_ptr 0
		.amdhsa_user_sgpr_kernarg_segment_ptr 1
		.amdhsa_user_sgpr_dispatch_id 0
		.amdhsa_user_sgpr_flat_scratch_init 0
		.amdhsa_user_sgpr_kernarg_preload_length 0
		.amdhsa_user_sgpr_kernarg_preload_offset 0
		.amdhsa_user_sgpr_private_segment_size 0
		.amdhsa_uses_dynamic_stack 0
		.amdhsa_system_sgpr_private_segment_wavefront_offset 0
		.amdhsa_system_sgpr_workgroup_id_x 1
		.amdhsa_system_sgpr_workgroup_id_y 0
		.amdhsa_system_sgpr_workgroup_id_z 0
		.amdhsa_system_sgpr_workgroup_info 0
		.amdhsa_system_vgpr_workitem_id 0
		.amdhsa_next_free_vgpr 1
		.amdhsa_next_free_sgpr 0
		.amdhsa_accum_offset 4
		.amdhsa_reserve_vcc 0
		.amdhsa_reserve_flat_scratch 0
		.amdhsa_float_round_mode_32 0
		.amdhsa_float_round_mode_16_64 0
		.amdhsa_float_denorm_mode_32 3
		.amdhsa_float_denorm_mode_16_64 3
		.amdhsa_dx10_clamp 1
		.amdhsa_ieee_mode 1
		.amdhsa_fp16_overflow 0
		.amdhsa_tg_split 0
		.amdhsa_exception_fp_ieee_invalid_op 0
		.amdhsa_exception_fp_denorm_src 0
		.amdhsa_exception_fp_ieee_div_zero 0
		.amdhsa_exception_fp_ieee_overflow 0
		.amdhsa_exception_fp_ieee_underflow 0
		.amdhsa_exception_fp_ieee_inexact 0
		.amdhsa_exception_int_div_zero 0
	.end_amdhsa_kernel
	.section	.text._ZN7rocprim6detail25device_scan_by_key_kernelILNS0_25lookback_scan_determinismE0ELb0ENS0_26wrapped_scan_by_key_configINS_14default_configEi12hip_bfloat16EEPiN6hipcub22TransformInputIteratorIS5_NS8_6CastOpIS5_EEPS5_lEESC_S5_NS8_8EqualityENS8_3SumENS0_19lookback_scan_stateINS_5tupleIJS5_bEEELb1ELb1EEES5_EEvT2_T3_T4_T5_T6_T7_T8_mmmPKNSH_IJT9_bEEE,"axG",@progbits,_ZN7rocprim6detail25device_scan_by_key_kernelILNS0_25lookback_scan_determinismE0ELb0ENS0_26wrapped_scan_by_key_configINS_14default_configEi12hip_bfloat16EEPiN6hipcub22TransformInputIteratorIS5_NS8_6CastOpIS5_EEPS5_lEESC_S5_NS8_8EqualityENS8_3SumENS0_19lookback_scan_stateINS_5tupleIJS5_bEEELb1ELb1EEES5_EEvT2_T3_T4_T5_T6_T7_T8_mmmPKNSH_IJT9_bEEE,comdat
.Lfunc_end51:
	.size	_ZN7rocprim6detail25device_scan_by_key_kernelILNS0_25lookback_scan_determinismE0ELb0ENS0_26wrapped_scan_by_key_configINS_14default_configEi12hip_bfloat16EEPiN6hipcub22TransformInputIteratorIS5_NS8_6CastOpIS5_EEPS5_lEESC_S5_NS8_8EqualityENS8_3SumENS0_19lookback_scan_stateINS_5tupleIJS5_bEEELb1ELb1EEES5_EEvT2_T3_T4_T5_T6_T7_T8_mmmPKNSH_IJT9_bEEE, .Lfunc_end51-_ZN7rocprim6detail25device_scan_by_key_kernelILNS0_25lookback_scan_determinismE0ELb0ENS0_26wrapped_scan_by_key_configINS_14default_configEi12hip_bfloat16EEPiN6hipcub22TransformInputIteratorIS5_NS8_6CastOpIS5_EEPS5_lEESC_S5_NS8_8EqualityENS8_3SumENS0_19lookback_scan_stateINS_5tupleIJS5_bEEELb1ELb1EEES5_EEvT2_T3_T4_T5_T6_T7_T8_mmmPKNSH_IJT9_bEEE
                                        ; -- End function
	.section	.AMDGPU.csdata,"",@progbits
; Kernel info:
; codeLenInByte = 4
; NumSgprs: 4
; NumVgprs: 0
; NumAgprs: 0
; TotalNumVgprs: 0
; ScratchSize: 0
; MemoryBound: 0
; FloatMode: 240
; IeeeMode: 1
; LDSByteSize: 0 bytes/workgroup (compile time only)
; SGPRBlocks: 0
; VGPRBlocks: 0
; NumSGPRsForWavesPerEU: 4
; NumVGPRsForWavesPerEU: 1
; AccumOffset: 4
; Occupancy: 8
; WaveLimiterHint : 0
; COMPUTE_PGM_RSRC2:SCRATCH_EN: 0
; COMPUTE_PGM_RSRC2:USER_SGPR: 6
; COMPUTE_PGM_RSRC2:TRAP_HANDLER: 0
; COMPUTE_PGM_RSRC2:TGID_X_EN: 1
; COMPUTE_PGM_RSRC2:TGID_Y_EN: 0
; COMPUTE_PGM_RSRC2:TGID_Z_EN: 0
; COMPUTE_PGM_RSRC2:TIDIG_COMP_CNT: 0
; COMPUTE_PGM_RSRC3_GFX90A:ACCUM_OFFSET: 0
; COMPUTE_PGM_RSRC3_GFX90A:TG_SPLIT: 0
	.section	.text._ZN7rocprim6detail25device_scan_by_key_kernelILNS0_25lookback_scan_determinismE0ELb0ENS0_26wrapped_scan_by_key_configINS_14default_configEi12hip_bfloat16EEPiN6hipcub22TransformInputIteratorIS5_NS8_6CastOpIS5_EEPS5_lEESC_S5_NS8_8EqualityENS8_3SumENS0_19lookback_scan_stateINS_5tupleIJS5_bEEELb0ELb1EEES5_EEvT2_T3_T4_T5_T6_T7_T8_mmmPKNSH_IJT9_bEEE,"axG",@progbits,_ZN7rocprim6detail25device_scan_by_key_kernelILNS0_25lookback_scan_determinismE0ELb0ENS0_26wrapped_scan_by_key_configINS_14default_configEi12hip_bfloat16EEPiN6hipcub22TransformInputIteratorIS5_NS8_6CastOpIS5_EEPS5_lEESC_S5_NS8_8EqualityENS8_3SumENS0_19lookback_scan_stateINS_5tupleIJS5_bEEELb0ELb1EEES5_EEvT2_T3_T4_T5_T6_T7_T8_mmmPKNSH_IJT9_bEEE,comdat
	.protected	_ZN7rocprim6detail25device_scan_by_key_kernelILNS0_25lookback_scan_determinismE0ELb0ENS0_26wrapped_scan_by_key_configINS_14default_configEi12hip_bfloat16EEPiN6hipcub22TransformInputIteratorIS5_NS8_6CastOpIS5_EEPS5_lEESC_S5_NS8_8EqualityENS8_3SumENS0_19lookback_scan_stateINS_5tupleIJS5_bEEELb0ELb1EEES5_EEvT2_T3_T4_T5_T6_T7_T8_mmmPKNSH_IJT9_bEEE ; -- Begin function _ZN7rocprim6detail25device_scan_by_key_kernelILNS0_25lookback_scan_determinismE0ELb0ENS0_26wrapped_scan_by_key_configINS_14default_configEi12hip_bfloat16EEPiN6hipcub22TransformInputIteratorIS5_NS8_6CastOpIS5_EEPS5_lEESC_S5_NS8_8EqualityENS8_3SumENS0_19lookback_scan_stateINS_5tupleIJS5_bEEELb0ELb1EEES5_EEvT2_T3_T4_T5_T6_T7_T8_mmmPKNSH_IJT9_bEEE
	.globl	_ZN7rocprim6detail25device_scan_by_key_kernelILNS0_25lookback_scan_determinismE0ELb0ENS0_26wrapped_scan_by_key_configINS_14default_configEi12hip_bfloat16EEPiN6hipcub22TransformInputIteratorIS5_NS8_6CastOpIS5_EEPS5_lEESC_S5_NS8_8EqualityENS8_3SumENS0_19lookback_scan_stateINS_5tupleIJS5_bEEELb0ELb1EEES5_EEvT2_T3_T4_T5_T6_T7_T8_mmmPKNSH_IJT9_bEEE
	.p2align	8
	.type	_ZN7rocprim6detail25device_scan_by_key_kernelILNS0_25lookback_scan_determinismE0ELb0ENS0_26wrapped_scan_by_key_configINS_14default_configEi12hip_bfloat16EEPiN6hipcub22TransformInputIteratorIS5_NS8_6CastOpIS5_EEPS5_lEESC_S5_NS8_8EqualityENS8_3SumENS0_19lookback_scan_stateINS_5tupleIJS5_bEEELb0ELb1EEES5_EEvT2_T3_T4_T5_T6_T7_T8_mmmPKNSH_IJT9_bEEE,@function
_ZN7rocprim6detail25device_scan_by_key_kernelILNS0_25lookback_scan_determinismE0ELb0ENS0_26wrapped_scan_by_key_configINS_14default_configEi12hip_bfloat16EEPiN6hipcub22TransformInputIteratorIS5_NS8_6CastOpIS5_EEPS5_lEESC_S5_NS8_8EqualityENS8_3SumENS0_19lookback_scan_stateINS_5tupleIJS5_bEEELb0ELb1EEES5_EEvT2_T3_T4_T5_T6_T7_T8_mmmPKNSH_IJT9_bEEE: ; @_ZN7rocprim6detail25device_scan_by_key_kernelILNS0_25lookback_scan_determinismE0ELb0ENS0_26wrapped_scan_by_key_configINS_14default_configEi12hip_bfloat16EEPiN6hipcub22TransformInputIteratorIS5_NS8_6CastOpIS5_EEPS5_lEESC_S5_NS8_8EqualityENS8_3SumENS0_19lookback_scan_stateINS_5tupleIJS5_bEEELb0ELb1EEES5_EEvT2_T3_T4_T5_T6_T7_T8_mmmPKNSH_IJT9_bEEE
; %bb.0:
	s_load_dwordx4 s[0:3], s[4:5], 0x0
	s_load_dwordx8 s[60:67], s[4:5], 0x28
	s_load_dwordx2 s[56:57], s[4:5], 0x48
	s_mul_i32 s8, s6, 0x600
	s_mov_b32 s9, 0
	s_lshl_b64 s[10:11], s[8:9], 2
	s_waitcnt lgkmcnt(0)
	s_add_u32 s70, s0, s10
	s_addc_u32 s71, s1, s11
	s_lshl_b64 s[58:59], s[8:9], 1
	s_add_u32 s68, s2, s58
	s_addc_u32 s69, s3, s59
	s_add_u32 s0, s6, s64
	s_addc_u32 s1, 0, s65
	s_add_u32 s2, s66, -1
	s_addc_u32 s3, s67, -1
	v_pk_mov_b32 v[2:3], s[2:3], s[2:3] op_sel:[0,1]
	v_cmp_ge_u64_e64 s[0:1], s[0:1], v[2:3]
	s_mov_b64 s[10:11], -1
	s_and_b64 vcc, exec, s[0:1]
	s_mul_i32 s33, s2, 0xfffffa00
	v_lshlrev_b32_e32 v52, 2, v0
	s_cbranch_vccz .LBB52_124
; %bb.1:
	s_load_dword s63, s[70:71], 0x0
	s_add_i32 s7, s33, s62
	v_mov_b32_e32 v1, s71
	v_add_co_u32_e32 v2, vcc, s70, v52
	v_addc_co_u32_e32 v3, vcc, 0, v1, vcc
	v_cmp_gt_u32_e64 s[2:3], s7, v0
	s_waitcnt lgkmcnt(0)
	v_mov_b32_e32 v1, s63
	s_and_saveexec_b64 s[8:9], s[2:3]
	s_cbranch_execz .LBB52_3
; %bb.2:
	global_load_dword v1, v[2:3], off
.LBB52_3:
	s_or_b64 exec, exec, s[8:9]
	v_or_b32_e32 v4, 64, v0
	v_cmp_gt_u32_e64 s[54:55], s7, v4
	v_mov_b32_e32 v4, s63
	s_and_saveexec_b64 s[8:9], s[54:55]
	s_cbranch_execz .LBB52_5
; %bb.4:
	global_load_dword v4, v[2:3], off offset:256
.LBB52_5:
	s_or_b64 exec, exec, s[8:9]
	v_or_b32_e32 v5, 0x80, v0
	v_cmp_gt_u32_e64 s[8:9], s7, v5
	v_mov_b32_e32 v5, s63
	s_and_saveexec_b64 s[10:11], s[8:9]
	s_cbranch_execz .LBB52_7
; %bb.6:
	global_load_dword v5, v[2:3], off offset:512
.LBB52_7:
	;; [unrolled: 9-line block ×15, first 2 shown]
	s_or_b64 exec, exec, s[38:39]
	v_or_b32_e32 v19, 0x400, v0
	v_cmp_gt_u32_e64 s[38:39], s7, v19
	v_mov_b32_e32 v19, s63
	s_and_saveexec_b64 s[40:41], s[38:39]
	s_cbranch_execz .LBB52_35
; %bb.34:
	v_add_co_u32_e32 v20, vcc, 0x1000, v2
	v_addc_co_u32_e32 v21, vcc, 0, v3, vcc
	global_load_dword v19, v[20:21], off
.LBB52_35:
	s_or_b64 exec, exec, s[40:41]
	v_or_b32_e32 v20, 0x440, v0
	v_cmp_gt_u32_e64 s[40:41], s7, v20
	v_mov_b32_e32 v20, s63
	s_and_saveexec_b64 s[42:43], s[40:41]
	s_cbranch_execz .LBB52_37
; %bb.36:
	v_add_co_u32_e32 v20, vcc, 0x1000, v2
	v_addc_co_u32_e32 v21, vcc, 0, v3, vcc
	global_load_dword v20, v[20:21], off offset:256
.LBB52_37:
	s_or_b64 exec, exec, s[42:43]
	v_or_b32_e32 v21, 0x480, v0
	v_cmp_gt_u32_e64 s[42:43], s7, v21
	v_mov_b32_e32 v21, s63
	s_and_saveexec_b64 s[44:45], s[42:43]
	s_cbranch_execz .LBB52_39
; %bb.38:
	v_add_co_u32_e32 v22, vcc, 0x1000, v2
	v_addc_co_u32_e32 v23, vcc, 0, v3, vcc
	global_load_dword v21, v[22:23], off offset:512
.LBB52_39:
	;; [unrolled: 11-line block ×7, first 2 shown]
	s_or_b64 exec, exec, s[66:67]
	s_sub_u32 s66, 0, s6
	s_subb_u32 s67, 0, 0
	s_cmp_eq_u64 s[66:67], s[64:65]
	s_movk_i32 s63, 0x5c
	s_cselect_b32 s66, 0, -4
	s_waitcnt vmcnt(0)
	ds_write2st64_b32 v52, v1, v4 offset1:1
	ds_write2st64_b32 v52, v5, v6 offset0:2 offset1:3
	ds_write2st64_b32 v52, v7, v8 offset0:4 offset1:5
	;; [unrolled: 1-line block ×11, first 2 shown]
	v_mad_u32_u24 v1, v0, s63, v52
	s_cselect_b32 s63, 0, -1
	s_add_u32 s66, s70, s66
	s_addc_u32 s67, s71, s63
	s_waitcnt lgkmcnt(0)
	; wave barrier
	s_waitcnt lgkmcnt(0)
	ds_read_b128 v[22:25], v1
	ds_read_b128 v[18:21], v1 offset:16
	ds_read_b128 v[14:17], v1 offset:32
	;; [unrolled: 1-line block ×5, first 2 shown]
	s_load_dword s63, s[66:67], 0x0
	s_movk_i32 s66, 0xffa4
	v_mad_i32_i24 v1, v0, s66, v1
	v_cmp_ne_u32_e32 vcc, 0, v0
	s_waitcnt lgkmcnt(0)
	ds_write_b32 v1, v5 offset:6144
	v_mov_b32_e32 v28, s63
	s_waitcnt lgkmcnt(0)
	; wave barrier
	s_waitcnt lgkmcnt(0)
	s_and_saveexec_b64 s[66:67], vcc
	s_cbranch_execz .LBB52_51
; %bb.50:
	ds_read_b32 v28, v1 offset:6140
.LBB52_51:
	s_or_b64 exec, exec, s[66:67]
	v_lshlrev_b32_e32 v29, 1, v0
	v_mov_b32_e32 v27, s69
	v_add_co_u32_e32 v26, vcc, s68, v29
	v_addc_co_u32_e32 v27, vcc, 0, v27, vcc
	s_waitcnt lgkmcnt(0)
	; wave barrier
	s_waitcnt lgkmcnt(0)
                                        ; implicit-def: $vgpr30
	s_and_saveexec_b64 s[66:67], s[2:3]
	s_cbranch_execz .LBB52_597
; %bb.52:
	global_load_ushort v30, v[26:27], off
	s_or_b64 exec, exec, s[66:67]
                                        ; implicit-def: $vgpr31
	s_and_saveexec_b64 s[2:3], s[54:55]
	s_cbranch_execnz .LBB52_598
.LBB52_53:
	s_or_b64 exec, exec, s[2:3]
                                        ; implicit-def: $vgpr32
	s_and_saveexec_b64 s[2:3], s[8:9]
	s_cbranch_execz .LBB52_599
.LBB52_54:
	global_load_ushort v32, v[26:27], off offset:256
	s_or_b64 exec, exec, s[2:3]
                                        ; implicit-def: $vgpr33
	s_and_saveexec_b64 s[2:3], s[10:11]
	s_cbranch_execnz .LBB52_600
.LBB52_55:
	s_or_b64 exec, exec, s[2:3]
                                        ; implicit-def: $vgpr34
	s_and_saveexec_b64 s[2:3], s[12:13]
	s_cbranch_execz .LBB52_601
.LBB52_56:
	global_load_ushort v34, v[26:27], off offset:512
	s_or_b64 exec, exec, s[2:3]
                                        ; implicit-def: $vgpr35
	s_and_saveexec_b64 s[2:3], s[14:15]
	s_cbranch_execnz .LBB52_602
.LBB52_57:
	s_or_b64 exec, exec, s[2:3]
                                        ; implicit-def: $vgpr36
	s_and_saveexec_b64 s[2:3], s[16:17]
	s_cbranch_execz .LBB52_603
.LBB52_58:
	global_load_ushort v36, v[26:27], off offset:768
	s_or_b64 exec, exec, s[2:3]
                                        ; implicit-def: $vgpr37
	s_and_saveexec_b64 s[2:3], s[18:19]
	s_cbranch_execnz .LBB52_604
.LBB52_59:
	s_or_b64 exec, exec, s[2:3]
                                        ; implicit-def: $vgpr38
	s_and_saveexec_b64 s[2:3], s[20:21]
	s_cbranch_execz .LBB52_605
.LBB52_60:
	global_load_ushort v38, v[26:27], off offset:1024
	s_or_b64 exec, exec, s[2:3]
                                        ; implicit-def: $vgpr39
	s_and_saveexec_b64 s[2:3], s[22:23]
	s_cbranch_execnz .LBB52_606
.LBB52_61:
	s_or_b64 exec, exec, s[2:3]
                                        ; implicit-def: $vgpr40
	s_and_saveexec_b64 s[2:3], s[24:25]
	s_cbranch_execz .LBB52_607
.LBB52_62:
	global_load_ushort v40, v[26:27], off offset:1280
	s_or_b64 exec, exec, s[2:3]
                                        ; implicit-def: $vgpr41
	s_and_saveexec_b64 s[2:3], s[26:27]
	s_cbranch_execnz .LBB52_608
.LBB52_63:
	s_or_b64 exec, exec, s[2:3]
                                        ; implicit-def: $vgpr42
	s_and_saveexec_b64 s[2:3], s[28:29]
	s_cbranch_execz .LBB52_609
.LBB52_64:
	global_load_ushort v42, v[26:27], off offset:1536
	s_or_b64 exec, exec, s[2:3]
                                        ; implicit-def: $vgpr43
	s_and_saveexec_b64 s[2:3], s[30:31]
	s_cbranch_execnz .LBB52_610
.LBB52_65:
	s_or_b64 exec, exec, s[2:3]
                                        ; implicit-def: $vgpr44
	s_and_saveexec_b64 s[2:3], s[34:35]
	s_cbranch_execz .LBB52_611
.LBB52_66:
	global_load_ushort v44, v[26:27], off offset:1792
	s_or_b64 exec, exec, s[2:3]
                                        ; implicit-def: $vgpr45
	s_and_saveexec_b64 s[2:3], s[36:37]
	s_cbranch_execnz .LBB52_612
.LBB52_67:
	s_or_b64 exec, exec, s[2:3]
                                        ; implicit-def: $vgpr46
	s_and_saveexec_b64 s[2:3], s[38:39]
	s_cbranch_execz .LBB52_613
.LBB52_68:
	global_load_ushort v46, v[26:27], off offset:2048
	s_or_b64 exec, exec, s[2:3]
                                        ; implicit-def: $vgpr47
	s_and_saveexec_b64 s[2:3], s[40:41]
	s_cbranch_execnz .LBB52_614
.LBB52_69:
	s_or_b64 exec, exec, s[2:3]
                                        ; implicit-def: $vgpr48
	s_and_saveexec_b64 s[2:3], s[42:43]
	s_cbranch_execz .LBB52_615
.LBB52_70:
	global_load_ushort v48, v[26:27], off offset:2304
	s_or_b64 exec, exec, s[2:3]
                                        ; implicit-def: $vgpr49
	s_and_saveexec_b64 s[2:3], s[44:45]
	s_cbranch_execnz .LBB52_616
.LBB52_71:
	s_or_b64 exec, exec, s[2:3]
                                        ; implicit-def: $vgpr50
	s_and_saveexec_b64 s[2:3], s[46:47]
	s_cbranch_execz .LBB52_617
.LBB52_72:
	global_load_ushort v50, v[26:27], off offset:2560
	s_or_b64 exec, exec, s[2:3]
                                        ; implicit-def: $vgpr51
	s_and_saveexec_b64 s[2:3], s[48:49]
	s_cbranch_execnz .LBB52_618
.LBB52_73:
	s_or_b64 exec, exec, s[2:3]
                                        ; implicit-def: $vgpr53
	s_and_saveexec_b64 s[2:3], s[50:51]
	s_cbranch_execz .LBB52_75
.LBB52_74:
	global_load_ushort v53, v[26:27], off offset:2816
.LBB52_75:
	s_or_b64 exec, exec, s[2:3]
	v_mul_u32_u24_e32 v54, 24, v0
                                        ; implicit-def: $vgpr55
	s_and_saveexec_b64 s[2:3], s[52:53]
	s_cbranch_execz .LBB52_77
; %bb.76:
	global_load_ushort v55, v[26:27], off offset:2944
.LBB52_77:
	s_or_b64 exec, exec, s[2:3]
	s_mov_b32 s8, 0
	v_sub_u32_e32 v26, v1, v29
	s_mov_b32 s9, s8
	s_waitcnt vmcnt(0)
	ds_write_b16 v26, v30
	ds_write_b16 v26, v31 offset:128
	ds_write_b16 v26, v32 offset:256
	;; [unrolled: 1-line block ×23, first 2 shown]
	v_cmp_gt_u32_e32 vcc, s7, v54
	s_mov_b64 s[10:11], 0
	v_pk_mov_b32 v[30:31], s[8:9], s[8:9] op_sel:[0,1]
	v_mov_b32_e32 v1, 0
	s_mov_b64 s[16:17], 0
	v_pk_mov_b32 v[32:33], s[8:9], s[8:9] op_sel:[0,1]
	v_pk_mov_b32 v[34:35], s[8:9], s[8:9] op_sel:[0,1]
	;; [unrolled: 1-line block ×10, first 2 shown]
	s_waitcnt lgkmcnt(0)
	; wave barrier
	s_waitcnt lgkmcnt(0)
                                        ; implicit-def: $sgpr14_sgpr15
                                        ; implicit-def: $vgpr53
	s_and_saveexec_b64 s[12:13], vcc
	s_cbranch_execz .LBB52_123
; %bb.78:
	v_mad_u32_u24 v1, v0, 46, v26
	ds_read_u16 v1, v1
	s_waitcnt lgkmcnt(14)
	v_cmp_ne_u32_e32 vcc, v28, v22
	s_mov_b32 s18, 0
	v_or_b32_e32 v27, 1, v54
	v_cndmask_b32_e64 v28, 0, 1, vcc
	v_mov_b32_e32 v50, 0
	s_mov_b32 s19, s18
	v_cmp_gt_u32_e32 vcc, s7, v27
	s_waitcnt lgkmcnt(0)
	v_lshl_or_b32 v51, v28, 16, v1
	s_mov_b64 s[2:3], 0
	v_pk_mov_b32 v[30:31], s[18:19], s[18:19] op_sel:[0,1]
	v_pk_mov_b32 v[32:33], s[18:19], s[18:19] op_sel:[0,1]
	;; [unrolled: 1-line block ×10, first 2 shown]
	v_mov_b32_e32 v1, v50
                                        ; implicit-def: $sgpr16_sgpr17
                                        ; implicit-def: $vgpr53
	s_and_saveexec_b64 s[14:15], vcc
	s_cbranch_execz .LBB52_122
; %bb.79:
	v_mul_u32_u24_e32 v1, 46, v0
	v_add_u32_e32 v55, v26, v1
	ds_read_b128 v[26:29], v55 offset:2
	v_or_b32_e32 v1, 2, v54
	v_cmp_ne_u32_e32 vcc, v22, v23
	v_cndmask_b32_e64 v22, 0, 1, vcc
	v_cmp_gt_u32_e32 vcc, s7, v1
	s_waitcnt lgkmcnt(0)
	v_and_b32_e32 v1, 0xffff, v26
	v_pk_mov_b32 v[30:31], s[18:19], s[18:19] op_sel:[0,1]
	v_lshl_or_b32 v50, v22, 16, v1
	v_mov_b32_e32 v1, 0
	v_pk_mov_b32 v[32:33], v[30:31], v[30:31] op_sel:[0,1]
	v_pk_mov_b32 v[34:35], v[30:31], v[30:31] op_sel:[0,1]
	;; [unrolled: 1-line block ×9, first 2 shown]
                                        ; implicit-def: $sgpr18_sgpr19
                                        ; implicit-def: $vgpr53
	s_and_saveexec_b64 s[16:17], vcc
	s_cbranch_execz .LBB52_121
; %bb.80:
	v_cmp_ne_u32_e32 vcc, v23, v24
	s_mov_b32 s22, 0
	v_or_b32_e32 v1, 3, v54
	v_cndmask_b32_e64 v22, 0, 1, vcc
	v_mov_b32_e32 v49, 0
	s_mov_b32 s23, s22
	v_alignbit_b32 v48, v22, v26, 16
	v_cmp_gt_u32_e32 vcc, s7, v1
	v_pk_mov_b32 v[30:31], s[22:23], s[22:23] op_sel:[0,1]
	v_pk_mov_b32 v[32:33], s[22:23], s[22:23] op_sel:[0,1]
	;; [unrolled: 1-line block ×9, first 2 shown]
	v_mov_b32_e32 v1, v49
                                        ; implicit-def: $sgpr20_sgpr21
                                        ; implicit-def: $vgpr53
	s_and_saveexec_b64 s[18:19], vcc
	s_cbranch_execz .LBB52_120
; %bb.81:
	v_cmp_ne_u32_e32 vcc, v24, v25
	v_and_b32_e32 v1, 0xffff, v27
	v_or_b32_e32 v22, 4, v54
	v_cndmask_b32_e64 v23, 0, 1, vcc
	v_pk_mov_b32 v[30:31], s[22:23], s[22:23] op_sel:[0,1]
	v_lshl_or_b32 v49, v23, 16, v1
	v_cmp_gt_u32_e32 vcc, s7, v22
	v_mov_b32_e32 v1, 0
	v_pk_mov_b32 v[32:33], v[30:31], v[30:31] op_sel:[0,1]
	v_pk_mov_b32 v[34:35], v[30:31], v[30:31] op_sel:[0,1]
	;; [unrolled: 1-line block ×8, first 2 shown]
                                        ; implicit-def: $sgpr22_sgpr23
                                        ; implicit-def: $vgpr53
	s_and_saveexec_b64 s[20:21], vcc
	s_cbranch_execz .LBB52_119
; %bb.82:
	v_cmp_ne_u32_e32 vcc, v25, v18
	s_mov_b32 s26, 0
	v_or_b32_e32 v1, 5, v54
	v_cndmask_b32_e64 v22, 0, 1, vcc
	v_mov_b32_e32 v47, 0
	s_mov_b32 s27, s26
	v_alignbit_b32 v46, v22, v27, 16
	v_cmp_gt_u32_e32 vcc, s7, v1
	v_pk_mov_b32 v[30:31], s[26:27], s[26:27] op_sel:[0,1]
	v_pk_mov_b32 v[32:33], s[26:27], s[26:27] op_sel:[0,1]
	;; [unrolled: 1-line block ×8, first 2 shown]
	v_mov_b32_e32 v1, v47
                                        ; implicit-def: $sgpr24_sgpr25
                                        ; implicit-def: $vgpr53
	s_and_saveexec_b64 s[22:23], vcc
	s_cbranch_execz .LBB52_118
; %bb.83:
	v_cmp_ne_u32_e32 vcc, v18, v19
	v_and_b32_e32 v1, 0xffff, v28
	v_or_b32_e32 v22, 6, v54
	v_cndmask_b32_e64 v18, 0, 1, vcc
	v_pk_mov_b32 v[30:31], s[26:27], s[26:27] op_sel:[0,1]
	v_lshl_or_b32 v47, v18, 16, v1
	v_cmp_gt_u32_e32 vcc, s7, v22
	v_mov_b32_e32 v1, 0
	v_pk_mov_b32 v[32:33], v[30:31], v[30:31] op_sel:[0,1]
	v_pk_mov_b32 v[34:35], v[30:31], v[30:31] op_sel:[0,1]
	;; [unrolled: 1-line block ×7, first 2 shown]
                                        ; implicit-def: $sgpr26_sgpr27
                                        ; implicit-def: $vgpr53
	s_and_saveexec_b64 s[24:25], vcc
	s_cbranch_execz .LBB52_117
; %bb.84:
	v_cmp_ne_u32_e32 vcc, v19, v20
	s_mov_b32 s30, 0
	v_or_b32_e32 v1, 7, v54
	v_cndmask_b32_e64 v18, 0, 1, vcc
	v_mov_b32_e32 v45, 0
	s_mov_b32 s31, s30
	v_alignbit_b32 v44, v18, v28, 16
	v_cmp_gt_u32_e32 vcc, s7, v1
	v_pk_mov_b32 v[30:31], s[30:31], s[30:31] op_sel:[0,1]
	v_pk_mov_b32 v[32:33], s[30:31], s[30:31] op_sel:[0,1]
	;; [unrolled: 1-line block ×7, first 2 shown]
	v_mov_b32_e32 v1, v45
                                        ; implicit-def: $sgpr28_sgpr29
                                        ; implicit-def: $vgpr53
	s_and_saveexec_b64 s[26:27], vcc
	s_cbranch_execz .LBB52_116
; %bb.85:
	v_cmp_ne_u32_e32 vcc, v20, v21
	v_and_b32_e32 v1, 0xffff, v29
	v_add_u32_e32 v18, 8, v54
	v_cndmask_b32_e64 v19, 0, 1, vcc
	v_pk_mov_b32 v[30:31], s[30:31], s[30:31] op_sel:[0,1]
	v_lshl_or_b32 v45, v19, 16, v1
	v_cmp_gt_u32_e32 vcc, s7, v18
	v_mov_b32_e32 v1, 0
	v_pk_mov_b32 v[32:33], v[30:31], v[30:31] op_sel:[0,1]
	v_pk_mov_b32 v[34:35], v[30:31], v[30:31] op_sel:[0,1]
	;; [unrolled: 1-line block ×6, first 2 shown]
                                        ; implicit-def: $sgpr30_sgpr31
                                        ; implicit-def: $vgpr53
	s_and_saveexec_b64 s[28:29], vcc
	s_cbranch_execz .LBB52_115
; %bb.86:
	v_cmp_ne_u32_e32 vcc, v21, v14
	s_mov_b32 s36, 0
	v_add_u32_e32 v1, 9, v54
	v_cndmask_b32_e64 v18, 0, 1, vcc
	v_mov_b32_e32 v43, 0
	s_mov_b32 s37, s36
	v_alignbit_b32 v42, v18, v29, 16
	v_cmp_gt_u32_e32 vcc, s7, v1
	v_pk_mov_b32 v[30:31], s[36:37], s[36:37] op_sel:[0,1]
	v_pk_mov_b32 v[32:33], s[36:37], s[36:37] op_sel:[0,1]
	;; [unrolled: 1-line block ×6, first 2 shown]
	v_mov_b32_e32 v1, v43
                                        ; implicit-def: $sgpr34_sgpr35
                                        ; implicit-def: $vgpr53
	s_and_saveexec_b64 s[30:31], vcc
	s_cbranch_execz .LBB52_114
; %bb.87:
	ds_read_b128 v[18:21], v55 offset:18
	v_add_u32_e32 v1, 10, v54
	v_cmp_ne_u32_e32 vcc, v14, v15
	v_cndmask_b32_e64 v14, 0, 1, vcc
	v_cmp_gt_u32_e32 vcc, s7, v1
	s_waitcnt lgkmcnt(0)
	v_and_b32_e32 v1, 0xffff, v18
	v_pk_mov_b32 v[30:31], s[36:37], s[36:37] op_sel:[0,1]
	v_lshl_or_b32 v43, v14, 16, v1
	v_mov_b32_e32 v1, 0
	v_pk_mov_b32 v[32:33], v[30:31], v[30:31] op_sel:[0,1]
	v_pk_mov_b32 v[34:35], v[30:31], v[30:31] op_sel:[0,1]
	;; [unrolled: 1-line block ×5, first 2 shown]
                                        ; implicit-def: $sgpr36_sgpr37
                                        ; implicit-def: $vgpr53
	s_and_saveexec_b64 s[34:35], vcc
	s_cbranch_execz .LBB52_113
; %bb.88:
	v_cmp_ne_u32_e32 vcc, v15, v16
	s_mov_b32 s40, 0
	v_add_u32_e32 v1, 11, v54
	v_cndmask_b32_e64 v14, 0, 1, vcc
	v_mov_b32_e32 v41, 0
	s_mov_b32 s41, s40
	v_alignbit_b32 v40, v14, v18, 16
	v_cmp_gt_u32_e32 vcc, s7, v1
	v_pk_mov_b32 v[30:31], s[40:41], s[40:41] op_sel:[0,1]
	v_pk_mov_b32 v[32:33], s[40:41], s[40:41] op_sel:[0,1]
	;; [unrolled: 1-line block ×5, first 2 shown]
	v_mov_b32_e32 v1, v41
                                        ; implicit-def: $sgpr38_sgpr39
                                        ; implicit-def: $vgpr53
	s_and_saveexec_b64 s[36:37], vcc
	s_cbranch_execz .LBB52_112
; %bb.89:
	v_cmp_ne_u32_e32 vcc, v16, v17
	v_and_b32_e32 v1, 0xffff, v19
	v_add_u32_e32 v14, 12, v54
	v_cndmask_b32_e64 v15, 0, 1, vcc
	v_pk_mov_b32 v[30:31], s[40:41], s[40:41] op_sel:[0,1]
	v_lshl_or_b32 v41, v15, 16, v1
	v_cmp_gt_u32_e32 vcc, s7, v14
	v_mov_b32_e32 v1, 0
	v_pk_mov_b32 v[32:33], v[30:31], v[30:31] op_sel:[0,1]
	v_pk_mov_b32 v[34:35], v[30:31], v[30:31] op_sel:[0,1]
	;; [unrolled: 1-line block ×4, first 2 shown]
                                        ; implicit-def: $sgpr40_sgpr41
                                        ; implicit-def: $vgpr53
	s_and_saveexec_b64 s[38:39], vcc
	s_cbranch_execz .LBB52_111
; %bb.90:
	v_cmp_ne_u32_e32 vcc, v17, v10
	s_mov_b32 s44, 0
	v_add_u32_e32 v1, 13, v54
	v_cndmask_b32_e64 v14, 0, 1, vcc
	v_mov_b32_e32 v39, 0
	s_mov_b32 s45, s44
	v_alignbit_b32 v38, v14, v19, 16
	v_cmp_gt_u32_e32 vcc, s7, v1
	v_pk_mov_b32 v[30:31], s[44:45], s[44:45] op_sel:[0,1]
	v_pk_mov_b32 v[32:33], s[44:45], s[44:45] op_sel:[0,1]
	;; [unrolled: 1-line block ×4, first 2 shown]
	v_mov_b32_e32 v1, v39
                                        ; implicit-def: $sgpr42_sgpr43
                                        ; implicit-def: $vgpr53
	s_and_saveexec_b64 s[40:41], vcc
	s_cbranch_execz .LBB52_110
; %bb.91:
	v_cmp_ne_u32_e32 vcc, v10, v11
	v_and_b32_e32 v1, 0xffff, v20
	v_add_u32_e32 v14, 14, v54
	v_cndmask_b32_e64 v10, 0, 1, vcc
	v_pk_mov_b32 v[30:31], s[44:45], s[44:45] op_sel:[0,1]
	v_lshl_or_b32 v39, v10, 16, v1
	v_cmp_gt_u32_e32 vcc, s7, v14
	v_mov_b32_e32 v1, 0
	v_pk_mov_b32 v[32:33], v[30:31], v[30:31] op_sel:[0,1]
	v_pk_mov_b32 v[34:35], v[30:31], v[30:31] op_sel:[0,1]
	;; [unrolled: 1-line block ×3, first 2 shown]
                                        ; implicit-def: $sgpr44_sgpr45
                                        ; implicit-def: $vgpr53
	s_and_saveexec_b64 s[42:43], vcc
	s_cbranch_execz .LBB52_109
; %bb.92:
	v_cmp_ne_u32_e32 vcc, v11, v12
	s_mov_b32 s48, 0
	v_add_u32_e32 v1, 15, v54
	v_cndmask_b32_e64 v10, 0, 1, vcc
	v_mov_b32_e32 v37, 0
	s_mov_b32 s49, s48
	v_alignbit_b32 v36, v10, v20, 16
	v_cmp_gt_u32_e32 vcc, s7, v1
	v_pk_mov_b32 v[30:31], s[48:49], s[48:49] op_sel:[0,1]
	v_pk_mov_b32 v[32:33], s[48:49], s[48:49] op_sel:[0,1]
	;; [unrolled: 1-line block ×3, first 2 shown]
	v_mov_b32_e32 v1, v37
                                        ; implicit-def: $sgpr46_sgpr47
                                        ; implicit-def: $vgpr53
	s_and_saveexec_b64 s[44:45], vcc
	s_cbranch_execz .LBB52_108
; %bb.93:
	v_cmp_ne_u32_e32 vcc, v12, v13
	v_and_b32_e32 v1, 0xffff, v21
	v_add_u32_e32 v10, 16, v54
	v_cndmask_b32_e64 v11, 0, 1, vcc
	v_pk_mov_b32 v[30:31], s[48:49], s[48:49] op_sel:[0,1]
	v_lshl_or_b32 v37, v11, 16, v1
	v_cmp_gt_u32_e32 vcc, s7, v10
	v_mov_b32_e32 v1, 0
	v_pk_mov_b32 v[32:33], v[30:31], v[30:31] op_sel:[0,1]
	v_pk_mov_b32 v[34:35], v[30:31], v[30:31] op_sel:[0,1]
                                        ; implicit-def: $sgpr48_sgpr49
                                        ; implicit-def: $vgpr53
	s_and_saveexec_b64 s[46:47], vcc
	s_cbranch_execz .LBB52_107
; %bb.94:
	v_cmp_ne_u32_e32 vcc, v13, v6
	s_mov_b32 s52, 0
	v_add_u32_e32 v1, 17, v54
	v_cndmask_b32_e64 v10, 0, 1, vcc
	v_mov_b32_e32 v35, 0
	s_mov_b32 s53, s52
	v_alignbit_b32 v34, v10, v21, 16
	v_cmp_gt_u32_e32 vcc, s7, v1
	v_pk_mov_b32 v[30:31], s[52:53], s[52:53] op_sel:[0,1]
	v_pk_mov_b32 v[32:33], s[52:53], s[52:53] op_sel:[0,1]
	v_mov_b32_e32 v1, v35
                                        ; implicit-def: $sgpr50_sgpr51
                                        ; implicit-def: $vgpr53
	s_and_saveexec_b64 s[48:49], vcc
	s_cbranch_execz .LBB52_106
; %bb.95:
	ds_read_b96 v[10:12], v55 offset:34
	v_add_u32_e32 v1, 18, v54
	v_cmp_ne_u32_e32 vcc, v6, v7
	v_cndmask_b32_e64 v6, 0, 1, vcc
	v_cmp_gt_u32_e32 vcc, s7, v1
	s_waitcnt lgkmcnt(0)
	v_and_b32_e32 v1, 0xffff, v10
	v_pk_mov_b32 v[30:31], s[52:53], s[52:53] op_sel:[0,1]
	v_lshl_or_b32 v35, v6, 16, v1
	v_mov_b32_e32 v1, 0
	v_pk_mov_b32 v[32:33], v[30:31], v[30:31] op_sel:[0,1]
                                        ; implicit-def: $sgpr52_sgpr53
                                        ; implicit-def: $vgpr53
	s_and_saveexec_b64 s[50:51], vcc
	s_cbranch_execz .LBB52_105
; %bb.96:
	v_cmp_ne_u32_e32 vcc, v7, v8
	s_mov_b32 s66, 0
	v_add_u32_e32 v1, 19, v54
	v_cndmask_b32_e64 v6, 0, 1, vcc
	v_mov_b32_e32 v33, 0
	s_mov_b32 s67, s66
	v_alignbit_b32 v32, v6, v10, 16
	v_cmp_gt_u32_e32 vcc, s7, v1
	v_pk_mov_b32 v[30:31], s[66:67], s[66:67] op_sel:[0,1]
	v_mov_b32_e32 v1, v33
                                        ; implicit-def: $sgpr54_sgpr55
                                        ; implicit-def: $vgpr53
	s_and_saveexec_b64 s[52:53], vcc
	s_cbranch_execz .LBB52_104
; %bb.97:
	v_cmp_ne_u32_e32 vcc, v8, v9
	v_and_b32_e32 v1, 0xffff, v11
	v_add_u32_e32 v6, 20, v54
	v_cndmask_b32_e64 v7, 0, 1, vcc
	v_lshl_or_b32 v33, v7, 16, v1
	v_cmp_gt_u32_e32 vcc, s7, v6
	v_pk_mov_b32 v[30:31], s[66:67], s[66:67] op_sel:[0,1]
	v_mov_b32_e32 v1, 0
                                        ; implicit-def: $sgpr66_sgpr67
                                        ; implicit-def: $vgpr53
	s_and_saveexec_b64 s[54:55], vcc
	s_cbranch_execz .LBB52_103
; %bb.98:
	v_cmp_ne_u32_e32 vcc, v9, v2
	v_add_u32_e32 v1, 21, v54
	v_cndmask_b32_e64 v6, 0, 1, vcc
	v_mov_b32_e32 v31, 0
	v_alignbit_b32 v30, v6, v11, 16
	v_cmp_gt_u32_e32 vcc, s7, v1
	v_mov_b32_e32 v1, v31
                                        ; implicit-def: $sgpr72_sgpr73
                                        ; implicit-def: $vgpr53
	s_and_saveexec_b64 s[66:67], vcc
	s_cbranch_execz .LBB52_102
; %bb.99:
	v_cmp_ne_u32_e32 vcc, v2, v3
	v_and_b32_e32 v1, 0xffff, v12
	v_add_u32_e32 v6, 22, v54
	v_cndmask_b32_e64 v2, 0, 1, vcc
	v_lshl_or_b32 v31, v2, 16, v1
	v_cmp_gt_u32_e32 vcc, s7, v6
	v_mov_b32_e32 v1, 0
                                        ; implicit-def: $sgpr72_sgpr73
                                        ; implicit-def: $vgpr53
	s_and_saveexec_b64 s[74:75], vcc
	s_xor_b64 s[74:75], exec, s[74:75]
	s_cbranch_execz .LBB52_101
; %bb.100:
	ds_read_u16 v53, v55 offset:46
	v_add_u32_e32 v2, 23, v54
	v_cmp_ne_u32_e64 s[2:3], v3, v4
	v_cmp_ne_u32_e32 vcc, v4, v5
	v_cndmask_b32_e64 v1, 0, 1, s[2:3]
	v_cmp_gt_u32_e64 s[2:3], s7, v2
	v_alignbit_b32 v1, v1, v12, 16
	s_and_b64 s[72:73], vcc, exec
	s_and_b64 s[2:3], s[2:3], exec
.LBB52_101:
	s_or_b64 exec, exec, s[74:75]
	s_and_b64 s[72:73], s[72:73], exec
	s_and_b64 s[2:3], s[2:3], exec
.LBB52_102:
	s_or_b64 exec, exec, s[66:67]
	s_and_b64 s[66:67], s[72:73], exec
	s_and_b64 s[2:3], s[2:3], exec
.LBB52_103:
	s_or_b64 exec, exec, s[54:55]
	s_and_b64 s[54:55], s[66:67], exec
	s_and_b64 s[2:3], s[2:3], exec
.LBB52_104:
	s_or_b64 exec, exec, s[52:53]
	s_and_b64 s[52:53], s[54:55], exec
	s_and_b64 s[2:3], s[2:3], exec
.LBB52_105:
	s_or_b64 exec, exec, s[50:51]
	s_and_b64 s[50:51], s[52:53], exec
	s_and_b64 s[2:3], s[2:3], exec
.LBB52_106:
	s_or_b64 exec, exec, s[48:49]
	s_and_b64 s[48:49], s[50:51], exec
	s_and_b64 s[2:3], s[2:3], exec
.LBB52_107:
	s_or_b64 exec, exec, s[46:47]
	s_and_b64 s[46:47], s[48:49], exec
	s_and_b64 s[2:3], s[2:3], exec
.LBB52_108:
	s_or_b64 exec, exec, s[44:45]
	s_and_b64 s[44:45], s[46:47], exec
	s_and_b64 s[2:3], s[2:3], exec
.LBB52_109:
	s_or_b64 exec, exec, s[42:43]
	s_and_b64 s[42:43], s[44:45], exec
	s_and_b64 s[2:3], s[2:3], exec
.LBB52_110:
	s_or_b64 exec, exec, s[40:41]
	s_and_b64 s[40:41], s[42:43], exec
	s_and_b64 s[2:3], s[2:3], exec
.LBB52_111:
	s_or_b64 exec, exec, s[38:39]
	s_and_b64 s[38:39], s[40:41], exec
	s_and_b64 s[2:3], s[2:3], exec
.LBB52_112:
	s_or_b64 exec, exec, s[36:37]
	s_and_b64 s[36:37], s[38:39], exec
	s_and_b64 s[2:3], s[2:3], exec
.LBB52_113:
	s_or_b64 exec, exec, s[34:35]
	s_and_b64 s[34:35], s[36:37], exec
	s_and_b64 s[2:3], s[2:3], exec
.LBB52_114:
	s_or_b64 exec, exec, s[30:31]
	s_and_b64 s[30:31], s[34:35], exec
	s_and_b64 s[2:3], s[2:3], exec
.LBB52_115:
	s_or_b64 exec, exec, s[28:29]
	s_and_b64 s[28:29], s[30:31], exec
	s_and_b64 s[2:3], s[2:3], exec
.LBB52_116:
	s_or_b64 exec, exec, s[26:27]
	s_and_b64 s[26:27], s[28:29], exec
	s_and_b64 s[2:3], s[2:3], exec
.LBB52_117:
	s_or_b64 exec, exec, s[24:25]
	s_and_b64 s[24:25], s[26:27], exec
	s_and_b64 s[2:3], s[2:3], exec
.LBB52_118:
	s_or_b64 exec, exec, s[22:23]
	s_and_b64 s[22:23], s[24:25], exec
	s_and_b64 s[2:3], s[2:3], exec
.LBB52_119:
	s_or_b64 exec, exec, s[20:21]
	s_and_b64 s[20:21], s[22:23], exec
	s_and_b64 s[2:3], s[2:3], exec
.LBB52_120:
	s_or_b64 exec, exec, s[18:19]
	s_and_b64 s[18:19], s[20:21], exec
	s_and_b64 s[2:3], s[2:3], exec
.LBB52_121:
	s_or_b64 exec, exec, s[16:17]
	s_and_b64 s[16:17], s[18:19], exec
	s_and_b64 s[2:3], s[2:3], exec
.LBB52_122:
	s_or_b64 exec, exec, s[14:15]
	s_and_b64 s[14:15], s[16:17], exec
	s_and_b64 s[16:17], s[2:3], exec
.LBB52_123:
	s_or_b64 exec, exec, s[12:13]
	s_and_b64 vcc, exec, s[10:11]
	v_cmp_ne_u32_e64 s[2:3], 0, v0
	s_cbranch_vccnz .LBB52_125
	s_branch .LBB52_128
.LBB52_124:
	s_mov_b64 s[16:17], 0
                                        ; implicit-def: $sgpr14_sgpr15
                                        ; implicit-def: $vgpr30_vgpr31
                                        ; implicit-def: $vgpr32_vgpr33
                                        ; implicit-def: $vgpr34_vgpr35
                                        ; implicit-def: $vgpr36_vgpr37
                                        ; implicit-def: $vgpr38_vgpr39
                                        ; implicit-def: $vgpr40_vgpr41
                                        ; implicit-def: $vgpr42_vgpr43
                                        ; implicit-def: $vgpr44_vgpr45
                                        ; implicit-def: $vgpr46_vgpr47
                                        ; implicit-def: $vgpr48_vgpr49
                                        ; implicit-def: $vgpr50_vgpr51
                                        ; implicit-def: $vgpr53
                                        ; implicit-def: $vgpr1
                                        ; implicit-def: $sgpr8
	s_and_b64 vcc, exec, s[10:11]
	v_cmp_ne_u32_e64 s[2:3], 0, v0
	s_cbranch_vccz .LBB52_128
.LBB52_125:
	v_mov_b32_e32 v1, s71
	v_add_co_u32_e32 v2, vcc, s70, v52
	v_addc_co_u32_e32 v1, vcc, 0, v1, vcc
	s_movk_i32 s7, 0x1000
	v_add_co_u32_e32 v2, vcc, s7, v2
	v_addc_co_u32_e32 v3, vcc, 0, v1, vcc
	global_load_dword v4, v52, s[70:71]
	global_load_dword v5, v52, s[70:71] offset:256
	global_load_dword v6, v52, s[70:71] offset:512
	;; [unrolled: 1-line block ×15, first 2 shown]
	global_load_dword v20, v[2:3], off
	global_load_dword v21, v[2:3], off offset:256
	global_load_dword v22, v[2:3], off offset:512
	;; [unrolled: 1-line block ×7, first 2 shown]
	s_sub_u32 s8, 0, s6
	s_subb_u32 s9, 0, 0
	s_cmp_eq_u64 s[8:9], s[64:65]
	s_movk_i32 s7, 0x5c
	s_cselect_b32 s8, 0, -4
	s_waitcnt lgkmcnt(14)
	v_mad_u32_u24 v28, v0, s7, v52
	s_cselect_b32 s7, 0, -1
	s_add_u32 s8, s70, s8
	s_addc_u32 s9, s71, s7
	s_movk_i32 s10, 0xffa4
	v_mad_i32_i24 v1, v0, s10, v28
	s_waitcnt vmcnt(22)
	ds_write2st64_b32 v52, v4, v5 offset1:1
	s_waitcnt vmcnt(20)
	ds_write2st64_b32 v52, v6, v7 offset0:2 offset1:3
	s_waitcnt vmcnt(18)
	ds_write2st64_b32 v52, v8, v9 offset0:4 offset1:5
	;; [unrolled: 2-line block ×11, first 2 shown]
	s_waitcnt lgkmcnt(0)
	; wave barrier
	s_waitcnt lgkmcnt(0)
	ds_read_b96 v[2:4], v28
	ds_read2_b32 v[24:25], v28 offset0:3 offset1:4
	ds_read2_b32 v[22:23], v28 offset0:5 offset1:6
	;; [unrolled: 1-line block ×6, first 2 shown]
	ds_read_b32 v26, v28 offset:92
	s_load_dword s7, s[8:9], 0x0
	ds_read2_b32 v[14:15], v28 offset0:13 offset1:14
	ds_read2_b32 v[12:13], v28 offset0:15 offset1:16
	;; [unrolled: 1-line block ×4, first 2 shown]
	s_waitcnt lgkmcnt(0)
	ds_write_b32 v1, v26 offset:6144
	v_mov_b32_e32 v5, s7
	s_waitcnt lgkmcnt(0)
	; wave barrier
	s_waitcnt lgkmcnt(0)
	s_and_saveexec_b64 s[8:9], s[2:3]
	s_cbranch_execz .LBB52_127
; %bb.126:
	ds_read_b32 v5, v1 offset:6140
.LBB52_127:
	s_or_b64 exec, exec, s[8:9]
	v_lshlrev_b32_e32 v27, 1, v0
	s_waitcnt lgkmcnt(0)
	; wave barrier
	s_waitcnt lgkmcnt(0)
	global_load_ushort v28, v27, s[68:69]
	global_load_ushort v29, v27, s[68:69] offset:128
	global_load_ushort v30, v27, s[68:69] offset:256
	;; [unrolled: 1-line block ×23, first 2 shown]
	v_cmp_ne_u32_e32 vcc, v2, v3
	v_cndmask_b32_e64 v52, 0, 1, vcc
	v_cmp_ne_u32_e32 vcc, v5, v2
	v_cndmask_b32_e64 v54, 0, 1, vcc
	;; [unrolled: 2-line block ×3, first 2 shown]
	v_cmp_ne_u32_e32 vcc, v3, v4
	v_sub_u32_e32 v1, v1, v27
	v_cndmask_b32_e64 v56, 0, 1, vcc
	v_cmp_ne_u32_e32 vcc, v25, v22
	v_mad_u32_u24 v53, v0, 46, v1
	v_cmp_ne_u32_e64 s[14:15], v7, v26
	v_cndmask_b32_e64 v57, 0, 1, vcc
	v_cmp_ne_u32_e32 vcc, v24, v25
	v_cndmask_b32_e64 v58, 0, 1, vcc
	v_cmp_ne_u32_e32 vcc, v23, v20
	;; [unrolled: 2-line block ×3, first 2 shown]
	s_mov_b64 s[16:17], -1
                                        ; implicit-def: $sgpr8
	s_waitcnt vmcnt(23)
	ds_write_b16 v1, v28
	s_waitcnt vmcnt(22)
	ds_write_b16 v1, v29 offset:128
	s_waitcnt vmcnt(21)
	ds_write_b16 v1, v30 offset:256
	;; [unrolled: 2-line block ×23, first 2 shown]
	s_waitcnt lgkmcnt(0)
	; wave barrier
	s_waitcnt lgkmcnt(0)
	ds_read_b128 v[2:5], v53 offset:32
	ds_read_b128 v[24:27], v53
	ds_read_b128 v[28:31], v53 offset:16
	v_cndmask_b32_e64 v1, 0, 1, vcc
	v_cmp_ne_u32_e32 vcc, v21, v18
	s_waitcnt lgkmcnt(2)
	v_lshrrev_b32_e32 v53, 16, v5
	s_waitcnt lgkmcnt(1)
	v_and_b32_e32 v22, 0xffff, v24
	v_and_b32_e32 v23, 0xffff, v25
	v_alignbit_b32 v49, v55, v25, 16
	v_and_b32_e32 v25, 0xffff, v27
	v_lshl_or_b32 v51, v54, 16, v22
	v_cndmask_b32_e64 v22, 0, 1, vcc
	v_cmp_ne_u32_e32 vcc, v20, v21
	v_lshl_or_b32 v44, v1, 16, v25
	s_waitcnt lgkmcnt(0)
	v_and_b32_e32 v1, 0xffff, v28
	v_cndmask_b32_e64 v20, 0, 1, vcc
	v_cmp_ne_u32_e32 vcc, v19, v16
	v_lshl_or_b32 v42, v20, 16, v1
	v_cndmask_b32_e64 v20, 0, 1, vcc
	v_cmp_ne_u32_e32 vcc, v18, v19
	v_and_b32_e32 v1, 0xffff, v29
	v_cndmask_b32_e64 v18, 0, 1, vcc
	v_cmp_ne_u32_e32 vcc, v17, v14
	v_lshl_or_b32 v40, v18, 16, v1
	v_cndmask_b32_e64 v18, 0, 1, vcc
	v_cmp_ne_u32_e32 vcc, v16, v17
	;; [unrolled: 6-line block ×4, first 2 shown]
	v_and_b32_e32 v1, 0xffff, v2
	v_alignbit_b32 v35, v14, v2, 16
	v_cndmask_b32_e64 v2, 0, 1, vcc
	v_cmp_ne_u32_e32 vcc, v11, v8
	v_lshl_or_b32 v34, v2, 16, v1
	v_cndmask_b32_e64 v2, 0, 1, vcc
	v_cmp_ne_u32_e32 vcc, v10, v11
	v_and_b32_e32 v1, 0xffff, v3
	v_alignbit_b32 v33, v2, v3, 16
	v_cndmask_b32_e64 v2, 0, 1, vcc
	v_cmp_ne_u32_e32 vcc, v9, v6
	v_lshl_or_b32 v32, v2, 16, v1
	v_cndmask_b32_e64 v2, 0, 1, vcc
	v_cmp_ne_u32_e32 vcc, v8, v9
	v_alignbit_b32 v37, v16, v31, 16
	v_and_b32_e32 v1, 0xffff, v4
	v_alignbit_b32 v31, v2, v4, 16
	v_cndmask_b32_e64 v2, 0, 1, vcc
	v_cmp_ne_u32_e32 vcc, v6, v7
	v_alignbit_b32 v50, v52, v24, 16
	v_and_b32_e32 v24, 0xffff, v26
	v_alignbit_b32 v39, v18, v30, 16
	v_lshl_or_b32 v30, v2, 16, v1
	v_and_b32_e32 v1, 0xffff, v5
	v_cndmask_b32_e64 v2, 0, 1, vcc
	v_alignbit_b32 v47, v57, v26, 16
	v_alignbit_b32 v45, v59, v27, 16
	v_lshl_or_b32 v48, v56, 16, v23
	v_lshl_or_b32 v46, v58, 16, v24
	v_alignbit_b32 v43, v22, v28, 16
	v_alignbit_b32 v41, v20, v29, 16
	v_lshl_or_b32 v1, v2, 16, v1
.LBB52_128:
	v_mov_b32_e32 v5, s8
	s_and_saveexec_b64 s[2:3], s[16:17]
	s_cbranch_execz .LBB52_130
; %bb.129:
	v_mov_b32_e32 v2, 0x10000
	v_cndmask_b32_e64 v2, 0, v2, s[14:15]
	s_waitcnt lgkmcnt(0)
	v_or_b32_sdwa v5, v2, v53 dst_sel:DWORD dst_unused:UNUSED_PAD src0_sel:DWORD src1_sel:WORD_0
.LBB52_130:
	s_or_b64 exec, exec, s[2:3]
	s_cmp_lg_u32 s6, 0
	s_waitcnt lgkmcnt(0)
	; wave barrier
	s_waitcnt lgkmcnt(0)
	s_cbranch_scc0 .LBB52_619
; %bb.131:
	s_mov_b32 s2, 0x10000
	v_cmp_gt_u32_e64 s[2:3], s2, v50
	v_mov_b32_e32 v2, v50
	s_and_saveexec_b64 s[8:9], s[2:3]
	s_cbranch_execz .LBB52_137
; %bb.132:
	v_lshlrev_b32_e32 v2, 16, v51
	v_lshlrev_b32_e32 v4, 16, v50
	v_pk_add_f32 v[2:3], v[2:3], v[4:5] op_sel_hi:[0,1]
	s_mov_b32 s7, 0x7f800000
	v_and_b32_e32 v3, 0x7f800000, v2
	v_cmp_ne_u32_e32 vcc, s7, v3
                                        ; implicit-def: $vgpr4
	s_and_saveexec_b64 s[10:11], vcc
	s_xor_b64 s[10:11], exec, s[10:11]
; %bb.133:
	v_bfe_u32 v3, v2, 16, 1
	s_movk_i32 s7, 0x7fff
	v_add3_u32 v4, v2, v3, s7
                                        ; implicit-def: $vgpr2_vgpr3
; %bb.134:
	s_andn2_saveexec_b64 s[10:11], s[10:11]
; %bb.135:
	v_mov_b32_e32 v3, 0
	v_or_b32_e32 v4, 0x10000, v2
	v_cmp_eq_u32_sdwa vcc, v2, v3 src0_sel:WORD_0 src1_sel:DWORD
	v_cndmask_b32_e32 v4, v4, v2, vcc
; %bb.136:
	s_or_b64 exec, exec, s[10:11]
	v_lshrrev_b32_e32 v2, 16, v4
.LBB52_137:
	s_or_b64 exec, exec, s[8:9]
	s_mov_b32 s7, 0x10000
	v_cmp_gt_u32_e64 s[54:55], s7, v48
	v_mov_b32_e32 v3, v48
	s_and_saveexec_b64 s[8:9], s[54:55]
	s_cbranch_execz .LBB52_143
; %bb.138:
	v_lshlrev_b32_e32 v2, 16, v2
	v_lshlrev_b32_e32 v4, 16, v48
	v_pk_add_f32 v[2:3], v[2:3], v[4:5] op_sel_hi:[0,1]
	s_mov_b32 s7, 0x7f800000
	v_and_b32_e32 v3, 0x7f800000, v2
	v_cmp_ne_u32_e32 vcc, s7, v3
                                        ; implicit-def: $vgpr4
	s_and_saveexec_b64 s[10:11], vcc
	s_xor_b64 s[10:11], exec, s[10:11]
; %bb.139:
	v_bfe_u32 v3, v2, 16, 1
	s_movk_i32 s7, 0x7fff
	v_add3_u32 v4, v2, v3, s7
                                        ; implicit-def: $vgpr2_vgpr3
; %bb.140:
	s_andn2_saveexec_b64 s[10:11], s[10:11]
; %bb.141:
	v_mov_b32_e32 v3, 0
	v_or_b32_e32 v4, 0x10000, v2
	v_cmp_eq_u32_sdwa vcc, v2, v3 src0_sel:WORD_0 src1_sel:DWORD
	v_cndmask_b32_e32 v4, v4, v2, vcc
; %bb.142:
	s_or_b64 exec, exec, s[10:11]
	v_lshrrev_b32_e32 v3, 16, v4
.LBB52_143:
	s_or_b64 exec, exec, s[8:9]
	;; [unrolled: 32-line block ×23, first 2 shown]
	v_or3_b32 v3, v1, v31, v30
	v_or3_b32 v3, v3, v33, v32
	;; [unrolled: 1-line block ×11, first 2 shown]
	v_and_b32_e32 v3, 0x10000, v3
	v_and_b32_e32 v2, 0x10000, v51
	v_mov_b32_e32 v4, 0x10000
	v_cmp_ne_u32_e32 vcc, 0, v3
	v_cndmask_b32_e32 v7, v2, v4, vcc
	v_or_b32_sdwa v4, v6, v7 dst_sel:DWORD dst_unused:UNUSED_PAD src0_sel:WORD_0 src1_sel:DWORD
	v_cmp_eq_u32_e32 vcc, 0, v7
	v_mov_b32_e32 v8, v6
	v_mov_b32_dpp v9, v4 row_shr:1 row_mask:0xf bank_mask:0xf
	s_and_saveexec_b64 s[52:53], vcc
	s_xor_b64 s[52:53], exec, s[52:53]
	s_cbranch_execz .LBB52_275
; %bb.270:
	v_mov_b32_e32 v3, 16
	v_lshlrev_b32_e32 v2, 16, v9
	v_lshlrev_b32_sdwa v8, v3, v6 dst_sel:DWORD dst_unused:UNUSED_PAD src0_sel:DWORD src1_sel:WORD_0
	v_pk_add_f32 v[2:3], v[2:3], v[8:9] op_sel_hi:[0,1]
	s_mov_b32 s7, 0x7f800000
	v_and_b32_e32 v3, 0x7f800000, v2
	v_cmp_ne_u32_e32 vcc, s7, v3
                                        ; implicit-def: $vgpr8
	s_and_saveexec_b64 s[64:65], vcc
	s_xor_b64 s[64:65], exec, s[64:65]
; %bb.271:
	v_bfe_u32 v3, v2, 16, 1
	s_movk_i32 s7, 0x7fff
	v_add3_u32 v8, v2, v3, s7
                                        ; implicit-def: $vgpr2_vgpr3
; %bb.272:
	s_andn2_saveexec_b64 s[64:65], s[64:65]
; %bb.273:
	v_mov_b32_e32 v3, 0
	v_or_b32_e32 v8, 0x10000, v2
	v_cmp_eq_u32_sdwa vcc, v2, v3 src0_sel:WORD_0 src1_sel:DWORD
	v_cndmask_b32_e32 v8, v8, v2, vcc
; %bb.274:
	s_or_b64 exec, exec, s[64:65]
	v_lshrrev_b32_e32 v8, 16, v8
.LBB52_275:
	s_or_b64 exec, exec, s[52:53]
	v_mbcnt_lo_u32_b32 v2, -1, 0
	v_mbcnt_hi_u32_b32 v16, -1, v2
	v_and_b32_e32 v2, 0x10000, v7
	v_mov_b32_e32 v3, 1
	v_and_b32_sdwa v3, v9, v3 dst_sel:DWORD dst_unused:UNUSED_PAD src0_sel:WORD_1 src1_sel:DWORD
	v_cmp_ne_u32_e32 vcc, 0, v2
	v_cndmask_b32_e64 v9, v3, 1, vcc
	v_and_b32_e32 v10, 15, v16
	v_lshlrev_b32_e32 v2, 16, v9
	v_or_b32_sdwa v2, v2, v8 dst_sel:DWORD dst_unused:UNUSED_PAD src0_sel:DWORD src1_sel:WORD_0
	v_cmp_eq_u32_e32 vcc, 0, v10
	v_cndmask_b32_e32 v4, v2, v4, vcc
	s_mov_b32 s7, 0x10000
	v_cmp_gt_u32_e64 s[52:53], s7, v4
	v_mov_b32_dpp v11, v4 row_shr:2 row_mask:0xf bank_mask:0xf
	v_mov_b32_e32 v2, v4
	s_and_saveexec_b64 s[64:65], s[52:53]
	s_cbranch_execz .LBB52_281
; %bb.276:
	v_lshlrev_b32_e32 v2, 16, v4
	v_lshlrev_b32_e32 v12, 16, v11
	v_pk_add_f32 v[2:3], v[2:3], v[12:13] op_sel_hi:[0,1]
	s_mov_b32 s7, 0x7f800000
	v_and_b32_e32 v3, 0x7f800000, v2
	v_cmp_ne_u32_e64 s[52:53], s7, v3
                                        ; implicit-def: $vgpr12
	s_and_saveexec_b64 s[66:67], s[52:53]
	s_xor_b64 s[52:53], exec, s[66:67]
; %bb.277:
	v_bfe_u32 v3, v2, 16, 1
	s_movk_i32 s7, 0x7fff
	v_add3_u32 v12, v2, v3, s7
                                        ; implicit-def: $vgpr2_vgpr3
; %bb.278:
	s_andn2_saveexec_b64 s[66:67], s[52:53]
; %bb.279:
	v_mov_b32_e32 v3, 0
	v_or_b32_e32 v12, 0x10000, v2
	v_cmp_eq_u32_sdwa s[52:53], v2, v3 src0_sel:WORD_0 src1_sel:DWORD
	v_cndmask_b32_e64 v12, v12, v2, s[52:53]
; %bb.280:
	s_or_b64 exec, exec, s[66:67]
	v_lshrrev_b32_e32 v2, 16, v12
.LBB52_281:
	s_or_b64 exec, exec, s[64:65]
	v_lshrrev_b32_e32 v3, 16, v7
	v_cndmask_b32_e32 v7, v8, v6, vcc
	v_cndmask_b32_e32 v6, v9, v3, vcc
	v_lshrrev_b32_e32 v8, 16, v4
	v_cmp_lt_u32_e32 vcc, 1, v10
	v_mov_b32_e32 v9, v4
	s_and_saveexec_b64 s[52:53], vcc
; %bb.282:
	v_and_b32_e32 v3, 0x10000, v4
	v_mov_b32_e32 v4, 1
	v_and_b32_sdwa v4, v11, v4 dst_sel:DWORD dst_unused:UNUSED_PAD src0_sel:WORD_1 src1_sel:DWORD
	v_cmp_ne_u32_e32 vcc, 0, v3
	v_cndmask_b32_e64 v6, v4, 1, vcc
	v_lshlrev_b32_e32 v3, 16, v6
	v_or_b32_sdwa v9, v3, v2 dst_sel:DWORD dst_unused:UNUSED_PAD src0_sel:DWORD src1_sel:WORD_0
	v_mov_b32_e32 v7, v2
	v_mov_b32_e32 v8, v6
	v_mov_b32_e32 v4, v2
; %bb.283:
	s_or_b64 exec, exec, s[52:53]
	v_mov_b32_dpp v11, v9 row_shr:4 row_mask:0xf bank_mask:0xf
	v_cmp_eq_u16_e32 vcc, 0, v8
	v_mov_b32_e32 v2, v4
	s_and_saveexec_b64 s[52:53], vcc
	s_cbranch_execz .LBB52_289
; %bb.284:
	v_lshlrev_b32_e32 v2, 16, v11
	v_lshlrev_b32_e32 v12, 16, v4
	v_pk_add_f32 v[2:3], v[2:3], v[12:13] op_sel_hi:[0,1]
	s_mov_b32 s7, 0x7f800000
	v_and_b32_e32 v3, 0x7f800000, v2
	v_cmp_ne_u32_e32 vcc, s7, v3
                                        ; implicit-def: $vgpr12
	s_and_saveexec_b64 s[64:65], vcc
	s_xor_b64 s[64:65], exec, s[64:65]
; %bb.285:
	v_bfe_u32 v3, v2, 16, 1
	s_movk_i32 s7, 0x7fff
	v_add3_u32 v12, v2, v3, s7
                                        ; implicit-def: $vgpr2_vgpr3
; %bb.286:
	s_andn2_saveexec_b64 s[64:65], s[64:65]
; %bb.287:
	v_mov_b32_e32 v3, 0
	v_or_b32_e32 v12, 0x10000, v2
	v_cmp_eq_u32_sdwa vcc, v2, v3 src0_sel:WORD_0 src1_sel:DWORD
	v_cndmask_b32_e32 v12, v12, v2, vcc
; %bb.288:
	s_or_b64 exec, exec, s[64:65]
	v_lshrrev_b32_e32 v2, 16, v12
.LBB52_289:
	s_or_b64 exec, exec, s[52:53]
	v_cmp_lt_u32_e32 vcc, 3, v10
	s_and_saveexec_b64 s[52:53], vcc
; %bb.290:
	v_and_b32_e32 v3, 1, v8
	v_mov_b32_e32 v4, 1
	v_and_b32_sdwa v4, v11, v4 dst_sel:DWORD dst_unused:UNUSED_PAD src0_sel:WORD_1 src1_sel:DWORD
	v_cmp_eq_u32_e32 vcc, 1, v3
	v_cndmask_b32_e64 v6, v4, 1, vcc
	v_lshlrev_b32_e32 v3, 16, v6
	v_or_b32_sdwa v9, v3, v2 dst_sel:DWORD dst_unused:UNUSED_PAD src0_sel:DWORD src1_sel:WORD_0
	v_mov_b32_e32 v7, v2
	v_mov_b32_e32 v8, v6
	;; [unrolled: 1-line block ×3, first 2 shown]
; %bb.291:
	s_or_b64 exec, exec, s[52:53]
	v_mov_b32_dpp v11, v9 row_shr:8 row_mask:0xf bank_mask:0xf
	v_cmp_eq_u16_e32 vcc, 0, v8
	v_mov_b32_e32 v2, v4
	s_and_saveexec_b64 s[52:53], vcc
	s_cbranch_execz .LBB52_297
; %bb.292:
	v_lshlrev_b32_e32 v2, 16, v11
	v_lshlrev_b32_e32 v12, 16, v4
	v_pk_add_f32 v[2:3], v[2:3], v[12:13] op_sel_hi:[0,1]
	s_mov_b32 s7, 0x7f800000
	v_and_b32_e32 v3, 0x7f800000, v2
	v_cmp_ne_u32_e32 vcc, s7, v3
                                        ; implicit-def: $vgpr12
	s_and_saveexec_b64 s[64:65], vcc
	s_xor_b64 s[64:65], exec, s[64:65]
; %bb.293:
	v_bfe_u32 v3, v2, 16, 1
	s_movk_i32 s7, 0x7fff
	v_add3_u32 v12, v2, v3, s7
                                        ; implicit-def: $vgpr2_vgpr3
; %bb.294:
	s_andn2_saveexec_b64 s[64:65], s[64:65]
; %bb.295:
	v_mov_b32_e32 v3, 0
	v_or_b32_e32 v12, 0x10000, v2
	v_cmp_eq_u32_sdwa vcc, v2, v3 src0_sel:WORD_0 src1_sel:DWORD
	v_cndmask_b32_e32 v12, v12, v2, vcc
; %bb.296:
	s_or_b64 exec, exec, s[64:65]
	v_lshrrev_b32_e32 v2, 16, v12
.LBB52_297:
	s_or_b64 exec, exec, s[52:53]
	v_cmp_lt_u32_e32 vcc, 7, v10
	s_and_saveexec_b64 s[52:53], vcc
; %bb.298:
	v_and_b32_e32 v3, 1, v8
	v_mov_b32_e32 v4, 1
	v_and_b32_sdwa v4, v11, v4 dst_sel:DWORD dst_unused:UNUSED_PAD src0_sel:WORD_1 src1_sel:DWORD
	v_cmp_eq_u32_e32 vcc, 1, v3
	v_cndmask_b32_e64 v6, v4, 1, vcc
	v_lshlrev_b32_e32 v3, 16, v6
	v_or_b32_sdwa v9, v3, v2 dst_sel:DWORD dst_unused:UNUSED_PAD src0_sel:DWORD src1_sel:WORD_0
	v_mov_b32_e32 v7, v2
	v_mov_b32_e32 v8, v6
	;; [unrolled: 1-line block ×3, first 2 shown]
; %bb.299:
	s_or_b64 exec, exec, s[52:53]
	v_mov_b32_dpp v10, v9 row_bcast:15 row_mask:0xf bank_mask:0xf
	v_cmp_eq_u16_e32 vcc, 0, v8
	v_mov_b32_e32 v2, v4
	s_and_saveexec_b64 s[52:53], vcc
	s_cbranch_execz .LBB52_305
; %bb.300:
	v_lshlrev_b32_e32 v2, 16, v10
	v_lshlrev_b32_e32 v12, 16, v4
	v_pk_add_f32 v[2:3], v[2:3], v[12:13] op_sel_hi:[0,1]
	s_mov_b32 s7, 0x7f800000
	v_and_b32_e32 v3, 0x7f800000, v2
	v_cmp_ne_u32_e32 vcc, s7, v3
                                        ; implicit-def: $vgpr11
	s_and_saveexec_b64 s[64:65], vcc
	s_xor_b64 s[64:65], exec, s[64:65]
; %bb.301:
	v_bfe_u32 v3, v2, 16, 1
	s_movk_i32 s7, 0x7fff
	v_add3_u32 v11, v2, v3, s7
                                        ; implicit-def: $vgpr2_vgpr3
; %bb.302:
	s_andn2_saveexec_b64 s[64:65], s[64:65]
; %bb.303:
	v_mov_b32_e32 v3, 0
	v_or_b32_e32 v11, 0x10000, v2
	v_cmp_eq_u32_sdwa vcc, v2, v3 src0_sel:WORD_0 src1_sel:DWORD
	v_cndmask_b32_e32 v11, v11, v2, vcc
; %bb.304:
	s_or_b64 exec, exec, s[64:65]
	v_lshrrev_b32_e32 v2, 16, v11
.LBB52_305:
	s_or_b64 exec, exec, s[52:53]
	v_and_b32_e32 v3, 16, v16
	v_cmp_ne_u32_e32 vcc, 0, v3
	s_and_saveexec_b64 s[52:53], vcc
; %bb.306:
	v_and_b32_e32 v3, 1, v8
	v_mov_b32_e32 v4, 1
	v_and_b32_sdwa v4, v10, v4 dst_sel:DWORD dst_unused:UNUSED_PAD src0_sel:WORD_1 src1_sel:DWORD
	v_cmp_eq_u32_e32 vcc, 1, v3
	v_cndmask_b32_e64 v6, v4, 1, vcc
	v_lshlrev_b32_e32 v3, 16, v6
	v_or_b32_sdwa v9, v3, v2 dst_sel:DWORD dst_unused:UNUSED_PAD src0_sel:DWORD src1_sel:WORD_0
	v_mov_b32_e32 v7, v2
	v_mov_b32_e32 v8, v6
	;; [unrolled: 1-line block ×3, first 2 shown]
; %bb.307:
	s_or_b64 exec, exec, s[52:53]
	v_mov_b32_dpp v9, v9 row_bcast:31 row_mask:0xf bank_mask:0xf
	v_cmp_eq_u16_e32 vcc, 0, v8
	v_mov_b32_e32 v2, v4
	s_and_saveexec_b64 s[52:53], vcc
	s_cbranch_execz .LBB52_595
; %bb.308:
	v_lshlrev_b32_e32 v2, 16, v9
	v_lshlrev_b32_e32 v10, 16, v4
	v_pk_add_f32 v[2:3], v[2:3], v[10:11] op_sel_hi:[0,1]
	s_mov_b32 s7, 0x7f800000
	v_and_b32_e32 v3, 0x7f800000, v2
	v_cmp_ne_u32_e32 vcc, s7, v3
                                        ; implicit-def: $vgpr10
	s_and_saveexec_b64 s[64:65], vcc
	s_xor_b64 s[64:65], exec, s[64:65]
; %bb.309:
	v_bfe_u32 v3, v2, 16, 1
	s_movk_i32 s7, 0x7fff
	v_add3_u32 v10, v2, v3, s7
                                        ; implicit-def: $vgpr2_vgpr3
; %bb.310:
	s_andn2_saveexec_b64 s[64:65], s[64:65]
; %bb.311:
	v_mov_b32_e32 v3, 0
	v_or_b32_e32 v10, 0x10000, v2
	v_cmp_eq_u32_sdwa vcc, v2, v3 src0_sel:WORD_0 src1_sel:DWORD
	v_cndmask_b32_e32 v10, v10, v2, vcc
; %bb.312:
	s_or_b64 exec, exec, s[64:65]
	v_lshrrev_b32_e32 v2, 16, v10
	s_or_b64 exec, exec, s[52:53]
	v_cmp_lt_u32_e32 vcc, 31, v16
	s_and_saveexec_b64 s[52:53], vcc
	s_cbranch_execnz .LBB52_596
.LBB52_313:
	s_or_b64 exec, exec, s[52:53]
	v_cmp_eq_u32_e32 vcc, 63, v0
	s_and_saveexec_b64 s[52:53], vcc
	s_cbranch_execz .LBB52_315
.LBB52_314:
	v_mov_b32_e32 v2, 0
	ds_write_b16 v2, v4
	ds_write_b8 v2, v8 offset:2
.LBB52_315:
	s_or_b64 exec, exec, s[52:53]
	v_add_u32_e32 v3, -1, v16
	v_and_b32_e32 v4, 64, v16
	v_cmp_lt_i32_e32 vcc, v3, v4
	v_lshlrev_b32_e32 v2, 16, v6
	v_cndmask_b32_e32 v3, v3, v16, vcc
	v_or_b32_sdwa v2, v2, v7 dst_sel:DWORD dst_unused:UNUSED_PAD src0_sel:DWORD src1_sel:WORD_0
	v_lshlrev_b32_e32 v3, 2, v3
	ds_bpermute_b32 v4, v3, v2
	v_cmp_gt_u32_e32 vcc, 64, v0
	s_waitcnt lgkmcnt(0)
	; wave barrier
	s_waitcnt lgkmcnt(0)
	s_and_saveexec_b64 s[64:65], vcc
	s_cbranch_execz .LBB52_442
; %bb.316:
	v_mov_b32_e32 v9, 0
	ds_read_b32 v2, v9
	s_mov_b32 s69, 0
	v_cmp_eq_u32_e64 s[52:53], 0, v16
	s_waitcnt lgkmcnt(0)
	v_readfirstlane_b32 s7, v2
	s_and_saveexec_b64 s[66:67], s[52:53]
	s_cbranch_execz .LBB52_318
; %bb.317:
	s_add_i32 s68, s6, 64
	s_lshl_b64 s[68:69], s[68:69], 3
	s_add_u32 s68, s60, s68
	s_addc_u32 s69, s61, s69
	v_mov_b32_e32 v2, s7
	v_mov_b32_e32 v3, 1
	global_store_dwordx2 v9, v[2:3], s[68:69]
.LBB52_318:
	s_or_b64 exec, exec, s[66:67]
	v_xad_u32 v2, v16, -1, s6
	v_add_u32_e32 v8, 64, v2
	v_lshlrev_b64 v[6:7], 3, v[8:9]
	v_mov_b32_e32 v3, s61
	v_add_co_u32_e32 v12, vcc, s60, v6
	v_addc_co_u32_e32 v13, vcc, v3, v7, vcc
	global_load_dwordx2 v[6:7], v[12:13], off glc
	s_waitcnt vmcnt(0)
	v_cmp_eq_u16_sdwa s[68:69], v7, v9 src0_sel:BYTE_0 src1_sel:DWORD
	v_pk_mov_b32 v[10:11], v[6:7], v[6:7] op_sel:[0,1]
	s_and_saveexec_b64 s[66:67], s[68:69]
	s_cbranch_execz .LBB52_322
; %bb.319:
	s_mov_b64 s[68:69], 0
	v_mov_b32_e32 v3, 0
.LBB52_320:                             ; =>This Inner Loop Header: Depth=1
	global_load_dwordx2 v[6:7], v[12:13], off glc
	s_waitcnt vmcnt(0)
	v_cmp_ne_u16_sdwa s[70:71], v7, v3 src0_sel:BYTE_0 src1_sel:DWORD
	s_or_b64 s[68:69], s[70:71], s[68:69]
	s_andn2_b64 exec, exec, s[68:69]
	s_cbranch_execnz .LBB52_320
; %bb.321:
	s_or_b64 exec, exec, s[68:69]
	v_pk_mov_b32 v[10:11], v[6:7], v[6:7] op_sel:[0,1]
.LBB52_322:
	s_or_b64 exec, exec, s[66:67]
	v_mov_b32_e32 v3, 2
	v_cmp_eq_u16_sdwa s[66:67], v7, v3 src0_sel:BYTE_0 src1_sel:DWORD
	v_lshlrev_b64 v[8:9], v16, -1
	v_and_b32_e32 v3, s67, v9
	v_or_b32_e32 v3, 0x80000000, v3
	v_and_b32_e32 v6, s66, v8
	v_ffbl_b32_e32 v3, v3
	v_add_u32_e32 v3, 32, v3
	v_ffbl_b32_e32 v6, v6
	v_min_u32_e32 v3, v6, v3
	v_and_b32_e32 v6, 63, v16
	v_cmp_ne_u32_e32 vcc, 63, v6
	v_addc_co_u32_e32 v11, vcc, 0, v16, vcc
	v_and_b32_e32 v24, 0xffffff, v10
	v_lshlrev_b32_e32 v12, 2, v11
	ds_bpermute_b32 v14, v12, v24
	v_add_u32_e32 v13, 1, v16
	v_lshrrev_b32_e32 v11, 16, v10
	v_cmp_le_u32_e32 vcc, v13, v3
	v_bfe_u32 v25, v10, 16, 8
	s_and_saveexec_b64 s[66:67], vcc
	s_cbranch_execz .LBB52_330
; %bb.323:
	v_and_b32_e32 v15, 0xff0000, v10
	v_cmp_eq_u32_e32 vcc, 0, v15
	s_and_saveexec_b64 s[68:69], vcc
	s_cbranch_execz .LBB52_329
; %bb.324:
	s_waitcnt lgkmcnt(0)
	v_lshlrev_b32_e32 v18, 16, v14
	v_lshlrev_b32_e32 v10, 16, v10
	v_pk_add_f32 v[10:11], v[18:19], v[10:11] op_sel_hi:[0,1]
	s_mov_b32 s63, 0x7f800000
	v_and_b32_e32 v11, 0x7f800000, v10
	v_cmp_ne_u32_e32 vcc, s63, v11
                                        ; implicit-def: $vgpr17
	s_and_saveexec_b64 s[70:71], vcc
	s_xor_b64 s[70:71], exec, s[70:71]
; %bb.325:
	v_bfe_u32 v11, v10, 16, 1
	s_movk_i32 s63, 0x7fff
	v_add3_u32 v17, v10, v11, s63
                                        ; implicit-def: $vgpr10_vgpr11
; %bb.326:
	s_andn2_saveexec_b64 s[70:71], s[70:71]
; %bb.327:
	v_mov_b32_e32 v11, 0
	v_or_b32_e32 v17, 0x10000, v10
	v_cmp_eq_u32_sdwa vcc, v10, v11 src0_sel:WORD_0 src1_sel:DWORD
	v_cndmask_b32_e32 v17, v17, v10, vcc
; %bb.328:
	s_or_b64 exec, exec, s[70:71]
	v_lshrrev_b32_e32 v10, 16, v17
.LBB52_329:
	s_or_b64 exec, exec, s[68:69]
	v_and_b32_e32 v11, 0x10000, v15
	v_mov_b32_e32 v15, 1
	s_waitcnt lgkmcnt(0)
	v_and_b32_sdwa v14, v14, v15 dst_sel:DWORD dst_unused:UNUSED_PAD src0_sel:WORD_1 src1_sel:DWORD
	v_cmp_ne_u32_e32 vcc, 0, v11
	v_cndmask_b32_e64 v25, v14, 1, vcc
	v_lshlrev_b32_e32 v11, 16, v25
	v_or_b32_sdwa v24, v11, v10 dst_sel:DWORD dst_unused:UNUSED_PAD src0_sel:DWORD src1_sel:WORD_0
	v_mov_b32_e32 v11, v25
.LBB52_330:
	s_or_b64 exec, exec, s[66:67]
	v_cmp_gt_u32_e32 vcc, 62, v6
	s_waitcnt lgkmcnt(0)
	v_cndmask_b32_e64 v14, 0, 1, vcc
	v_lshlrev_b32_e32 v14, 1, v14
	v_add_lshl_u32 v14, v14, v16, 2
	ds_bpermute_b32 v17, v14, v24
	v_add_u32_e32 v15, 2, v16
	v_cmp_le_u32_e32 vcc, v15, v3
	s_and_saveexec_b64 s[66:67], vcc
	s_cbranch_execz .LBB52_338
; %bb.331:
	v_cmp_eq_u16_e32 vcc, 0, v25
	s_and_saveexec_b64 s[68:69], vcc
	s_cbranch_execz .LBB52_337
; %bb.332:
	s_waitcnt lgkmcnt(0)
	v_lshlrev_b32_e32 v18, 16, v17
	v_lshlrev_b32_e32 v10, 16, v10
	v_pk_add_f32 v[10:11], v[18:19], v[10:11] op_sel_hi:[0,1]
	s_mov_b32 s63, 0x7f800000
	v_and_b32_e32 v11, 0x7f800000, v10
	v_cmp_ne_u32_e32 vcc, s63, v11
                                        ; implicit-def: $vgpr18
	s_and_saveexec_b64 s[70:71], vcc
	s_xor_b64 s[70:71], exec, s[70:71]
; %bb.333:
	v_bfe_u32 v11, v10, 16, 1
	s_movk_i32 s63, 0x7fff
	v_add3_u32 v18, v10, v11, s63
                                        ; implicit-def: $vgpr10_vgpr11
; %bb.334:
	s_andn2_saveexec_b64 s[70:71], s[70:71]
; %bb.335:
	v_mov_b32_e32 v11, 0
	v_or_b32_e32 v18, 0x10000, v10
	v_cmp_eq_u32_sdwa vcc, v10, v11 src0_sel:WORD_0 src1_sel:DWORD
	v_cndmask_b32_e32 v18, v18, v10, vcc
; %bb.336:
	s_or_b64 exec, exec, s[70:71]
	v_lshrrev_b32_e32 v10, 16, v18
.LBB52_337:
	s_or_b64 exec, exec, s[68:69]
	v_and_b32_e32 v11, 1, v25
	v_mov_b32_e32 v18, 1
	s_waitcnt lgkmcnt(0)
	v_and_b32_sdwa v17, v17, v18 dst_sel:DWORD dst_unused:UNUSED_PAD src0_sel:WORD_1 src1_sel:DWORD
	v_cmp_eq_u32_e32 vcc, 1, v11
	v_cndmask_b32_e64 v25, v17, 1, vcc
	v_lshlrev_b32_e32 v11, 16, v25
	v_or_b32_sdwa v24, v11, v10 dst_sel:DWORD dst_unused:UNUSED_PAD src0_sel:DWORD src1_sel:WORD_0
	v_mov_b32_e32 v11, v25
.LBB52_338:
	s_or_b64 exec, exec, s[66:67]
	v_cmp_gt_u32_e32 vcc, 60, v6
	s_waitcnt lgkmcnt(0)
	v_cndmask_b32_e64 v17, 0, 1, vcc
	v_lshlrev_b32_e32 v17, 2, v17
	v_add_lshl_u32 v17, v17, v16, 2
	ds_bpermute_b32 v19, v17, v24
	v_add_u32_e32 v18, 4, v16
	v_cmp_le_u32_e32 vcc, v18, v3
	s_and_saveexec_b64 s[66:67], vcc
	s_cbranch_execz .LBB52_346
; %bb.339:
	v_cmp_eq_u16_e32 vcc, 0, v25
	s_and_saveexec_b64 s[68:69], vcc
	s_cbranch_execz .LBB52_345
; %bb.340:
	s_waitcnt lgkmcnt(0)
	v_lshlrev_b32_e32 v20, 16, v19
	v_lshlrev_b32_e32 v10, 16, v10
	v_pk_add_f32 v[10:11], v[20:21], v[10:11] op_sel_hi:[0,1]
	s_mov_b32 s63, 0x7f800000
	v_and_b32_e32 v11, 0x7f800000, v10
	v_cmp_ne_u32_e32 vcc, s63, v11
                                        ; implicit-def: $vgpr20
	s_and_saveexec_b64 s[70:71], vcc
	s_xor_b64 s[70:71], exec, s[70:71]
; %bb.341:
	v_bfe_u32 v11, v10, 16, 1
	s_movk_i32 s63, 0x7fff
	v_add3_u32 v20, v10, v11, s63
                                        ; implicit-def: $vgpr10_vgpr11
; %bb.342:
	s_andn2_saveexec_b64 s[70:71], s[70:71]
; %bb.343:
	v_mov_b32_e32 v11, 0
	v_or_b32_e32 v20, 0x10000, v10
	v_cmp_eq_u32_sdwa vcc, v10, v11 src0_sel:WORD_0 src1_sel:DWORD
	v_cndmask_b32_e32 v20, v20, v10, vcc
; %bb.344:
	s_or_b64 exec, exec, s[70:71]
	v_lshrrev_b32_e32 v10, 16, v20
.LBB52_345:
	s_or_b64 exec, exec, s[68:69]
	v_and_b32_e32 v11, 1, v25
	v_mov_b32_e32 v20, 1
	s_waitcnt lgkmcnt(0)
	v_and_b32_sdwa v19, v19, v20 dst_sel:DWORD dst_unused:UNUSED_PAD src0_sel:WORD_1 src1_sel:DWORD
	v_cmp_eq_u32_e32 vcc, 1, v11
	v_cndmask_b32_e64 v25, v19, 1, vcc
	v_lshlrev_b32_e32 v11, 16, v25
	v_or_b32_sdwa v24, v11, v10 dst_sel:DWORD dst_unused:UNUSED_PAD src0_sel:DWORD src1_sel:WORD_0
	v_mov_b32_e32 v11, v25
.LBB52_346:
	s_or_b64 exec, exec, s[66:67]
	v_cmp_gt_u32_e32 vcc, 56, v6
	s_waitcnt lgkmcnt(0)
	v_cndmask_b32_e64 v19, 0, 1, vcc
	v_lshlrev_b32_e32 v19, 3, v19
	v_add_lshl_u32 v19, v19, v16, 2
	ds_bpermute_b32 v21, v19, v24
	v_add_u32_e32 v20, 8, v16
	v_cmp_le_u32_e32 vcc, v20, v3
	s_and_saveexec_b64 s[66:67], vcc
	s_cbranch_execz .LBB52_354
; %bb.347:
	v_cmp_eq_u16_e32 vcc, 0, v25
	s_and_saveexec_b64 s[68:69], vcc
	s_cbranch_execz .LBB52_353
; %bb.348:
	s_waitcnt lgkmcnt(0)
	v_lshlrev_b32_e32 v22, 16, v21
	v_lshlrev_b32_e32 v10, 16, v10
	v_pk_add_f32 v[10:11], v[22:23], v[10:11] op_sel_hi:[0,1]
	s_mov_b32 s63, 0x7f800000
	v_and_b32_e32 v11, 0x7f800000, v10
	v_cmp_ne_u32_e32 vcc, s63, v11
                                        ; implicit-def: $vgpr22
	s_and_saveexec_b64 s[70:71], vcc
	s_xor_b64 s[70:71], exec, s[70:71]
; %bb.349:
	v_bfe_u32 v11, v10, 16, 1
	s_movk_i32 s63, 0x7fff
	v_add3_u32 v22, v10, v11, s63
                                        ; implicit-def: $vgpr10_vgpr11
; %bb.350:
	s_andn2_saveexec_b64 s[70:71], s[70:71]
; %bb.351:
	v_mov_b32_e32 v11, 0
	v_or_b32_e32 v22, 0x10000, v10
	v_cmp_eq_u32_sdwa vcc, v10, v11 src0_sel:WORD_0 src1_sel:DWORD
	v_cndmask_b32_e32 v22, v22, v10, vcc
; %bb.352:
	s_or_b64 exec, exec, s[70:71]
	v_lshrrev_b32_e32 v10, 16, v22
.LBB52_353:
	s_or_b64 exec, exec, s[68:69]
	v_and_b32_e32 v11, 1, v25
	v_mov_b32_e32 v22, 1
	s_waitcnt lgkmcnt(0)
	v_and_b32_sdwa v21, v21, v22 dst_sel:DWORD dst_unused:UNUSED_PAD src0_sel:WORD_1 src1_sel:DWORD
	v_cmp_eq_u32_e32 vcc, 1, v11
	v_cndmask_b32_e64 v25, v21, 1, vcc
	v_lshlrev_b32_e32 v11, 16, v25
	v_or_b32_sdwa v24, v11, v10 dst_sel:DWORD dst_unused:UNUSED_PAD src0_sel:DWORD src1_sel:WORD_0
	v_mov_b32_e32 v11, v25
.LBB52_354:
	s_or_b64 exec, exec, s[66:67]
	v_cmp_gt_u32_e32 vcc, 48, v6
	s_waitcnt lgkmcnt(0)
	v_cndmask_b32_e64 v21, 0, 1, vcc
	v_lshlrev_b32_e32 v21, 4, v21
	v_add_lshl_u32 v21, v21, v16, 2
	ds_bpermute_b32 v23, v21, v24
	v_add_u32_e32 v22, 16, v16
	v_cmp_le_u32_e32 vcc, v22, v3
	s_and_saveexec_b64 s[66:67], vcc
	s_cbranch_execz .LBB52_362
; %bb.355:
	v_cmp_eq_u16_e32 vcc, 0, v25
	s_and_saveexec_b64 s[68:69], vcc
	s_cbranch_execz .LBB52_361
; %bb.356:
	s_waitcnt lgkmcnt(0)
	v_lshlrev_b32_e32 v24, 16, v23
	v_lshlrev_b32_e32 v10, 16, v10
	v_pk_add_f32 v[10:11], v[24:25], v[10:11] op_sel_hi:[0,1]
	s_mov_b32 s63, 0x7f800000
	v_and_b32_e32 v11, 0x7f800000, v10
	v_cmp_ne_u32_e32 vcc, s63, v11
                                        ; implicit-def: $vgpr24
	s_and_saveexec_b64 s[70:71], vcc
	s_xor_b64 s[70:71], exec, s[70:71]
; %bb.357:
	v_bfe_u32 v11, v10, 16, 1
	s_movk_i32 s63, 0x7fff
	v_add3_u32 v24, v10, v11, s63
                                        ; implicit-def: $vgpr10_vgpr11
; %bb.358:
	s_andn2_saveexec_b64 s[70:71], s[70:71]
; %bb.359:
	v_mov_b32_e32 v11, 0
	v_or_b32_e32 v24, 0x10000, v10
	v_cmp_eq_u32_sdwa vcc, v10, v11 src0_sel:WORD_0 src1_sel:DWORD
	v_cndmask_b32_e32 v24, v24, v10, vcc
; %bb.360:
	s_or_b64 exec, exec, s[70:71]
	v_lshrrev_b32_e32 v10, 16, v24
.LBB52_361:
	s_or_b64 exec, exec, s[68:69]
	v_and_b32_e32 v11, 1, v25
	v_mov_b32_e32 v24, 1
	s_waitcnt lgkmcnt(0)
	v_and_b32_sdwa v23, v23, v24 dst_sel:DWORD dst_unused:UNUSED_PAD src0_sel:WORD_1 src1_sel:DWORD
	v_cmp_eq_u32_e32 vcc, 1, v11
	v_cndmask_b32_e64 v25, v23, 1, vcc
	v_lshlrev_b32_e32 v11, 16, v25
	v_or_b32_sdwa v24, v11, v10 dst_sel:DWORD dst_unused:UNUSED_PAD src0_sel:DWORD src1_sel:WORD_0
	v_mov_b32_e32 v11, v25
.LBB52_362:
	s_or_b64 exec, exec, s[66:67]
	v_cmp_gt_u32_e32 vcc, 32, v6
	v_cndmask_b32_e64 v6, 0, 1, vcc
	v_lshlrev_b32_e32 v6, 5, v6
	s_waitcnt lgkmcnt(0)
	v_add_lshl_u32 v23, v6, v16, 2
	ds_bpermute_b32 v6, v23, v24
	v_add_u32_e32 v24, 32, v16
	v_cmp_le_u32_e32 vcc, v24, v3
	s_and_saveexec_b64 s[66:67], vcc
	s_cbranch_execz .LBB52_370
; %bb.363:
	v_cmp_eq_u16_e32 vcc, 0, v25
	s_and_saveexec_b64 s[68:69], vcc
	s_cbranch_execz .LBB52_369
; %bb.364:
	s_waitcnt lgkmcnt(0)
	v_lshlrev_b32_e32 v16, 16, v6
	v_lshlrev_b32_e32 v10, 16, v10
	v_pk_add_f32 v[10:11], v[16:17], v[10:11] op_sel_hi:[0,1]
	s_mov_b32 s63, 0x7f800000
	v_and_b32_e32 v3, 0x7f800000, v10
	v_cmp_ne_u32_e32 vcc, s63, v3
                                        ; implicit-def: $vgpr3
	s_and_saveexec_b64 s[70:71], vcc
	s_xor_b64 s[70:71], exec, s[70:71]
; %bb.365:
	v_bfe_u32 v3, v10, 16, 1
	s_movk_i32 s63, 0x7fff
	v_add3_u32 v3, v10, v3, s63
                                        ; implicit-def: $vgpr10_vgpr11
; %bb.366:
	s_andn2_saveexec_b64 s[70:71], s[70:71]
; %bb.367:
	v_mov_b32_e32 v3, 0
	v_or_b32_e32 v11, 0x10000, v10
	v_cmp_eq_u32_sdwa vcc, v10, v3 src0_sel:WORD_0 src1_sel:DWORD
	v_cndmask_b32_e32 v3, v11, v10, vcc
; %bb.368:
	s_or_b64 exec, exec, s[70:71]
	v_lshrrev_b32_e32 v10, 16, v3
.LBB52_369:
	s_or_b64 exec, exec, s[68:69]
	v_and_b32_e32 v3, 1, v25
	v_mov_b32_e32 v11, 1
	s_waitcnt lgkmcnt(0)
	v_and_b32_sdwa v6, v6, v11 dst_sel:DWORD dst_unused:UNUSED_PAD src0_sel:WORD_1 src1_sel:DWORD
	v_cmp_eq_u32_e32 vcc, 1, v3
	v_cndmask_b32_e64 v11, v6, 1, vcc
.LBB52_370:
	s_or_b64 exec, exec, s[66:67]
	v_mov_b32_e32 v3, 0
	s_mov_b32 s63, 0x7f800000
	s_movk_i32 s72, 0x7fff
	v_mov_b32_e32 v26, 2
	v_mov_b32_e32 v27, 1
	s_branch .LBB52_372
.LBB52_371:                             ;   in Loop: Header=BB52_372 Depth=1
                                        ; implicit-def: $vgpr11
                                        ; implicit-def: $vgpr10
                                        ; implicit-def: $vgpr7
	s_cbranch_execnz .LBB52_432
.LBB52_372:                             ; =>This Loop Header: Depth=1
                                        ;     Child Loop BB52_375 Depth 2
	v_cmp_ne_u16_sdwa s[66:67], v7, v26 src0_sel:BYTE_0 src1_sel:DWORD
	s_waitcnt lgkmcnt(0)
	v_cndmask_b32_e64 v6, 0, 1, s[66:67]
	;;#ASMSTART
	;;#ASMEND
	v_cmp_ne_u32_e32 vcc, 0, v6
	v_mov_b32_e32 v16, v11
	s_cmp_lg_u64 vcc, exec
	v_mov_b32_e32 v25, v10
	s_cbranch_scc1 .LBB52_371
; %bb.373:                              ;   in Loop: Header=BB52_372 Depth=1
	v_lshlrev_b64 v[6:7], 3, v[2:3]
	v_mov_b32_e32 v11, s61
	v_add_co_u32_e32 v10, vcc, s60, v6
	v_addc_co_u32_e32 v11, vcc, v11, v7, vcc
	global_load_dwordx2 v[6:7], v[10:11], off glc
	s_waitcnt vmcnt(0)
	v_cmp_eq_u16_sdwa s[68:69], v7, v3 src0_sel:BYTE_0 src1_sel:DWORD
	s_and_saveexec_b64 s[66:67], s[68:69]
	s_cbranch_execz .LBB52_377
; %bb.374:                              ;   in Loop: Header=BB52_372 Depth=1
	s_mov_b64 s[68:69], 0
.LBB52_375:                             ;   Parent Loop BB52_372 Depth=1
                                        ; =>  This Inner Loop Header: Depth=2
	global_load_dwordx2 v[6:7], v[10:11], off glc
	s_waitcnt vmcnt(0)
	v_cmp_ne_u16_sdwa s[70:71], v7, v3 src0_sel:BYTE_0 src1_sel:DWORD
	s_or_b64 s[68:69], s[70:71], s[68:69]
	s_andn2_b64 exec, exec, s[68:69]
	s_cbranch_execnz .LBB52_375
; %bb.376:                              ;   in Loop: Header=BB52_372 Depth=1
	s_or_b64 exec, exec, s[68:69]
.LBB52_377:                             ;   in Loop: Header=BB52_372 Depth=1
	s_or_b64 exec, exec, s[66:67]
	v_cmp_eq_u16_sdwa s[66:67], v7, v26 src0_sel:BYTE_0 src1_sel:DWORD
	v_and_b32_e32 v10, s67, v9
	v_or_b32_e32 v10, 0x80000000, v10
	v_ffbl_b32_e32 v10, v10
	v_add_u32_e32 v28, 32, v10
	v_and_b32_e32 v10, 0xffffff, v6
	ds_bpermute_b32 v53, v12, v10
	v_and_b32_e32 v11, s66, v8
	v_ffbl_b32_e32 v11, v11
	v_min_u32_e32 v28, v11, v28
	v_lshrrev_b32_e32 v52, 16, v6
	v_cmp_le_u32_e32 vcc, v13, v28
	v_bfe_u32 v29, v6, 16, 8
	s_and_saveexec_b64 s[66:67], vcc
	s_cbranch_execz .LBB52_385
; %bb.378:                              ;   in Loop: Header=BB52_372 Depth=1
	v_and_b32_e32 v29, 0xff0000, v6
	v_cmp_eq_u32_e32 vcc, 0, v29
	s_and_saveexec_b64 s[68:69], vcc
	s_cbranch_execz .LBB52_384
; %bb.379:                              ;   in Loop: Header=BB52_372 Depth=1
	s_waitcnt lgkmcnt(0)
	v_lshlrev_b32_e32 v10, 16, v53
	v_lshlrev_b32_e32 v6, 16, v6
	v_pk_add_f32 v[10:11], v[10:11], v[6:7] op_sel_hi:[0,1]
	v_and_b32_e32 v6, 0x7f800000, v10
	v_cmp_ne_u32_e32 vcc, s63, v6
                                        ; implicit-def: $vgpr6
	s_and_saveexec_b64 s[70:71], vcc
	s_xor_b64 s[70:71], exec, s[70:71]
; %bb.380:                              ;   in Loop: Header=BB52_372 Depth=1
	v_bfe_u32 v6, v10, 16, 1
	v_add3_u32 v6, v10, v6, s72
                                        ; implicit-def: $vgpr10_vgpr11
; %bb.381:                              ;   in Loop: Header=BB52_372 Depth=1
	s_andn2_saveexec_b64 s[70:71], s[70:71]
; %bb.382:                              ;   in Loop: Header=BB52_372 Depth=1
	v_or_b32_e32 v6, 0x10000, v10
	v_cmp_eq_u32_sdwa vcc, v10, v3 src0_sel:WORD_0 src1_sel:DWORD
	v_cndmask_b32_e32 v6, v6, v10, vcc
; %bb.383:                              ;   in Loop: Header=BB52_372 Depth=1
	s_or_b64 exec, exec, s[70:71]
	v_lshrrev_b32_e32 v6, 16, v6
.LBB52_384:                             ;   in Loop: Header=BB52_372 Depth=1
	s_or_b64 exec, exec, s[68:69]
	v_and_b32_e32 v10, 0x10000, v29
	s_waitcnt lgkmcnt(0)
	v_and_b32_sdwa v11, v53, v27 dst_sel:DWORD dst_unused:UNUSED_PAD src0_sel:WORD_1 src1_sel:DWORD
	v_cmp_ne_u32_e32 vcc, 0, v10
	v_cndmask_b32_e64 v29, v11, 1, vcc
	v_lshlrev_b32_e32 v10, 16, v29
	v_or_b32_sdwa v10, v10, v6 dst_sel:DWORD dst_unused:UNUSED_PAD src0_sel:DWORD src1_sel:WORD_0
	v_mov_b32_e32 v52, v29
.LBB52_385:                             ;   in Loop: Header=BB52_372 Depth=1
	s_or_b64 exec, exec, s[66:67]
	s_waitcnt lgkmcnt(0)
	ds_bpermute_b32 v53, v14, v10
	v_cmp_le_u32_e32 vcc, v15, v28
	s_and_saveexec_b64 s[66:67], vcc
	s_cbranch_execz .LBB52_393
; %bb.386:                              ;   in Loop: Header=BB52_372 Depth=1
	v_cmp_eq_u16_e32 vcc, 0, v29
	s_and_saveexec_b64 s[68:69], vcc
	s_cbranch_execz .LBB52_392
; %bb.387:                              ;   in Loop: Header=BB52_372 Depth=1
	s_waitcnt lgkmcnt(0)
	v_lshlrev_b32_e32 v10, 16, v53
	v_lshlrev_b32_e32 v6, 16, v6
	v_pk_add_f32 v[10:11], v[10:11], v[6:7] op_sel_hi:[0,1]
	v_and_b32_e32 v6, 0x7f800000, v10
	v_cmp_ne_u32_e32 vcc, s63, v6
                                        ; implicit-def: $vgpr6
	s_and_saveexec_b64 s[70:71], vcc
	s_xor_b64 s[70:71], exec, s[70:71]
; %bb.388:                              ;   in Loop: Header=BB52_372 Depth=1
	v_bfe_u32 v6, v10, 16, 1
	v_add3_u32 v6, v10, v6, s72
                                        ; implicit-def: $vgpr10_vgpr11
; %bb.389:                              ;   in Loop: Header=BB52_372 Depth=1
	s_andn2_saveexec_b64 s[70:71], s[70:71]
; %bb.390:                              ;   in Loop: Header=BB52_372 Depth=1
	v_or_b32_e32 v6, 0x10000, v10
	v_cmp_eq_u32_sdwa vcc, v10, v3 src0_sel:WORD_0 src1_sel:DWORD
	v_cndmask_b32_e32 v6, v6, v10, vcc
; %bb.391:                              ;   in Loop: Header=BB52_372 Depth=1
	s_or_b64 exec, exec, s[70:71]
	v_lshrrev_b32_e32 v6, 16, v6
.LBB52_392:                             ;   in Loop: Header=BB52_372 Depth=1
	s_or_b64 exec, exec, s[68:69]
	v_and_b32_e32 v10, 1, v29
	s_waitcnt lgkmcnt(0)
	v_and_b32_sdwa v11, v53, v27 dst_sel:DWORD dst_unused:UNUSED_PAD src0_sel:WORD_1 src1_sel:DWORD
	v_cmp_eq_u32_e32 vcc, 1, v10
	v_cndmask_b32_e64 v29, v11, 1, vcc
	v_lshlrev_b32_e32 v10, 16, v29
	v_or_b32_sdwa v10, v10, v6 dst_sel:DWORD dst_unused:UNUSED_PAD src0_sel:DWORD src1_sel:WORD_0
	v_mov_b32_e32 v52, v29
.LBB52_393:                             ;   in Loop: Header=BB52_372 Depth=1
	s_or_b64 exec, exec, s[66:67]
	s_waitcnt lgkmcnt(0)
	ds_bpermute_b32 v53, v17, v10
	v_cmp_le_u32_e32 vcc, v18, v28
	s_and_saveexec_b64 s[66:67], vcc
	s_cbranch_execz .LBB52_401
; %bb.394:                              ;   in Loop: Header=BB52_372 Depth=1
	v_cmp_eq_u16_e32 vcc, 0, v29
	s_and_saveexec_b64 s[68:69], vcc
	s_cbranch_execz .LBB52_400
; %bb.395:                              ;   in Loop: Header=BB52_372 Depth=1
	s_waitcnt lgkmcnt(0)
	v_lshlrev_b32_e32 v10, 16, v53
	v_lshlrev_b32_e32 v6, 16, v6
	v_pk_add_f32 v[10:11], v[10:11], v[6:7] op_sel_hi:[0,1]
	v_and_b32_e32 v6, 0x7f800000, v10
	v_cmp_ne_u32_e32 vcc, s63, v6
                                        ; implicit-def: $vgpr6
	s_and_saveexec_b64 s[70:71], vcc
	s_xor_b64 s[70:71], exec, s[70:71]
; %bb.396:                              ;   in Loop: Header=BB52_372 Depth=1
	v_bfe_u32 v6, v10, 16, 1
	v_add3_u32 v6, v10, v6, s72
                                        ; implicit-def: $vgpr10_vgpr11
; %bb.397:                              ;   in Loop: Header=BB52_372 Depth=1
	s_andn2_saveexec_b64 s[70:71], s[70:71]
; %bb.398:                              ;   in Loop: Header=BB52_372 Depth=1
	v_or_b32_e32 v6, 0x10000, v10
	v_cmp_eq_u32_sdwa vcc, v10, v3 src0_sel:WORD_0 src1_sel:DWORD
	v_cndmask_b32_e32 v6, v6, v10, vcc
; %bb.399:                              ;   in Loop: Header=BB52_372 Depth=1
	s_or_b64 exec, exec, s[70:71]
	v_lshrrev_b32_e32 v6, 16, v6
.LBB52_400:                             ;   in Loop: Header=BB52_372 Depth=1
	s_or_b64 exec, exec, s[68:69]
	v_and_b32_e32 v10, 1, v29
	s_waitcnt lgkmcnt(0)
	v_and_b32_sdwa v11, v53, v27 dst_sel:DWORD dst_unused:UNUSED_PAD src0_sel:WORD_1 src1_sel:DWORD
	v_cmp_eq_u32_e32 vcc, 1, v10
	v_cndmask_b32_e64 v29, v11, 1, vcc
	v_lshlrev_b32_e32 v10, 16, v29
	v_or_b32_sdwa v10, v10, v6 dst_sel:DWORD dst_unused:UNUSED_PAD src0_sel:DWORD src1_sel:WORD_0
	v_mov_b32_e32 v52, v29
.LBB52_401:                             ;   in Loop: Header=BB52_372 Depth=1
	;; [unrolled: 44-line block ×4, first 2 shown]
	s_or_b64 exec, exec, s[66:67]
	s_waitcnt lgkmcnt(0)
	ds_bpermute_b32 v53, v23, v10
	v_cmp_le_u32_e32 vcc, v24, v28
	s_and_saveexec_b64 s[66:67], vcc
	s_cbranch_execz .LBB52_425
; %bb.418:                              ;   in Loop: Header=BB52_372 Depth=1
	v_cmp_eq_u16_e32 vcc, 0, v29
	s_and_saveexec_b64 s[68:69], vcc
	s_cbranch_execz .LBB52_424
; %bb.419:                              ;   in Loop: Header=BB52_372 Depth=1
	s_waitcnt lgkmcnt(0)
	v_lshlrev_b32_e32 v10, 16, v53
	v_lshlrev_b32_e32 v6, 16, v6
	v_pk_add_f32 v[10:11], v[10:11], v[6:7] op_sel_hi:[0,1]
	v_and_b32_e32 v6, 0x7f800000, v10
	v_cmp_ne_u32_e32 vcc, s63, v6
                                        ; implicit-def: $vgpr6
	s_and_saveexec_b64 s[70:71], vcc
	s_xor_b64 s[70:71], exec, s[70:71]
; %bb.420:                              ;   in Loop: Header=BB52_372 Depth=1
	v_bfe_u32 v6, v10, 16, 1
	v_add3_u32 v6, v10, v6, s72
                                        ; implicit-def: $vgpr10_vgpr11
; %bb.421:                              ;   in Loop: Header=BB52_372 Depth=1
	s_andn2_saveexec_b64 s[70:71], s[70:71]
; %bb.422:                              ;   in Loop: Header=BB52_372 Depth=1
	v_or_b32_e32 v6, 0x10000, v10
	v_cmp_eq_u32_sdwa vcc, v10, v3 src0_sel:WORD_0 src1_sel:DWORD
	v_cndmask_b32_e32 v6, v6, v10, vcc
; %bb.423:                              ;   in Loop: Header=BB52_372 Depth=1
	s_or_b64 exec, exec, s[70:71]
	v_lshrrev_b32_e32 v6, 16, v6
.LBB52_424:                             ;   in Loop: Header=BB52_372 Depth=1
	s_or_b64 exec, exec, s[68:69]
	v_and_b32_e32 v10, 1, v29
	s_waitcnt lgkmcnt(0)
	v_lshrrev_b32_e32 v11, 16, v53
	v_cmp_eq_u32_e32 vcc, 1, v10
	v_cndmask_b32_e64 v52, v11, 1, vcc
.LBB52_425:                             ;   in Loop: Header=BB52_372 Depth=1
	s_or_b64 exec, exec, s[66:67]
	v_cmp_eq_u16_sdwa s[68:69], v16, v3 src0_sel:BYTE_0 src1_sel:DWORD
	v_mov_b32_e32 v10, v25
	s_and_saveexec_b64 s[66:67], s[68:69]
	s_cbranch_execz .LBB52_431
; %bb.426:                              ;   in Loop: Header=BB52_372 Depth=1
	v_lshlrev_b32_e32 v6, 16, v6
	v_lshlrev_b32_e32 v10, 16, v25
	v_pk_add_f32 v[10:11], v[6:7], v[10:11] op_sel_hi:[0,1]
	v_and_b32_e32 v6, 0x7f800000, v10
	v_cmp_ne_u32_e32 vcc, s63, v6
                                        ; implicit-def: $vgpr6
	s_and_saveexec_b64 s[68:69], vcc
	s_xor_b64 s[68:69], exec, s[68:69]
; %bb.427:                              ;   in Loop: Header=BB52_372 Depth=1
	v_bfe_u32 v6, v10, 16, 1
	v_add3_u32 v6, v10, v6, s72
                                        ; implicit-def: $vgpr10_vgpr11
; %bb.428:                              ;   in Loop: Header=BB52_372 Depth=1
	s_andn2_saveexec_b64 s[68:69], s[68:69]
; %bb.429:                              ;   in Loop: Header=BB52_372 Depth=1
	v_or_b32_e32 v6, 0x10000, v10
	v_cmp_eq_u32_sdwa vcc, v10, v3 src0_sel:WORD_0 src1_sel:DWORD
	v_cndmask_b32_e32 v6, v6, v10, vcc
; %bb.430:                              ;   in Loop: Header=BB52_372 Depth=1
	s_or_b64 exec, exec, s[68:69]
	v_lshrrev_b32_e32 v10, 16, v6
.LBB52_431:                             ;   in Loop: Header=BB52_372 Depth=1
	s_or_b64 exec, exec, s[66:67]
	v_and_b32_e32 v6, 1, v16
	v_and_b32_e32 v11, 1, v52
	v_cmp_eq_u32_e32 vcc, 1, v6
	v_subrev_u32_e32 v2, 64, v2
	v_cndmask_b32_e64 v11, v11, 1, vcc
	s_branch .LBB52_372
.LBB52_432:
	s_and_saveexec_b64 s[66:67], s[52:53]
	s_cbranch_execz .LBB52_440
; %bb.433:
	s_and_b32 s52, s7, 0xff0000
	s_cmp_lg_u32 s52, 0
	v_mov_b32_e32 v2, s7
	s_cbranch_scc1 .LBB52_439
; %bb.434:
	s_lshl_b32 s52, s7, 16
	v_lshlrev_b32_e32 v2, 16, v25
	v_pk_add_f32 v[2:3], v[2:3], s[52:53] op_sel_hi:[0,1]
	s_mov_b32 s52, 0x7f800000
	v_and_b32_e32 v3, 0x7f800000, v2
	v_cmp_ne_u32_e32 vcc, s52, v3
                                        ; implicit-def: $vgpr6
	s_and_saveexec_b64 s[52:53], vcc
	s_xor_b64 s[52:53], exec, s[52:53]
; %bb.435:
	v_bfe_u32 v3, v2, 16, 1
	s_movk_i32 s63, 0x7fff
	v_add3_u32 v6, v2, v3, s63
                                        ; implicit-def: $vgpr2_vgpr3
; %bb.436:
	s_andn2_saveexec_b64 s[52:53], s[52:53]
; %bb.437:
	v_mov_b32_e32 v3, 0
	v_or_b32_e32 v6, 0x10000, v2
	v_cmp_eq_u32_sdwa vcc, v2, v3 src0_sel:WORD_0 src1_sel:DWORD
	v_cndmask_b32_e32 v6, v6, v2, vcc
; %bb.438:
	s_or_b64 exec, exec, s[52:53]
	v_lshrrev_b32_e32 v2, 16, v6
.LBB52_439:
	s_bitcmp0_b32 s7, 16
	s_mov_b32 s7, 0
	v_mov_b32_e32 v3, 1
	s_cselect_b64 vcc, -1, 0
	s_add_i32 s6, s6, 64
	v_and_b32_sdwa v3, v16, v3 dst_sel:WORD_1 dst_unused:UNUSED_PAD src0_sel:DWORD src1_sel:DWORD
	v_mov_b32_e32 v6, 0x10000
	s_lshl_b64 s[6:7], s[6:7], 3
	v_cndmask_b32_e32 v3, v6, v3, vcc
	s_mov_b32 s52, 0xffff
	s_add_u32 s6, s60, s6
	v_and_or_b32 v2, v2, s52, v3
	s_addc_u32 s7, s61, s7
	v_mov_b32_e32 v6, 0
	v_mov_b32_e32 v3, 2
	global_store_dwordx2 v6, v[2:3], s[6:7]
.LBB52_440:
	s_or_b64 exec, exec, s[66:67]
	v_cmp_eq_u32_e32 vcc, 0, v0
	s_and_b64 exec, exec, vcc
	s_cbranch_execz .LBB52_442
; %bb.441:
	v_mov_b32_e32 v2, 0
	ds_write_b16 v2, v25
	ds_write_b8 v2, v16 offset:2
.LBB52_442:
	s_or_b64 exec, exec, s[64:65]
	v_mov_b32_e32 v2, 0
	s_waitcnt lgkmcnt(0)
	; wave barrier
	s_waitcnt lgkmcnt(0)
	ds_read_b64 v[2:3], v2
	v_lshrrev_b32_e32 v6, 16, v51
	v_cmp_ne_u32_e32 vcc, 0, v0
	s_waitcnt lgkmcnt(0)
	v_mov_b32_e32 v3, v51
	s_and_saveexec_b64 s[6:7], vcc
	s_cbranch_execz .LBB52_450
; %bb.443:
	s_mov_b32 s52, 0x10000
	v_cmp_gt_u32_e32 vcc, s52, v51
	v_mov_b32_e32 v3, v51
	s_and_saveexec_b64 s[52:53], vcc
	s_cbranch_execz .LBB52_449
; %bb.444:
	v_lshlrev_b32_e32 v6, 16, v4
	v_lshlrev_b32_e32 v8, 16, v51
	v_pk_add_f32 v[6:7], v[6:7], v[8:9] op_sel_hi:[0,1]
	s_mov_b32 s63, 0x7f800000
	v_and_b32_e32 v3, 0x7f800000, v6
	v_cmp_ne_u32_e32 vcc, s63, v3
                                        ; implicit-def: $vgpr3
	s_and_saveexec_b64 s[64:65], vcc
	s_xor_b64 s[64:65], exec, s[64:65]
; %bb.445:
	v_bfe_u32 v3, v6, 16, 1
	s_movk_i32 s63, 0x7fff
	v_add3_u32 v3, v6, v3, s63
                                        ; implicit-def: $vgpr6_vgpr7
; %bb.446:
	s_andn2_saveexec_b64 s[64:65], s[64:65]
; %bb.447:
	v_mov_b32_e32 v3, 0
	v_or_b32_e32 v7, 0x10000, v6
	v_cmp_eq_u32_sdwa vcc, v6, v3 src0_sel:WORD_0 src1_sel:DWORD
	v_cndmask_b32_e32 v3, v7, v6, vcc
; %bb.448:
	s_or_b64 exec, exec, s[64:65]
	v_lshrrev_b32_e32 v3, 16, v3
.LBB52_449:
	s_or_b64 exec, exec, s[52:53]
	v_and_b32_e32 v6, 0x10000, v51
	v_mov_b32_e32 v7, 1
	v_and_b32_sdwa v4, v4, v7 dst_sel:DWORD dst_unused:UNUSED_PAD src0_sel:WORD_1 src1_sel:DWORD
	v_cmp_ne_u32_e32 vcc, 0, v6
	v_cndmask_b32_e64 v6, v4, 1, vcc
.LBB52_450:
	s_or_b64 exec, exec, s[6:7]
	v_mov_b32_e32 v4, 0
	v_cmp_eq_u16_sdwa s[52:53], v6, v4 src0_sel:BYTE_0 src1_sel:DWORD
	s_and_saveexec_b64 s[6:7], s[52:53]
	s_cbranch_execz .LBB52_456
; %bb.451:
	v_lshlrev_b32_e32 v2, 16, v2
	v_lshlrev_b32_e32 v4, 16, v3
	v_pk_add_f32 v[2:3], v[4:5], v[2:3] op_sel_hi:[0,1]
	s_mov_b32 s52, 0x7f800000
	v_and_b32_e32 v3, 0x7f800000, v2
	v_cmp_ne_u32_e32 vcc, s52, v3
                                        ; implicit-def: $vgpr4
	s_and_saveexec_b64 s[52:53], vcc
	s_xor_b64 s[52:53], exec, s[52:53]
; %bb.452:
	v_bfe_u32 v3, v2, 16, 1
	s_movk_i32 s63, 0x7fff
	v_add3_u32 v4, v2, v3, s63
                                        ; implicit-def: $vgpr2_vgpr3
; %bb.453:
	s_andn2_saveexec_b64 s[52:53], s[52:53]
; %bb.454:
	v_mov_b32_e32 v3, 0
	v_or_b32_e32 v4, 0x10000, v2
	v_cmp_eq_u32_sdwa vcc, v2, v3 src0_sel:WORD_0 src1_sel:DWORD
	v_cndmask_b32_e32 v4, v4, v2, vcc
; %bb.455:
	s_or_b64 exec, exec, s[52:53]
	v_lshrrev_b32_e32 v3, 16, v4
.LBB52_456:
	s_or_b64 exec, exec, s[6:7]
	v_and_b32_e32 v6, 0xffff, v3
	v_mov_b32_e32 v2, v50
	s_and_saveexec_b64 s[6:7], s[2:3]
	s_cbranch_execz .LBB52_462
; %bb.457:
	v_lshlrev_b32_e32 v2, 16, v6
	v_lshlrev_b32_e32 v4, 16, v50
	v_pk_add_f32 v[2:3], v[2:3], v[4:5] op_sel_hi:[0,1]
	s_mov_b32 s2, 0x7f800000
	v_and_b32_e32 v3, 0x7f800000, v2
	v_cmp_ne_u32_e32 vcc, s2, v3
                                        ; implicit-def: $vgpr4
	s_and_saveexec_b64 s[2:3], vcc
	s_xor_b64 s[2:3], exec, s[2:3]
; %bb.458:
	v_bfe_u32 v3, v2, 16, 1
	s_movk_i32 s52, 0x7fff
	v_add3_u32 v4, v2, v3, s52
                                        ; implicit-def: $vgpr2_vgpr3
; %bb.459:
	s_andn2_saveexec_b64 s[2:3], s[2:3]
; %bb.460:
	v_mov_b32_e32 v3, 0
	v_or_b32_e32 v4, 0x10000, v2
	v_cmp_eq_u32_sdwa vcc, v2, v3 src0_sel:WORD_0 src1_sel:DWORD
	v_cndmask_b32_e32 v4, v4, v2, vcc
; %bb.461:
	s_or_b64 exec, exec, s[2:3]
	v_lshrrev_b32_e32 v2, 16, v4
.LBB52_462:
	s_or_b64 exec, exec, s[6:7]
	v_and_b32_e32 v7, 0xffff, v2
	v_mov_b32_e32 v2, v48
	;; [unrolled: 31-line block ×21, first 2 shown]
	s_and_saveexec_b64 s[2:3], s[48:49]
	s_cbranch_execz .LBB52_582
; %bb.577:
	v_lshlrev_b32_e32 v4, 16, v2
	v_lshlrev_b32_e32 v26, 16, v31
	v_pk_add_f32 v[26:27], v[4:5], v[26:27] op_sel_hi:[0,1]
	s_mov_b32 s6, 0x7f800000
	v_and_b32_e32 v3, 0x7f800000, v26
	v_cmp_ne_u32_e32 vcc, s6, v3
                                        ; implicit-def: $vgpr3
	s_and_saveexec_b64 s[6:7], vcc
	s_xor_b64 s[6:7], exec, s[6:7]
; %bb.578:
	v_bfe_u32 v3, v26, 16, 1
	s_movk_i32 s8, 0x7fff
	v_add3_u32 v3, v26, v3, s8
                                        ; implicit-def: $vgpr26_vgpr27
; %bb.579:
	s_andn2_saveexec_b64 s[6:7], s[6:7]
; %bb.580:
	v_mov_b32_e32 v3, 0
	v_or_b32_e32 v4, 0x10000, v26
	v_cmp_eq_u32_sdwa vcc, v26, v3 src0_sel:WORD_0 src1_sel:DWORD
	v_cndmask_b32_e32 v3, v4, v26, vcc
; %bb.581:
	s_or_b64 exec, exec, s[6:7]
	v_lshrrev_b32_e32 v3, 16, v3
.LBB52_582:
	s_or_b64 exec, exec, s[2:3]
	v_and_b32_e32 v3, 0xffff, v3
	v_mov_b32_e32 v4, v1
	s_and_saveexec_b64 s[2:3], s[50:51]
	s_cbranch_execz .LBB52_588
; %bb.583:
	v_lshlrev_b32_e32 v4, 16, v3
	v_lshlrev_b32_e32 v26, 16, v1
	v_pk_add_f32 v[26:27], v[4:5], v[26:27] op_sel_hi:[0,1]
	s_mov_b32 s6, 0x7f800000
	v_and_b32_e32 v4, 0x7f800000, v26
	v_cmp_ne_u32_e32 vcc, s6, v4
                                        ; implicit-def: $vgpr4
	s_and_saveexec_b64 s[6:7], vcc
	s_xor_b64 s[6:7], exec, s[6:7]
; %bb.584:
	v_bfe_u32 v4, v26, 16, 1
	s_movk_i32 s8, 0x7fff
	v_add3_u32 v4, v26, v4, s8
                                        ; implicit-def: $vgpr26_vgpr27
; %bb.585:
	s_andn2_saveexec_b64 s[6:7], s[6:7]
; %bb.586:
	v_mov_b32_e32 v4, 0
	v_or_b32_e32 v27, 0x10000, v26
	v_cmp_eq_u32_sdwa vcc, v26, v4 src0_sel:WORD_0 src1_sel:DWORD
	v_cndmask_b32_e32 v4, v27, v26, vcc
; %bb.587:
	s_or_b64 exec, exec, s[6:7]
	v_lshrrev_b32_e32 v4, 16, v4
.LBB52_588:
	s_or_b64 exec, exec, s[2:3]
	v_and_b32_e32 v4, 0xffff, v4
	v_pk_mov_b32 v[28:29], v[4:5], v[4:5] op_sel:[0,1]
	v_pk_mov_b32 v[26:27], v[2:3], v[2:3] op_sel:[0,1]
	s_and_saveexec_b64 s[2:3], s[44:45]
	s_cbranch_execz .LBB52_594
; %bb.589:
	v_lshlrev_b32_e32 v26, 16, v4
	v_lshlrev_b32_e32 v28, 16, v5
	v_pk_add_f32 v[26:27], v[26:27], v[28:29] op_sel_hi:[0,1]
	s_mov_b32 s6, 0x7f800000
	v_and_b32_e32 v27, 0x7f800000, v26
	v_cmp_ne_u32_e32 vcc, s6, v27
                                        ; implicit-def: $vgpr28
	s_and_saveexec_b64 s[6:7], vcc
	s_xor_b64 s[6:7], exec, s[6:7]
; %bb.590:
	v_bfe_u32 v27, v26, 16, 1
	s_movk_i32 s8, 0x7fff
	v_add3_u32 v28, v26, v27, s8
                                        ; implicit-def: $vgpr26_vgpr27
; %bb.591:
	s_andn2_saveexec_b64 s[6:7], s[6:7]
; %bb.592:
	v_mov_b32_e32 v27, 0
	v_or_b32_e32 v28, 0x10000, v26
	v_cmp_eq_u32_sdwa vcc, v26, v27 src0_sel:WORD_0 src1_sel:DWORD
	v_cndmask_b32_e32 v28, v28, v26, vcc
; %bb.593:
	s_or_b64 exec, exec, s[6:7]
	v_lshrrev_b32_e32 v52, 16, v28
	v_pk_mov_b32 v[28:29], v[4:5], v[4:5] op_sel:[0,1]
	v_pk_mov_b32 v[26:27], v[2:3], v[2:3] op_sel:[0,1]
	v_mov_b32_e32 v29, v52
.LBB52_594:
	s_or_b64 exec, exec, s[2:3]
	s_branch .LBB52_889
.LBB52_595:
	s_or_b64 exec, exec, s[52:53]
	v_cmp_lt_u32_e32 vcc, 31, v16
	s_and_saveexec_b64 s[52:53], vcc
	s_cbranch_execz .LBB52_313
.LBB52_596:
	v_and_b32_e32 v3, 1, v8
	v_mov_b32_e32 v4, 1
	v_and_b32_sdwa v4, v9, v4 dst_sel:DWORD dst_unused:UNUSED_PAD src0_sel:WORD_1 src1_sel:DWORD
	v_cmp_eq_u32_e32 vcc, 1, v3
	v_cndmask_b32_e64 v6, v4, 1, vcc
	v_mov_b32_e32 v7, v2
	v_mov_b32_e32 v8, v6
	;; [unrolled: 1-line block ×3, first 2 shown]
	s_or_b64 exec, exec, s[52:53]
	v_cmp_eq_u32_e32 vcc, 63, v0
	s_and_saveexec_b64 s[52:53], vcc
	s_cbranch_execnz .LBB52_314
	s_branch .LBB52_315
.LBB52_597:
	s_or_b64 exec, exec, s[66:67]
                                        ; implicit-def: $vgpr31
	s_and_saveexec_b64 s[2:3], s[54:55]
	s_cbranch_execz .LBB52_53
.LBB52_598:
	global_load_ushort v31, v[26:27], off offset:128
	s_or_b64 exec, exec, s[2:3]
                                        ; implicit-def: $vgpr32
	s_and_saveexec_b64 s[2:3], s[8:9]
	s_cbranch_execnz .LBB52_54
.LBB52_599:
	s_or_b64 exec, exec, s[2:3]
                                        ; implicit-def: $vgpr33
	s_and_saveexec_b64 s[2:3], s[10:11]
	s_cbranch_execz .LBB52_55
.LBB52_600:
	global_load_ushort v33, v[26:27], off offset:384
	s_or_b64 exec, exec, s[2:3]
                                        ; implicit-def: $vgpr34
	s_and_saveexec_b64 s[2:3], s[12:13]
	s_cbranch_execnz .LBB52_56
.LBB52_601:
	s_or_b64 exec, exec, s[2:3]
                                        ; implicit-def: $vgpr35
	s_and_saveexec_b64 s[2:3], s[14:15]
	s_cbranch_execz .LBB52_57
.LBB52_602:
	global_load_ushort v35, v[26:27], off offset:640
	s_or_b64 exec, exec, s[2:3]
                                        ; implicit-def: $vgpr36
	s_and_saveexec_b64 s[2:3], s[16:17]
	s_cbranch_execnz .LBB52_58
.LBB52_603:
	s_or_b64 exec, exec, s[2:3]
                                        ; implicit-def: $vgpr37
	s_and_saveexec_b64 s[2:3], s[18:19]
	s_cbranch_execz .LBB52_59
.LBB52_604:
	global_load_ushort v37, v[26:27], off offset:896
	s_or_b64 exec, exec, s[2:3]
                                        ; implicit-def: $vgpr38
	s_and_saveexec_b64 s[2:3], s[20:21]
	s_cbranch_execnz .LBB52_60
.LBB52_605:
	s_or_b64 exec, exec, s[2:3]
                                        ; implicit-def: $vgpr39
	s_and_saveexec_b64 s[2:3], s[22:23]
	s_cbranch_execz .LBB52_61
.LBB52_606:
	global_load_ushort v39, v[26:27], off offset:1152
	s_or_b64 exec, exec, s[2:3]
                                        ; implicit-def: $vgpr40
	s_and_saveexec_b64 s[2:3], s[24:25]
	s_cbranch_execnz .LBB52_62
.LBB52_607:
	s_or_b64 exec, exec, s[2:3]
                                        ; implicit-def: $vgpr41
	s_and_saveexec_b64 s[2:3], s[26:27]
	s_cbranch_execz .LBB52_63
.LBB52_608:
	global_load_ushort v41, v[26:27], off offset:1408
	s_or_b64 exec, exec, s[2:3]
                                        ; implicit-def: $vgpr42
	s_and_saveexec_b64 s[2:3], s[28:29]
	s_cbranch_execnz .LBB52_64
.LBB52_609:
	s_or_b64 exec, exec, s[2:3]
                                        ; implicit-def: $vgpr43
	s_and_saveexec_b64 s[2:3], s[30:31]
	s_cbranch_execz .LBB52_65
.LBB52_610:
	global_load_ushort v43, v[26:27], off offset:1664
	s_or_b64 exec, exec, s[2:3]
                                        ; implicit-def: $vgpr44
	s_and_saveexec_b64 s[2:3], s[34:35]
	s_cbranch_execnz .LBB52_66
.LBB52_611:
	s_or_b64 exec, exec, s[2:3]
                                        ; implicit-def: $vgpr45
	s_and_saveexec_b64 s[2:3], s[36:37]
	s_cbranch_execz .LBB52_67
.LBB52_612:
	global_load_ushort v45, v[26:27], off offset:1920
	s_or_b64 exec, exec, s[2:3]
                                        ; implicit-def: $vgpr46
	s_and_saveexec_b64 s[2:3], s[38:39]
	s_cbranch_execnz .LBB52_68
.LBB52_613:
	s_or_b64 exec, exec, s[2:3]
                                        ; implicit-def: $vgpr47
	s_and_saveexec_b64 s[2:3], s[40:41]
	s_cbranch_execz .LBB52_69
.LBB52_614:
	global_load_ushort v47, v[26:27], off offset:2176
	s_or_b64 exec, exec, s[2:3]
                                        ; implicit-def: $vgpr48
	s_and_saveexec_b64 s[2:3], s[42:43]
	s_cbranch_execnz .LBB52_70
.LBB52_615:
	s_or_b64 exec, exec, s[2:3]
                                        ; implicit-def: $vgpr49
	s_and_saveexec_b64 s[2:3], s[44:45]
	s_cbranch_execz .LBB52_71
.LBB52_616:
	global_load_ushort v49, v[26:27], off offset:2432
	s_or_b64 exec, exec, s[2:3]
                                        ; implicit-def: $vgpr50
	s_and_saveexec_b64 s[2:3], s[46:47]
	s_cbranch_execnz .LBB52_72
.LBB52_617:
	s_or_b64 exec, exec, s[2:3]
                                        ; implicit-def: $vgpr51
	s_and_saveexec_b64 s[2:3], s[48:49]
	s_cbranch_execz .LBB52_73
.LBB52_618:
	global_load_ushort v51, v[26:27], off offset:2688
	s_or_b64 exec, exec, s[2:3]
                                        ; implicit-def: $vgpr53
	s_and_saveexec_b64 s[2:3], s[50:51]
	s_cbranch_execz .LBB52_75
	s_branch .LBB52_74
.LBB52_619:
                                        ; implicit-def: $vgpr26_vgpr27_vgpr28_vgpr29
                                        ; implicit-def: $vgpr22_vgpr23_vgpr24_vgpr25
                                        ; implicit-def: $vgpr18_vgpr19_vgpr20_vgpr21
                                        ; implicit-def: $vgpr14_vgpr15_vgpr16_vgpr17
                                        ; implicit-def: $vgpr10_vgpr11_vgpr12_vgpr13
                                        ; implicit-def: $vgpr6_vgpr7_vgpr8_vgpr9
	s_cbranch_execz .LBB52_889
; %bb.620:
	s_cmp_lg_u64 s[56:57], 0
	s_cselect_b64 s[6:7], -1, 0
	v_cmp_eq_u32_e32 vcc, 0, v0
	v_cmp_ne_u32_e64 s[2:3], 0, v0
	s_and_b64 s[6:7], vcc, s[6:7]
	s_and_saveexec_b64 s[8:9], s[6:7]
	s_cbranch_execz .LBB52_628
; %bb.621:
	v_mov_b32_e32 v3, 0
	global_load_ubyte v4, v3, s[56:57] offset:2
	s_mov_b32 s6, 0x10000
	v_cmp_gt_u32_e64 s[6:7], s6, v51
	v_mov_b32_e32 v2, v51
	s_and_saveexec_b64 s[10:11], s[6:7]
	s_cbranch_execz .LBB52_627
; %bb.622:
	global_load_ushort v3, v3, s[56:57]
	v_lshlrev_b32_e32 v2, 16, v51
	s_mov_b32 s6, 0x7f800000
	s_waitcnt vmcnt(0)
	v_lshlrev_b32_e32 v6, 16, v3
	v_pk_add_f32 v[2:3], v[6:7], v[2:3] op_sel_hi:[0,1]
	v_and_b32_e32 v3, 0x7f800000, v2
	v_cmp_ne_u32_e64 s[6:7], s6, v3
                                        ; implicit-def: $vgpr6
	s_and_saveexec_b64 s[12:13], s[6:7]
	s_xor_b64 s[6:7], exec, s[12:13]
; %bb.623:
	v_bfe_u32 v3, v2, 16, 1
	s_movk_i32 s12, 0x7fff
	v_add3_u32 v6, v2, v3, s12
                                        ; implicit-def: $vgpr2_vgpr3
; %bb.624:
	s_andn2_saveexec_b64 s[12:13], s[6:7]
; %bb.625:
	v_mov_b32_e32 v3, 0
	v_or_b32_e32 v6, 0x10000, v2
	v_cmp_eq_u32_sdwa s[6:7], v2, v3 src0_sel:WORD_0 src1_sel:DWORD
	v_cndmask_b32_e64 v6, v6, v2, s[6:7]
; %bb.626:
	s_or_b64 exec, exec, s[12:13]
	v_lshrrev_b32_e32 v2, 16, v6
.LBB52_627:
	s_or_b64 exec, exec, s[10:11]
	v_and_b32_e32 v3, 0x10000, v51
	v_mov_b32_e32 v6, 1
	s_waitcnt vmcnt(0)
	v_and_b32_sdwa v4, v4, v6 dst_sel:WORD_1 dst_unused:UNUSED_PAD src0_sel:DWORD src1_sel:DWORD
	v_mov_b32_e32 v6, 0x10000
	v_cmp_eq_u32_e64 s[6:7], 0, v3
	v_cndmask_b32_e64 v3, v6, v4, s[6:7]
	s_mov_b32 s6, 0xffff
	v_and_or_b32 v51, v2, s6, v3
.LBB52_628:
	s_or_b64 exec, exec, s[8:9]
	s_mov_b32 s6, 0x10000
	v_cmp_gt_u32_e64 s[6:7], s6, v50
	v_lshlrev_b32_e32 v2, 16, v50
	v_mov_b32_e32 v3, v50
	s_and_saveexec_b64 s[10:11], s[6:7]
	s_cbranch_execz .LBB52_634
; %bb.629:
	v_lshlrev_b32_e32 v4, 16, v51
	v_pk_add_f32 v[6:7], v[4:5], v[2:3] op_sel_hi:[0,1]
	s_mov_b32 s8, 0x7f800000
	v_and_b32_e32 v3, 0x7f800000, v6
	v_cmp_ne_u32_e64 s[8:9], s8, v3
                                        ; implicit-def: $vgpr3
	s_and_saveexec_b64 s[12:13], s[8:9]
	s_xor_b64 s[8:9], exec, s[12:13]
; %bb.630:
	v_bfe_u32 v3, v6, 16, 1
	s_movk_i32 s12, 0x7fff
	v_add3_u32 v3, v6, v3, s12
                                        ; implicit-def: $vgpr6_vgpr7
; %bb.631:
	s_andn2_saveexec_b64 s[12:13], s[8:9]
; %bb.632:
	v_mov_b32_e32 v3, 0
	v_or_b32_e32 v4, 0x10000, v6
	v_cmp_eq_u32_sdwa s[8:9], v6, v3 src0_sel:WORD_0 src1_sel:DWORD
	v_cndmask_b32_e64 v3, v4, v6, s[8:9]
; %bb.633:
	s_or_b64 exec, exec, s[12:13]
	v_lshrrev_b32_e32 v3, 16, v3
.LBB52_634:
	s_or_b64 exec, exec, s[10:11]
	s_mov_b32 s8, 0x10000
	v_cmp_gt_u32_e64 s[8:9], s8, v48
	v_lshlrev_b32_e32 v4, 16, v48
	v_mov_b32_e32 v6, v48
	s_and_saveexec_b64 s[12:13], s[8:9]
	s_cbranch_execz .LBB52_640
; %bb.635:
	v_lshlrev_b32_e32 v6, 16, v3
	v_pk_add_f32 v[6:7], v[6:7], v[4:5] op_sel_hi:[0,1]
	s_mov_b32 s10, 0x7f800000
	v_and_b32_e32 v3, 0x7f800000, v6
	v_cmp_ne_u32_e64 s[10:11], s10, v3
                                        ; implicit-def: $vgpr3
	s_and_saveexec_b64 s[14:15], s[10:11]
	s_xor_b64 s[10:11], exec, s[14:15]
; %bb.636:
	v_bfe_u32 v3, v6, 16, 1
	s_movk_i32 s14, 0x7fff
	v_add3_u32 v3, v6, v3, s14
                                        ; implicit-def: $vgpr6_vgpr7
; %bb.637:
	s_andn2_saveexec_b64 s[14:15], s[10:11]
; %bb.638:
	v_mov_b32_e32 v3, 0
	v_or_b32_e32 v7, 0x10000, v6
	v_cmp_eq_u32_sdwa s[10:11], v6, v3 src0_sel:WORD_0 src1_sel:DWORD
	v_cndmask_b32_e64 v3, v7, v6, s[10:11]
; %bb.639:
	s_or_b64 exec, exec, s[14:15]
	v_lshrrev_b32_e32 v6, 16, v3
.LBB52_640:
	;; [unrolled: 32-line block ×23, first 2 shown]
	s_or_b64 exec, exec, s[56:57]
	v_or3_b32 v6, v1, v31, v30
	v_or3_b32 v6, v6, v33, v32
	;; [unrolled: 1-line block ×11, first 2 shown]
	v_and_b32_e32 v6, 0x10000, v6
	v_and_b32_e32 v3, 0x10000, v51
	v_mov_b32_e32 v7, 0x10000
	v_cmp_ne_u32_e64 s[54:55], 0, v6
	v_cndmask_b32_e64 v11, v3, v7, s[54:55]
	v_or_b32_sdwa v8, v9, v11 dst_sel:DWORD dst_unused:UNUSED_PAD src0_sel:WORD_0 src1_sel:DWORD
	v_cmp_eq_u32_e64 s[54:55], 0, v11
	v_mov_b32_e32 v13, v9
	v_mov_b32_dpp v15, v8 row_shr:1 row_mask:0xf bank_mask:0xf
	s_and_saveexec_b64 s[56:57], s[54:55]
	s_xor_b64 s[56:57], exec, s[56:57]
	s_cbranch_execz .LBB52_772
; %bb.767:
	v_mov_b32_e32 v3, 16
	v_lshlrev_b32_e32 v6, 16, v15
	v_lshlrev_b32_sdwa v74, v3, v9 dst_sel:DWORD dst_unused:UNUSED_PAD src0_sel:DWORD src1_sel:WORD_0
	v_pk_add_f32 v[6:7], v[6:7], v[74:75] op_sel_hi:[0,1]
	s_mov_b32 s54, 0x7f800000
	v_and_b32_e32 v3, 0x7f800000, v6
	v_cmp_ne_u32_e64 s[54:55], s54, v3
                                        ; implicit-def: $vgpr3
	s_and_saveexec_b64 s[64:65], s[54:55]
	s_xor_b64 s[54:55], exec, s[64:65]
; %bb.768:
	v_bfe_u32 v3, v6, 16, 1
	s_movk_i32 s63, 0x7fff
	v_add3_u32 v3, v6, v3, s63
                                        ; implicit-def: $vgpr6_vgpr7
; %bb.769:
	s_andn2_saveexec_b64 s[64:65], s[54:55]
; %bb.770:
	v_mov_b32_e32 v3, 0
	v_or_b32_e32 v7, 0x10000, v6
	v_cmp_eq_u32_sdwa s[54:55], v6, v3 src0_sel:WORD_0 src1_sel:DWORD
	v_cndmask_b32_e64 v3, v7, v6, s[54:55]
; %bb.771:
	s_or_b64 exec, exec, s[64:65]
	v_lshrrev_b32_e32 v13, 16, v3
.LBB52_772:
	s_or_b64 exec, exec, s[56:57]
	v_and_b32_e32 v6, 0x10000, v11
	v_mov_b32_e32 v7, 1
	v_mbcnt_lo_u32_b32 v3, -1, 0
	v_and_b32_sdwa v7, v15, v7 dst_sel:DWORD dst_unused:UNUSED_PAD src0_sel:WORD_1 src1_sel:DWORD
	v_cmp_ne_u32_e64 s[54:55], 0, v6
	v_mbcnt_hi_u32_b32 v3, -1, v3
	v_cndmask_b32_e64 v15, v7, 1, s[54:55]
	v_and_b32_e32 v17, 15, v3
	v_lshlrev_b32_e32 v6, 16, v15
	v_or_b32_sdwa v6, v6, v13 dst_sel:DWORD dst_unused:UNUSED_PAD src0_sel:DWORD src1_sel:WORD_0
	v_cmp_eq_u32_e64 s[54:55], 0, v17
	v_cndmask_b32_e64 v8, v6, v8, s[54:55]
	s_mov_b32 s56, 0x10000
	v_cmp_gt_u32_e64 s[56:57], s56, v8
	v_mov_b32_dpp v19, v8 row_shr:2 row_mask:0xf bank_mask:0xf
	v_mov_b32_e32 v6, v8
	s_and_saveexec_b64 s[64:65], s[56:57]
	s_cbranch_execz .LBB52_778
; %bb.773:
	v_lshlrev_b32_e32 v6, 16, v8
	v_lshlrev_b32_e32 v74, 16, v19
	v_pk_add_f32 v[6:7], v[6:7], v[74:75] op_sel_hi:[0,1]
	s_mov_b32 s56, 0x7f800000
	v_and_b32_e32 v7, 0x7f800000, v6
	v_cmp_ne_u32_e64 s[56:57], s56, v7
                                        ; implicit-def: $vgpr21
	s_and_saveexec_b64 s[66:67], s[56:57]
	s_xor_b64 s[56:57], exec, s[66:67]
; %bb.774:
	v_bfe_u32 v7, v6, 16, 1
	s_movk_i32 s63, 0x7fff
	v_add3_u32 v21, v6, v7, s63
                                        ; implicit-def: $vgpr6_vgpr7
; %bb.775:
	s_andn2_saveexec_b64 s[66:67], s[56:57]
; %bb.776:
	v_mov_b32_e32 v7, 0
	v_or_b32_e32 v21, 0x10000, v6
	v_cmp_eq_u32_sdwa s[56:57], v6, v7 src0_sel:WORD_0 src1_sel:DWORD
	v_cndmask_b32_e64 v21, v21, v6, s[56:57]
; %bb.777:
	s_or_b64 exec, exec, s[66:67]
	v_lshrrev_b32_e32 v6, 16, v21
.LBB52_778:
	s_or_b64 exec, exec, s[64:65]
	v_lshrrev_b32_e32 v7, 16, v11
	v_cndmask_b32_e64 v11, v13, v9, s[54:55]
	v_cndmask_b32_e64 v9, v15, v7, s[54:55]
	v_lshrrev_b32_e32 v13, 16, v8
	v_cmp_lt_u32_e64 s[54:55], 1, v17
	v_mov_b32_e32 v15, v8
	s_and_saveexec_b64 s[56:57], s[54:55]
; %bb.779:
	v_and_b32_e32 v7, 0x10000, v8
	v_mov_b32_e32 v8, 1
	v_and_b32_sdwa v8, v19, v8 dst_sel:DWORD dst_unused:UNUSED_PAD src0_sel:WORD_1 src1_sel:DWORD
	v_cmp_ne_u32_e64 s[54:55], 0, v7
	v_cndmask_b32_e64 v9, v8, 1, s[54:55]
	v_lshlrev_b32_e32 v7, 16, v9
	v_or_b32_sdwa v15, v7, v6 dst_sel:DWORD dst_unused:UNUSED_PAD src0_sel:DWORD src1_sel:WORD_0
	v_mov_b32_e32 v11, v6
	v_mov_b32_e32 v13, v9
	;; [unrolled: 1-line block ×3, first 2 shown]
; %bb.780:
	s_or_b64 exec, exec, s[56:57]
	v_mov_b32_dpp v19, v15 row_shr:4 row_mask:0xf bank_mask:0xf
	v_cmp_eq_u16_e64 s[54:55], 0, v13
	v_mov_b32_e32 v6, v8
	s_and_saveexec_b64 s[56:57], s[54:55]
	s_cbranch_execz .LBB52_786
; %bb.781:
	v_lshlrev_b32_e32 v6, 16, v19
	v_lshlrev_b32_e32 v74, 16, v8
	v_pk_add_f32 v[6:7], v[6:7], v[74:75] op_sel_hi:[0,1]
	s_mov_b32 s54, 0x7f800000
	v_and_b32_e32 v7, 0x7f800000, v6
	v_cmp_ne_u32_e64 s[54:55], s54, v7
                                        ; implicit-def: $vgpr21
	s_and_saveexec_b64 s[64:65], s[54:55]
	s_xor_b64 s[54:55], exec, s[64:65]
; %bb.782:
	v_bfe_u32 v7, v6, 16, 1
	s_movk_i32 s63, 0x7fff
	v_add3_u32 v21, v6, v7, s63
                                        ; implicit-def: $vgpr6_vgpr7
; %bb.783:
	s_andn2_saveexec_b64 s[64:65], s[54:55]
; %bb.784:
	v_mov_b32_e32 v7, 0
	v_or_b32_e32 v21, 0x10000, v6
	v_cmp_eq_u32_sdwa s[54:55], v6, v7 src0_sel:WORD_0 src1_sel:DWORD
	v_cndmask_b32_e64 v21, v21, v6, s[54:55]
; %bb.785:
	s_or_b64 exec, exec, s[64:65]
	v_lshrrev_b32_e32 v6, 16, v21
.LBB52_786:
	s_or_b64 exec, exec, s[56:57]
	v_cmp_lt_u32_e64 s[54:55], 3, v17
	s_and_saveexec_b64 s[56:57], s[54:55]
; %bb.787:
	v_and_b32_e32 v7, 1, v13
	v_mov_b32_e32 v8, 1
	v_and_b32_sdwa v8, v19, v8 dst_sel:DWORD dst_unused:UNUSED_PAD src0_sel:WORD_1 src1_sel:DWORD
	v_cmp_eq_u32_e64 s[54:55], 1, v7
	v_cndmask_b32_e64 v9, v8, 1, s[54:55]
	v_lshlrev_b32_e32 v7, 16, v9
	v_or_b32_sdwa v15, v7, v6 dst_sel:DWORD dst_unused:UNUSED_PAD src0_sel:DWORD src1_sel:WORD_0
	v_mov_b32_e32 v11, v6
	v_mov_b32_e32 v13, v9
	v_mov_b32_e32 v8, v6
; %bb.788:
	s_or_b64 exec, exec, s[56:57]
	v_mov_b32_dpp v19, v15 row_shr:8 row_mask:0xf bank_mask:0xf
	v_cmp_eq_u16_e64 s[54:55], 0, v13
	v_mov_b32_e32 v6, v8
	s_and_saveexec_b64 s[56:57], s[54:55]
	s_cbranch_execz .LBB52_794
; %bb.789:
	v_lshlrev_b32_e32 v6, 16, v19
	v_lshlrev_b32_e32 v74, 16, v8
	v_pk_add_f32 v[6:7], v[6:7], v[74:75] op_sel_hi:[0,1]
	s_mov_b32 s54, 0x7f800000
	v_and_b32_e32 v7, 0x7f800000, v6
	v_cmp_ne_u32_e64 s[54:55], s54, v7
                                        ; implicit-def: $vgpr21
	s_and_saveexec_b64 s[64:65], s[54:55]
	s_xor_b64 s[54:55], exec, s[64:65]
; %bb.790:
	v_bfe_u32 v7, v6, 16, 1
	s_movk_i32 s63, 0x7fff
	v_add3_u32 v21, v6, v7, s63
                                        ; implicit-def: $vgpr6_vgpr7
; %bb.791:
	s_andn2_saveexec_b64 s[64:65], s[54:55]
; %bb.792:
	v_mov_b32_e32 v7, 0
	v_or_b32_e32 v21, 0x10000, v6
	v_cmp_eq_u32_sdwa s[54:55], v6, v7 src0_sel:WORD_0 src1_sel:DWORD
	v_cndmask_b32_e64 v21, v21, v6, s[54:55]
; %bb.793:
	s_or_b64 exec, exec, s[64:65]
	v_lshrrev_b32_e32 v6, 16, v21
.LBB52_794:
	s_or_b64 exec, exec, s[56:57]
	v_cmp_lt_u32_e64 s[54:55], 7, v17
	s_and_saveexec_b64 s[56:57], s[54:55]
; %bb.795:
	v_and_b32_e32 v7, 1, v13
	v_mov_b32_e32 v8, 1
	v_and_b32_sdwa v8, v19, v8 dst_sel:DWORD dst_unused:UNUSED_PAD src0_sel:WORD_1 src1_sel:DWORD
	v_cmp_eq_u32_e64 s[54:55], 1, v7
	v_cndmask_b32_e64 v9, v8, 1, s[54:55]
	v_lshlrev_b32_e32 v7, 16, v9
	v_or_b32_sdwa v15, v7, v6 dst_sel:DWORD dst_unused:UNUSED_PAD src0_sel:DWORD src1_sel:WORD_0
	v_mov_b32_e32 v11, v6
	v_mov_b32_e32 v13, v9
	;; [unrolled: 1-line block ×3, first 2 shown]
; %bb.796:
	s_or_b64 exec, exec, s[56:57]
	v_mov_b32_dpp v17, v15 row_bcast:15 row_mask:0xf bank_mask:0xf
	v_cmp_eq_u16_e64 s[54:55], 0, v13
	v_mov_b32_e32 v6, v8
	s_and_saveexec_b64 s[56:57], s[54:55]
	s_cbranch_execz .LBB52_802
; %bb.797:
	v_lshlrev_b32_e32 v6, 16, v17
	v_lshlrev_b32_e32 v74, 16, v8
	v_pk_add_f32 v[6:7], v[6:7], v[74:75] op_sel_hi:[0,1]
	s_mov_b32 s54, 0x7f800000
	v_and_b32_e32 v7, 0x7f800000, v6
	v_cmp_ne_u32_e64 s[54:55], s54, v7
                                        ; implicit-def: $vgpr19
	s_and_saveexec_b64 s[64:65], s[54:55]
	s_xor_b64 s[54:55], exec, s[64:65]
; %bb.798:
	v_bfe_u32 v7, v6, 16, 1
	s_movk_i32 s63, 0x7fff
	v_add3_u32 v19, v6, v7, s63
                                        ; implicit-def: $vgpr6_vgpr7
; %bb.799:
	s_andn2_saveexec_b64 s[64:65], s[54:55]
; %bb.800:
	v_mov_b32_e32 v7, 0
	v_or_b32_e32 v19, 0x10000, v6
	v_cmp_eq_u32_sdwa s[54:55], v6, v7 src0_sel:WORD_0 src1_sel:DWORD
	v_cndmask_b32_e64 v19, v19, v6, s[54:55]
; %bb.801:
	s_or_b64 exec, exec, s[64:65]
	v_lshrrev_b32_e32 v6, 16, v19
.LBB52_802:
	s_or_b64 exec, exec, s[56:57]
	v_and_b32_e32 v7, 16, v3
	v_cmp_ne_u32_e64 s[54:55], 0, v7
	s_and_saveexec_b64 s[56:57], s[54:55]
; %bb.803:
	v_and_b32_e32 v7, 1, v13
	v_mov_b32_e32 v8, 1
	v_and_b32_sdwa v8, v17, v8 dst_sel:DWORD dst_unused:UNUSED_PAD src0_sel:WORD_1 src1_sel:DWORD
	v_cmp_eq_u32_e64 s[54:55], 1, v7
	v_cndmask_b32_e64 v9, v8, 1, s[54:55]
	v_lshlrev_b32_e32 v7, 16, v9
	v_or_b32_sdwa v15, v7, v6 dst_sel:DWORD dst_unused:UNUSED_PAD src0_sel:DWORD src1_sel:WORD_0
	v_mov_b32_e32 v11, v6
	v_mov_b32_e32 v13, v9
	;; [unrolled: 1-line block ×3, first 2 shown]
; %bb.804:
	s_or_b64 exec, exec, s[56:57]
	v_mov_b32_dpp v15, v15 row_bcast:31 row_mask:0xf bank_mask:0xf
	v_cmp_eq_u16_e64 s[54:55], 0, v13
	v_mov_b32_e32 v6, v8
	s_and_saveexec_b64 s[56:57], s[54:55]
	s_cbranch_execz .LBB52_981
; %bb.805:
	v_lshlrev_b32_e32 v6, 16, v15
	v_lshlrev_b32_e32 v74, 16, v8
	v_pk_add_f32 v[6:7], v[6:7], v[74:75] op_sel_hi:[0,1]
	s_mov_b32 s54, 0x7f800000
	v_and_b32_e32 v7, 0x7f800000, v6
	v_cmp_ne_u32_e64 s[54:55], s54, v7
                                        ; implicit-def: $vgpr17
	s_and_saveexec_b64 s[64:65], s[54:55]
	s_xor_b64 s[54:55], exec, s[64:65]
; %bb.806:
	v_bfe_u32 v7, v6, 16, 1
	s_movk_i32 s63, 0x7fff
	v_add3_u32 v17, v6, v7, s63
                                        ; implicit-def: $vgpr6_vgpr7
; %bb.807:
	s_andn2_saveexec_b64 s[64:65], s[54:55]
; %bb.808:
	v_mov_b32_e32 v7, 0
	v_or_b32_e32 v17, 0x10000, v6
	v_cmp_eq_u32_sdwa s[54:55], v6, v7 src0_sel:WORD_0 src1_sel:DWORD
	v_cndmask_b32_e64 v17, v17, v6, s[54:55]
; %bb.809:
	s_or_b64 exec, exec, s[64:65]
	v_lshrrev_b32_e32 v6, 16, v17
	s_or_b64 exec, exec, s[56:57]
	v_cmp_lt_u32_e64 s[54:55], 31, v3
	s_and_saveexec_b64 s[56:57], s[54:55]
	s_cbranch_execnz .LBB52_982
.LBB52_810:
	s_or_b64 exec, exec, s[56:57]
	v_cmp_eq_u32_e64 s[54:55], 63, v0
	s_and_saveexec_b64 s[56:57], s[54:55]
	s_cbranch_execz .LBB52_812
.LBB52_811:
	v_mov_b32_e32 v6, 0
	ds_write_b16 v6, v8
	ds_write_b8 v6, v13 offset:2
.LBB52_812:
	s_or_b64 exec, exec, s[56:57]
	v_add_u32_e32 v7, -1, v3
	v_and_b32_e32 v8, 64, v3
	v_cmp_lt_i32_e64 s[54:55], v7, v8
	v_lshlrev_b32_e32 v6, 16, v9
	v_cndmask_b32_e64 v3, v7, v3, s[54:55]
	v_or_b32_sdwa v6, v6, v11 dst_sel:DWORD dst_unused:UNUSED_PAD src0_sel:DWORD src1_sel:WORD_0
	v_lshlrev_b32_e32 v3, 2, v3
	ds_bpermute_b32 v3, v3, v6
	v_mov_b32_e32 v6, v51
	s_waitcnt lgkmcnt(0)
	; wave barrier
	s_waitcnt lgkmcnt(0)
	s_and_saveexec_b64 s[54:55], s[2:3]
	s_cbranch_execz .LBB52_983
; %bb.813:
	v_and_b32_e32 v6, 0xff0000, v51
	v_cmp_eq_u32_e64 s[2:3], 0, v6
	s_and_saveexec_b64 s[56:57], s[2:3]
	s_cbranch_execz .LBB52_819
; %bb.814:
	v_lshlrev_b32_e32 v6, 16, v3
	v_lshlrev_b32_e32 v8, 16, v51
	v_pk_add_f32 v[6:7], v[6:7], v[8:9] op_sel_hi:[0,1]
	s_mov_b32 s2, 0x7f800000
	v_and_b32_e32 v3, 0x7f800000, v6
	v_cmp_ne_u32_e64 s[2:3], s2, v3
                                        ; implicit-def: $vgpr3
	s_and_saveexec_b64 s[64:65], s[2:3]
	s_xor_b64 s[2:3], exec, s[64:65]
; %bb.815:
	v_bfe_u32 v3, v6, 16, 1
	s_movk_i32 s63, 0x7fff
	v_add3_u32 v3, v6, v3, s63
                                        ; implicit-def: $vgpr6_vgpr7
; %bb.816:
	s_andn2_saveexec_b64 s[64:65], s[2:3]
; %bb.817:
	v_mov_b32_e32 v3, 0
	v_or_b32_e32 v7, 0x10000, v6
	v_cmp_eq_u32_sdwa s[2:3], v6, v3 src0_sel:WORD_0 src1_sel:DWORD
	v_cndmask_b32_e64 v3, v7, v6, s[2:3]
; %bb.818:
	s_or_b64 exec, exec, s[64:65]
	v_lshrrev_b32_e32 v51, 16, v3
.LBB52_819:
	s_or_b64 exec, exec, s[56:57]
	v_and_b32_e32 v6, 0xffff, v51
	s_or_b64 exec, exec, s[54:55]
	s_and_saveexec_b64 s[54:55], s[6:7]
	s_cbranch_execnz .LBB52_984
.LBB52_820:
	s_or_b64 exec, exec, s[54:55]
	v_and_b32_e32 v7, 0xffff, v50
	s_and_saveexec_b64 s[6:7], s[8:9]
	s_cbranch_execz .LBB52_989
.LBB52_821:
	v_lshlrev_b32_e32 v2, 16, v7
	v_pk_add_f32 v[2:3], v[2:3], v[4:5] op_sel_hi:[0,1]
	s_mov_b32 s2, 0x7f800000
	v_and_b32_e32 v3, 0x7f800000, v2
	v_cmp_ne_u32_e64 s[2:3], s2, v3
                                        ; implicit-def: $vgpr4
	s_and_saveexec_b64 s[8:9], s[2:3]
	s_xor_b64 s[2:3], exec, s[8:9]
; %bb.822:
	v_bfe_u32 v3, v2, 16, 1
	s_movk_i32 s8, 0x7fff
	v_add3_u32 v4, v2, v3, s8
                                        ; implicit-def: $vgpr2_vgpr3
; %bb.823:
	s_andn2_saveexec_b64 s[8:9], s[2:3]
; %bb.824:
	v_mov_b32_e32 v3, 0
	v_or_b32_e32 v4, 0x10000, v2
	v_cmp_eq_u32_sdwa s[2:3], v2, v3 src0_sel:WORD_0 src1_sel:DWORD
	v_cndmask_b32_e64 v4, v4, v2, s[2:3]
; %bb.825:
	s_or_b64 exec, exec, s[8:9]
	v_lshrrev_b32_e32 v48, 16, v4
	s_or_b64 exec, exec, s[6:7]
	v_and_b32_e32 v8, 0xffff, v48
	s_and_saveexec_b64 s[6:7], s[10:11]
	s_cbranch_execnz .LBB52_990
.LBB52_826:
	s_or_b64 exec, exec, s[6:7]
	v_and_b32_e32 v9, 0xffff, v49
	s_and_saveexec_b64 s[6:7], s[12:13]
	s_cbranch_execz .LBB52_995
.LBB52_827:
	v_lshlrev_b32_e32 v2, 16, v9
	v_pk_add_f32 v[2:3], v[2:3], v[12:13] op_sel_hi:[0,1]
	s_mov_b32 s2, 0x7f800000
	v_and_b32_e32 v3, 0x7f800000, v2
	v_cmp_ne_u32_e64 s[2:3], s2, v3
                                        ; implicit-def: $vgpr4
	s_and_saveexec_b64 s[8:9], s[2:3]
	s_xor_b64 s[2:3], exec, s[8:9]
; %bb.828:
	v_bfe_u32 v3, v2, 16, 1
	s_movk_i32 s8, 0x7fff
	v_add3_u32 v4, v2, v3, s8
                                        ; implicit-def: $vgpr2_vgpr3
; %bb.829:
	s_andn2_saveexec_b64 s[8:9], s[2:3]
; %bb.830:
	v_mov_b32_e32 v3, 0
	v_or_b32_e32 v4, 0x10000, v2
	v_cmp_eq_u32_sdwa s[2:3], v2, v3 src0_sel:WORD_0 src1_sel:DWORD
	v_cndmask_b32_e64 v4, v4, v2, s[2:3]
; %bb.831:
	s_or_b64 exec, exec, s[8:9]
	v_lshrrev_b32_e32 v46, 16, v4
	s_or_b64 exec, exec, s[6:7]
	v_and_b32_e32 v10, 0xffff, v46
	s_and_saveexec_b64 s[6:7], s[14:15]
	s_cbranch_execnz .LBB52_996
.LBB52_832:
	s_or_b64 exec, exec, s[6:7]
	v_and_b32_e32 v11, 0xffff, v47
	s_and_saveexec_b64 s[6:7], s[16:17]
	s_cbranch_execz .LBB52_1001
.LBB52_833:
	v_lshlrev_b32_e32 v2, 16, v11
	v_pk_add_f32 v[2:3], v[2:3], v[16:17] op_sel_hi:[0,1]
	s_mov_b32 s2, 0x7f800000
	v_and_b32_e32 v3, 0x7f800000, v2
	v_cmp_ne_u32_e64 s[2:3], s2, v3
                                        ; implicit-def: $vgpr4
	s_and_saveexec_b64 s[8:9], s[2:3]
	s_xor_b64 s[2:3], exec, s[8:9]
; %bb.834:
	v_bfe_u32 v3, v2, 16, 1
	s_movk_i32 s8, 0x7fff
	v_add3_u32 v4, v2, v3, s8
                                        ; implicit-def: $vgpr2_vgpr3
; %bb.835:
	s_andn2_saveexec_b64 s[8:9], s[2:3]
; %bb.836:
	v_mov_b32_e32 v3, 0
	v_or_b32_e32 v4, 0x10000, v2
	v_cmp_eq_u32_sdwa s[2:3], v2, v3 src0_sel:WORD_0 src1_sel:DWORD
	v_cndmask_b32_e64 v4, v4, v2, s[2:3]
; %bb.837:
	s_or_b64 exec, exec, s[8:9]
	v_lshrrev_b32_e32 v44, 16, v4
	s_or_b64 exec, exec, s[6:7]
	v_and_b32_e32 v12, 0xffff, v44
	s_and_saveexec_b64 s[6:7], s[18:19]
	s_cbranch_execnz .LBB52_1002
.LBB52_838:
	s_or_b64 exec, exec, s[6:7]
	v_and_b32_e32 v13, 0xffff, v45
	s_and_saveexec_b64 s[6:7], s[20:21]
	s_cbranch_execz .LBB52_1007
.LBB52_839:
	v_lshlrev_b32_e32 v2, 16, v13
	v_pk_add_f32 v[2:3], v[2:3], v[20:21] op_sel_hi:[0,1]
	s_mov_b32 s2, 0x7f800000
	v_and_b32_e32 v3, 0x7f800000, v2
	v_cmp_ne_u32_e64 s[2:3], s2, v3
                                        ; implicit-def: $vgpr4
	s_and_saveexec_b64 s[8:9], s[2:3]
	s_xor_b64 s[2:3], exec, s[8:9]
; %bb.840:
	v_bfe_u32 v3, v2, 16, 1
	s_movk_i32 s8, 0x7fff
	v_add3_u32 v4, v2, v3, s8
                                        ; implicit-def: $vgpr2_vgpr3
; %bb.841:
	s_andn2_saveexec_b64 s[8:9], s[2:3]
; %bb.842:
	v_mov_b32_e32 v3, 0
	v_or_b32_e32 v4, 0x10000, v2
	v_cmp_eq_u32_sdwa s[2:3], v2, v3 src0_sel:WORD_0 src1_sel:DWORD
	v_cndmask_b32_e64 v4, v4, v2, s[2:3]
; %bb.843:
	s_or_b64 exec, exec, s[8:9]
	v_lshrrev_b32_e32 v42, 16, v4
	s_or_b64 exec, exec, s[6:7]
	v_and_b32_e32 v14, 0xffff, v42
	s_and_saveexec_b64 s[6:7], s[22:23]
	s_cbranch_execnz .LBB52_1008
.LBB52_844:
	s_or_b64 exec, exec, s[6:7]
	v_and_b32_e32 v15, 0xffff, v43
	s_and_saveexec_b64 s[6:7], s[24:25]
	s_cbranch_execz .LBB52_1013
.LBB52_845:
	v_lshlrev_b32_e32 v2, 16, v15
	v_pk_add_f32 v[2:3], v[2:3], v[24:25] op_sel_hi:[0,1]
	s_mov_b32 s2, 0x7f800000
	v_and_b32_e32 v3, 0x7f800000, v2
	v_cmp_ne_u32_e64 s[2:3], s2, v3
                                        ; implicit-def: $vgpr4
	s_and_saveexec_b64 s[8:9], s[2:3]
	s_xor_b64 s[2:3], exec, s[8:9]
; %bb.846:
	v_bfe_u32 v3, v2, 16, 1
	s_movk_i32 s8, 0x7fff
	v_add3_u32 v4, v2, v3, s8
                                        ; implicit-def: $vgpr2_vgpr3
; %bb.847:
	s_andn2_saveexec_b64 s[8:9], s[2:3]
; %bb.848:
	v_mov_b32_e32 v3, 0
	v_or_b32_e32 v4, 0x10000, v2
	v_cmp_eq_u32_sdwa s[2:3], v2, v3 src0_sel:WORD_0 src1_sel:DWORD
	v_cndmask_b32_e64 v4, v4, v2, s[2:3]
; %bb.849:
	s_or_b64 exec, exec, s[8:9]
	v_lshrrev_b32_e32 v40, 16, v4
	s_or_b64 exec, exec, s[6:7]
	v_and_b32_e32 v16, 0xffff, v40
	s_and_saveexec_b64 s[6:7], s[26:27]
	s_cbranch_execnz .LBB52_1014
.LBB52_850:
	s_or_b64 exec, exec, s[6:7]
	v_and_b32_e32 v17, 0xffff, v41
	s_and_saveexec_b64 s[6:7], s[28:29]
	s_cbranch_execz .LBB52_1019
.LBB52_851:
	v_lshlrev_b32_e32 v2, 16, v17
	v_pk_add_f32 v[2:3], v[2:3], v[28:29] op_sel_hi:[0,1]
	s_mov_b32 s2, 0x7f800000
	v_and_b32_e32 v3, 0x7f800000, v2
	v_cmp_ne_u32_e64 s[2:3], s2, v3
                                        ; implicit-def: $vgpr4
	s_and_saveexec_b64 s[8:9], s[2:3]
	s_xor_b64 s[2:3], exec, s[8:9]
; %bb.852:
	v_bfe_u32 v3, v2, 16, 1
	s_movk_i32 s8, 0x7fff
	v_add3_u32 v4, v2, v3, s8
                                        ; implicit-def: $vgpr2_vgpr3
; %bb.853:
	s_andn2_saveexec_b64 s[8:9], s[2:3]
; %bb.854:
	v_mov_b32_e32 v3, 0
	v_or_b32_e32 v4, 0x10000, v2
	v_cmp_eq_u32_sdwa s[2:3], v2, v3 src0_sel:WORD_0 src1_sel:DWORD
	v_cndmask_b32_e64 v4, v4, v2, s[2:3]
; %bb.855:
	s_or_b64 exec, exec, s[8:9]
	v_lshrrev_b32_e32 v38, 16, v4
	s_or_b64 exec, exec, s[6:7]
	v_and_b32_e32 v18, 0xffff, v38
	s_and_saveexec_b64 s[6:7], s[30:31]
	s_cbranch_execnz .LBB52_1020
.LBB52_856:
	s_or_b64 exec, exec, s[6:7]
	v_and_b32_e32 v19, 0xffff, v39
	s_and_saveexec_b64 s[6:7], s[34:35]
	s_cbranch_execz .LBB52_1025
.LBB52_857:
	v_lshlrev_b32_e32 v2, 16, v19
	v_pk_add_f32 v[2:3], v[2:3], v[54:55] op_sel_hi:[0,1]
	s_mov_b32 s2, 0x7f800000
	v_and_b32_e32 v3, 0x7f800000, v2
	v_cmp_ne_u32_e64 s[2:3], s2, v3
                                        ; implicit-def: $vgpr4
	s_and_saveexec_b64 s[8:9], s[2:3]
	s_xor_b64 s[2:3], exec, s[8:9]
; %bb.858:
	v_bfe_u32 v3, v2, 16, 1
	s_movk_i32 s8, 0x7fff
	v_add3_u32 v4, v2, v3, s8
                                        ; implicit-def: $vgpr2_vgpr3
; %bb.859:
	s_andn2_saveexec_b64 s[8:9], s[2:3]
; %bb.860:
	v_mov_b32_e32 v3, 0
	v_or_b32_e32 v4, 0x10000, v2
	v_cmp_eq_u32_sdwa s[2:3], v2, v3 src0_sel:WORD_0 src1_sel:DWORD
	v_cndmask_b32_e64 v4, v4, v2, s[2:3]
; %bb.861:
	s_or_b64 exec, exec, s[8:9]
	v_lshrrev_b32_e32 v36, 16, v4
	s_or_b64 exec, exec, s[6:7]
	v_and_b32_e32 v20, 0xffff, v36
	s_and_saveexec_b64 s[6:7], s[36:37]
	s_cbranch_execnz .LBB52_1026
.LBB52_862:
	s_or_b64 exec, exec, s[6:7]
	v_and_b32_e32 v21, 0xffff, v37
	s_and_saveexec_b64 s[6:7], s[38:39]
	s_cbranch_execz .LBB52_1031
.LBB52_863:
	v_lshlrev_b32_e32 v2, 16, v21
	v_pk_add_f32 v[2:3], v[2:3], v[58:59] op_sel_hi:[0,1]
	s_mov_b32 s2, 0x7f800000
	v_and_b32_e32 v3, 0x7f800000, v2
	v_cmp_ne_u32_e64 s[2:3], s2, v3
                                        ; implicit-def: $vgpr4
	s_and_saveexec_b64 s[8:9], s[2:3]
	s_xor_b64 s[2:3], exec, s[8:9]
; %bb.864:
	v_bfe_u32 v3, v2, 16, 1
	s_movk_i32 s8, 0x7fff
	v_add3_u32 v4, v2, v3, s8
                                        ; implicit-def: $vgpr2_vgpr3
; %bb.865:
	s_andn2_saveexec_b64 s[8:9], s[2:3]
; %bb.866:
	v_mov_b32_e32 v3, 0
	v_or_b32_e32 v4, 0x10000, v2
	v_cmp_eq_u32_sdwa s[2:3], v2, v3 src0_sel:WORD_0 src1_sel:DWORD
	v_cndmask_b32_e64 v4, v4, v2, s[2:3]
; %bb.867:
	s_or_b64 exec, exec, s[8:9]
	v_lshrrev_b32_e32 v34, 16, v4
	s_or_b64 exec, exec, s[6:7]
	v_and_b32_e32 v22, 0xffff, v34
	s_and_saveexec_b64 s[6:7], s[40:41]
	s_cbranch_execnz .LBB52_1032
.LBB52_868:
	s_or_b64 exec, exec, s[6:7]
	v_and_b32_e32 v23, 0xffff, v35
	s_and_saveexec_b64 s[6:7], s[42:43]
	s_cbranch_execz .LBB52_1037
.LBB52_869:
	v_lshlrev_b32_e32 v2, 16, v23
	v_pk_add_f32 v[2:3], v[2:3], v[62:63] op_sel_hi:[0,1]
	s_mov_b32 s2, 0x7f800000
	v_and_b32_e32 v3, 0x7f800000, v2
	v_cmp_ne_u32_e64 s[2:3], s2, v3
                                        ; implicit-def: $vgpr4
	s_and_saveexec_b64 s[8:9], s[2:3]
	s_xor_b64 s[2:3], exec, s[8:9]
; %bb.870:
	v_bfe_u32 v3, v2, 16, 1
	s_movk_i32 s8, 0x7fff
	v_add3_u32 v4, v2, v3, s8
                                        ; implicit-def: $vgpr2_vgpr3
; %bb.871:
	s_andn2_saveexec_b64 s[8:9], s[2:3]
; %bb.872:
	v_mov_b32_e32 v3, 0
	v_or_b32_e32 v4, 0x10000, v2
	v_cmp_eq_u32_sdwa s[2:3], v2, v3 src0_sel:WORD_0 src1_sel:DWORD
	v_cndmask_b32_e64 v4, v4, v2, s[2:3]
; %bb.873:
	s_or_b64 exec, exec, s[8:9]
	v_lshrrev_b32_e32 v32, 16, v4
	s_or_b64 exec, exec, s[6:7]
	v_and_b32_e32 v24, 0xffff, v32
	s_and_saveexec_b64 s[6:7], s[44:45]
	s_cbranch_execnz .LBB52_1038
.LBB52_874:
	s_or_b64 exec, exec, s[6:7]
	v_and_b32_e32 v25, 0xffff, v33
	s_and_saveexec_b64 s[6:7], s[46:47]
	s_cbranch_execz .LBB52_1043
.LBB52_875:
	v_lshlrev_b32_e32 v2, 16, v25
	v_pk_add_f32 v[2:3], v[2:3], v[66:67] op_sel_hi:[0,1]
	s_mov_b32 s2, 0x7f800000
	v_and_b32_e32 v3, 0x7f800000, v2
	v_cmp_ne_u32_e64 s[2:3], s2, v3
                                        ; implicit-def: $vgpr4
	s_and_saveexec_b64 s[8:9], s[2:3]
	s_xor_b64 s[2:3], exec, s[8:9]
; %bb.876:
	v_bfe_u32 v3, v2, 16, 1
	s_movk_i32 s8, 0x7fff
	v_add3_u32 v4, v2, v3, s8
                                        ; implicit-def: $vgpr2_vgpr3
; %bb.877:
	s_andn2_saveexec_b64 s[8:9], s[2:3]
; %bb.878:
	v_mov_b32_e32 v3, 0
	v_or_b32_e32 v4, 0x10000, v2
	v_cmp_eq_u32_sdwa s[2:3], v2, v3 src0_sel:WORD_0 src1_sel:DWORD
	v_cndmask_b32_e64 v4, v4, v2, s[2:3]
; %bb.879:
	s_or_b64 exec, exec, s[8:9]
	v_lshrrev_b32_e32 v30, 16, v4
	s_or_b64 exec, exec, s[6:7]
	v_and_b32_e32 v2, 0xffff, v30
	s_and_saveexec_b64 s[6:7], s[48:49]
	s_cbranch_execnz .LBB52_1044
.LBB52_880:
	s_or_b64 exec, exec, s[6:7]
	v_and_b32_e32 v3, 0xffff, v31
	s_and_saveexec_b64 s[6:7], s[50:51]
	s_cbranch_execz .LBB52_1049
.LBB52_881:
	v_lshlrev_b32_e32 v4, 16, v3
	v_pk_add_f32 v[26:27], v[4:5], v[70:71] op_sel_hi:[0,1]
	s_mov_b32 s2, 0x7f800000
	v_and_b32_e32 v1, 0x7f800000, v26
	v_cmp_ne_u32_e64 s[2:3], s2, v1
                                        ; implicit-def: $vgpr1
	s_and_saveexec_b64 s[8:9], s[2:3]
	s_xor_b64 s[2:3], exec, s[8:9]
; %bb.882:
	v_bfe_u32 v1, v26, 16, 1
	s_movk_i32 s8, 0x7fff
	v_add3_u32 v1, v26, v1, s8
                                        ; implicit-def: $vgpr26_vgpr27
; %bb.883:
	s_andn2_saveexec_b64 s[8:9], s[2:3]
; %bb.884:
	v_mov_b32_e32 v1, 0
	v_or_b32_e32 v4, 0x10000, v26
	v_cmp_eq_u32_sdwa s[2:3], v26, v1 src0_sel:WORD_0 src1_sel:DWORD
	v_cndmask_b32_e64 v1, v4, v26, s[2:3]
; %bb.885:
	s_or_b64 exec, exec, s[8:9]
	v_lshrrev_b32_e32 v1, 16, v1
	s_or_b64 exec, exec, s[6:7]
	v_and_b32_e32 v4, 0xffff, v1
	s_and_saveexec_b64 s[6:7], s[52:53]
	s_cbranch_execnz .LBB52_1050
.LBB52_886:
	s_or_b64 exec, exec, s[6:7]
	s_and_saveexec_b64 s[2:3], vcc
	s_cbranch_execz .LBB52_888
.LBB52_887:
	v_mov_b32_e32 v1, 0
	ds_read_u8 v26, v1 offset:2
	ds_read_u16 v27, v1
	s_waitcnt lgkmcnt(1)
	v_lshlrev_b32_e32 v26, 16, v26
	s_waitcnt lgkmcnt(0)
	v_or_b32_e32 v26, v26, v27
	v_mov_b32_e32 v27, 2
	global_store_dwordx2 v1, v[26:27], s[60:61] offset:512
.LBB52_888:
	s_or_b64 exec, exec, s[2:3]
	v_pk_mov_b32 v[28:29], v[4:5], v[4:5] op_sel:[0,1]
	v_pk_mov_b32 v[26:27], v[2:3], v[2:3] op_sel:[0,1]
.LBB52_889:
	s_load_dwordx2 s[2:3], s[4:5], 0x18
	v_mul_u32_u24_e32 v4, 24, v0
	s_waitcnt lgkmcnt(0)
	s_add_u32 s2, s2, s58
	s_addc_u32 s3, s3, s59
	s_and_b64 vcc, exec, s[0:1]
	s_cbranch_vccz .LBB52_1055
; %bb.890:
	s_add_i32 s33, s33, s62
	v_cmp_le_u32_e32 vcc, s33, v4
	v_or_b32_e32 v1, 1, v4
	s_and_saveexec_b64 s[0:1], vcc
	s_xor_b64 s[0:1], exec, s[0:1]
; %bb.891:
	v_or_b32_e32 v1, 1, v4
; %bb.892:
	s_or_saveexec_b64 s[0:1], s[0:1]
                                        ; implicit-def: $vgpr2
                                        ; implicit-def: $vgpr3
                                        ; implicit-def: $vgpr30
                                        ; implicit-def: $vgpr5
	s_xor_b64 exec, exec, s[0:1]
	s_cbranch_execz .LBB52_934
; %bb.893:
	v_cmp_gt_u32_e32 vcc, s33, v1
                                        ; implicit-def: $vgpr5
                                        ; implicit-def: $vgpr30
                                        ; implicit-def: $vgpr3
                                        ; implicit-def: $vgpr2
	s_and_saveexec_b64 s[4:5], vcc
	s_cbranch_execz .LBB52_933
; %bb.894:
	v_or_b32_e32 v2, 2, v4
	v_cmp_gt_u32_e32 vcc, s33, v2
                                        ; implicit-def: $vgpr5
                                        ; implicit-def: $vgpr30
                                        ; implicit-def: $vgpr3
                                        ; implicit-def: $vgpr2
	s_and_saveexec_b64 s[6:7], vcc
	s_cbranch_execz .LBB52_932
; %bb.895:
	v_or_b32_e32 v2, 3, v4
	v_cmp_gt_u32_e32 vcc, s33, v2
	v_mov_b32_e32 v2, v8
                                        ; implicit-def: $vgpr5
                                        ; implicit-def: $vgpr30
                                        ; implicit-def: $vgpr3
	s_and_saveexec_b64 s[8:9], vcc
	s_cbranch_execz .LBB52_931
; %bb.896:
	v_or_b32_e32 v2, 4, v4
	s_mov_b32 s10, 0x5040100
	v_cmp_gt_u32_e32 vcc, s33, v2
	v_perm_b32 v2, v9, v8, s10
                                        ; implicit-def: $vgpr5
                                        ; implicit-def: $vgpr30
                                        ; implicit-def: $vgpr3
	s_and_saveexec_b64 s[10:11], vcc
	s_cbranch_execz .LBB52_930
; %bb.897:
	v_or_b32_e32 v3, 5, v4
	s_mov_b32 s12, 0xffff
	v_cmp_gt_u32_e32 vcc, s33, v3
	v_bfi_b32 v3, s12, v10, v0
                                        ; implicit-def: $vgpr5
                                        ; implicit-def: $vgpr30
	s_and_saveexec_b64 s[12:13], vcc
	s_cbranch_execz .LBB52_929
; %bb.898:
	v_or_b32_e32 v5, 6, v4
	v_cmp_gt_u32_e32 vcc, s33, v5
	s_mov_b32 s48, 0x5040100
                                        ; implicit-def: $vgpr5
                                        ; implicit-def: $vgpr30
	s_and_saveexec_b64 s[14:15], vcc
	s_cbranch_execz .LBB52_928
; %bb.899:
	v_or_b32_e32 v30, 7, v4
	v_cmp_gt_u32_e32 vcc, s33, v30
	v_mov_b32_e32 v30, v12
                                        ; implicit-def: $vgpr5
	s_and_saveexec_b64 s[16:17], vcc
	s_cbranch_execz .LBB52_927
; %bb.900:
	v_add_u32_e32 v5, 8, v4
	s_mov_b32 s18, 0x5040100
	v_cmp_gt_u32_e32 vcc, s33, v5
	v_perm_b32 v30, v13, v12, s18
                                        ; implicit-def: $vgpr5
	s_and_saveexec_b64 s[18:19], vcc
	s_cbranch_execz .LBB52_926
; %bb.901:
	v_add_u32_e32 v5, 9, v4
	s_mov_b32 s20, 0xffff
	v_cmp_gt_u32_e32 vcc, s33, v5
	v_bfi_b32 v5, s20, v14, v0
	s_and_saveexec_b64 s[20:21], vcc
	s_cbranch_execz .LBB52_925
; %bb.902:
	v_add_u32_e32 v31, 10, v4
	v_cmp_gt_u32_e32 vcc, s33, v31
	s_mov_b32 s49, 0x5040100
	s_and_saveexec_b64 s[22:23], vcc
	s_cbranch_execz .LBB52_924
; %bb.903:
	v_add_u32_e32 v31, 11, v4
	v_cmp_gt_u32_e32 vcc, s33, v31
	s_and_saveexec_b64 s[24:25], vcc
	s_cbranch_execz .LBB52_923
; %bb.904:
	v_add_u32_e32 v31, 12, v4
	v_cmp_gt_u32_e32 vcc, s33, v31
	;; [unrolled: 5-line block ×10, first 2 shown]
	s_and_saveexec_b64 s[44:45], vcc
; %bb.913:
	v_add_u32_e32 v31, 21, v4
	v_cmp_gt_u32_e32 vcc, s33, v31
	s_and_saveexec_b64 s[46:47], vcc
	s_or_b64 exec, exec, s[46:47]
; %bb.914:
	s_or_b64 exec, exec, s[44:45]
.LBB52_915:
	s_or_b64 exec, exec, s[42:43]
.LBB52_916:
	s_or_b64 exec, exec, s[40:41]
.LBB52_917:
	s_or_b64 exec, exec, s[38:39]
.LBB52_918:
	s_or_b64 exec, exec, s[36:37]
.LBB52_919:
	s_or_b64 exec, exec, s[34:35]
.LBB52_920:
	s_or_b64 exec, exec, s[30:31]
.LBB52_921:
	s_or_b64 exec, exec, s[28:29]
.LBB52_922:
	s_or_b64 exec, exec, s[26:27]
.LBB52_923:
	s_or_b64 exec, exec, s[24:25]
.LBB52_924:
	s_or_b64 exec, exec, s[22:23]
	v_perm_b32 v5, v15, v5, s49
.LBB52_925:
	s_or_b64 exec, exec, s[20:21]
.LBB52_926:
	s_or_b64 exec, exec, s[18:19]
.LBB52_927:
	s_or_b64 exec, exec, s[16:17]
.LBB52_928:
	s_or_b64 exec, exec, s[14:15]
	v_perm_b32 v3, v11, v3, s48
.LBB52_929:
	s_or_b64 exec, exec, s[12:13]
.LBB52_930:
	s_or_b64 exec, exec, s[10:11]
.LBB52_931:
	s_or_b64 exec, exec, s[8:9]
.LBB52_932:
	s_or_b64 exec, exec, s[6:7]
.LBB52_933:
	s_or_b64 exec, exec, s[4:5]
.LBB52_934:
	s_or_b64 exec, exec, s[0:1]
	v_lshlrev_b32_e32 v50, 1, v4
	v_lshlrev_b32_e32 v1, 1, v1
	s_mov_b32 s0, 0x5040100
	s_waitcnt lgkmcnt(0)
	; wave barrier
	ds_write_b16 v50, v6
	ds_write_b16 v1, v7
	ds_write2_b32 v50, v2, v3 offset0:1 offset1:2
	ds_write2_b32 v50, v30, v5 offset0:3 offset1:4
	v_perm_b32 v1, v19, v18, s0
	v_perm_b32 v2, v17, v16, s0
	ds_write2_b32 v50, v2, v1 offset0:5 offset1:6
	v_perm_b32 v1, v23, v22, s0
	v_perm_b32 v2, v21, v20, s0
	;; [unrolled: 3-line block ×3, first 2 shown]
	ds_write2_b32 v50, v2, v1 offset0:9 offset1:10
	v_perm_b32 v1, v29, v28, s0
	s_movk_i32 s0, 0xffd2
	v_mad_i32_i24 v2, v0, s0, v50
	ds_write_b32 v50, v1 offset:44
	s_waitcnt lgkmcnt(0)
	; wave barrier
	s_waitcnt lgkmcnt(0)
	ds_read_u16 v52, v2 offset:128
	ds_read_u16 v51, v2 offset:256
	;; [unrolled: 1-line block ×23, first 2 shown]
	v_lshlrev_b32_e32 v2, 1, v0
	v_mov_b32_e32 v3, s3
	v_add_co_u32_e32 v2, vcc, s2, v2
	v_addc_co_u32_e32 v3, vcc, 0, v3, vcc
	v_mov_b32_e32 v1, 0
	v_cmp_gt_u32_e32 vcc, s33, v0
	s_and_saveexec_b64 s[0:1], vcc
	s_cbranch_execz .LBB52_936
; %bb.935:
	v_mul_i32_i24_e32 v53, 0xffffffd2, v0
	v_add_u32_e32 v50, v50, v53
	ds_read_u16 v50, v50
	s_waitcnt lgkmcnt(0)
	global_store_short v[2:3], v50, off
.LBB52_936:
	s_or_b64 exec, exec, s[0:1]
	v_or_b32_e32 v50, 64, v0
	v_cmp_gt_u32_e32 vcc, s33, v50
	s_and_saveexec_b64 s[0:1], vcc
	s_cbranch_execz .LBB52_938
; %bb.937:
	s_waitcnt lgkmcnt(14)
	global_store_short v[2:3], v52, off offset:128
.LBB52_938:
	s_or_b64 exec, exec, s[0:1]
	v_or_b32_e32 v50, 0x80, v0
	v_cmp_gt_u32_e32 vcc, s33, v50
	s_and_saveexec_b64 s[0:1], vcc
	s_cbranch_execz .LBB52_940
; %bb.939:
	s_waitcnt lgkmcnt(14)
	global_store_short v[2:3], v51, off offset:256
.LBB52_940:
	;; [unrolled: 9-line block ×3, first 2 shown]
	s_or_b64 exec, exec, s[0:1]
	s_waitcnt lgkmcnt(14)
	v_or_b32_e32 v49, 0x100, v0
	v_cmp_gt_u32_e32 vcc, s33, v49
	s_and_saveexec_b64 s[0:1], vcc
	s_cbranch_execz .LBB52_944
; %bb.943:
	global_store_short v[2:3], v48, off offset:512
.LBB52_944:
	s_or_b64 exec, exec, s[0:1]
	v_or_b32_e32 v48, 0x140, v0
	v_cmp_gt_u32_e32 vcc, s33, v48
	s_and_saveexec_b64 s[0:1], vcc
	s_cbranch_execz .LBB52_946
; %bb.945:
	global_store_short v[2:3], v47, off offset:640
.LBB52_946:
	s_or_b64 exec, exec, s[0:1]
	;; [unrolled: 8-line block ×6, first 2 shown]
	v_or_b32_e32 v43, 0x280, v0
	v_cmp_gt_u32_e32 vcc, s33, v43
	s_and_saveexec_b64 s[0:1], vcc
	s_cbranch_execz .LBB52_956
; %bb.955:
	s_waitcnt lgkmcnt(13)
	global_store_short v[2:3], v42, off offset:1280
.LBB52_956:
	s_or_b64 exec, exec, s[0:1]
	s_waitcnt lgkmcnt(13)
	v_or_b32_e32 v42, 0x2c0, v0
	v_cmp_gt_u32_e32 vcc, s33, v42
	s_and_saveexec_b64 s[0:1], vcc
	s_cbranch_execz .LBB52_958
; %bb.957:
	s_waitcnt lgkmcnt(12)
	global_store_short v[2:3], v41, off offset:1408
.LBB52_958:
	s_or_b64 exec, exec, s[0:1]
	s_waitcnt lgkmcnt(12)
	;; [unrolled: 10-line block ×12, first 2 shown]
	v_or_b32_e32 v31, 0x580, v0
	v_cmp_gt_u32_e32 vcc, s33, v31
	s_and_saveexec_b64 s[0:1], vcc
	s_cbranch_execz .LBB52_980
; %bb.979:
	s_waitcnt lgkmcnt(1)
	global_store_short v[2:3], v30, off offset:2816
.LBB52_980:
	s_or_b64 exec, exec, s[0:1]
	v_or_b32_e32 v2, 0x5c0, v0
	v_cmp_gt_u32_e64 s[0:1], s33, v2
	s_branch .LBB52_1057
.LBB52_981:
	s_or_b64 exec, exec, s[56:57]
	v_cmp_lt_u32_e64 s[54:55], 31, v3
	s_and_saveexec_b64 s[56:57], s[54:55]
	s_cbranch_execz .LBB52_810
.LBB52_982:
	v_and_b32_e32 v7, 1, v13
	v_mov_b32_e32 v8, 1
	v_and_b32_sdwa v8, v15, v8 dst_sel:DWORD dst_unused:UNUSED_PAD src0_sel:WORD_1 src1_sel:DWORD
	v_cmp_eq_u32_e64 s[54:55], 1, v7
	v_cndmask_b32_e64 v9, v8, 1, s[54:55]
	v_mov_b32_e32 v11, v6
	v_mov_b32_e32 v13, v9
	;; [unrolled: 1-line block ×3, first 2 shown]
	s_or_b64 exec, exec, s[56:57]
	v_cmp_eq_u32_e64 s[54:55], 63, v0
	s_and_saveexec_b64 s[56:57], s[54:55]
	s_cbranch_execnz .LBB52_811
	s_branch .LBB52_812
.LBB52_983:
	s_or_b64 exec, exec, s[54:55]
	s_and_saveexec_b64 s[54:55], s[6:7]
	s_cbranch_execz .LBB52_820
.LBB52_984:
	v_lshlrev_b32_e32 v8, 16, v51
	v_pk_add_f32 v[2:3], v[8:9], v[2:3] op_sel_hi:[0,1]
	s_mov_b32 s2, 0x7f800000
	v_and_b32_e32 v3, 0x7f800000, v2
	v_cmp_ne_u32_e64 s[2:3], s2, v3
                                        ; implicit-def: $vgpr7
	s_and_saveexec_b64 s[6:7], s[2:3]
	s_xor_b64 s[2:3], exec, s[6:7]
; %bb.985:
	v_bfe_u32 v3, v2, 16, 1
	s_movk_i32 s6, 0x7fff
	v_add3_u32 v7, v2, v3, s6
                                        ; implicit-def: $vgpr2_vgpr3
; %bb.986:
	s_andn2_saveexec_b64 s[6:7], s[2:3]
; %bb.987:
	v_mov_b32_e32 v3, 0
	v_or_b32_e32 v7, 0x10000, v2
	v_cmp_eq_u32_sdwa s[2:3], v2, v3 src0_sel:WORD_0 src1_sel:DWORD
	v_cndmask_b32_e64 v7, v7, v2, s[2:3]
; %bb.988:
	s_or_b64 exec, exec, s[6:7]
	v_lshrrev_b32_e32 v50, 16, v7
	s_or_b64 exec, exec, s[54:55]
	v_and_b32_e32 v7, 0xffff, v50
	s_and_saveexec_b64 s[6:7], s[8:9]
	s_cbranch_execnz .LBB52_821
.LBB52_989:
	s_or_b64 exec, exec, s[6:7]
	v_and_b32_e32 v8, 0xffff, v48
	s_and_saveexec_b64 s[6:7], s[10:11]
	s_cbranch_execz .LBB52_826
.LBB52_990:
	v_lshlrev_b32_e32 v2, 16, v8
	v_pk_add_f32 v[2:3], v[2:3], v[10:11] op_sel_hi:[0,1]
	s_mov_b32 s2, 0x7f800000
	v_and_b32_e32 v3, 0x7f800000, v2
	v_cmp_ne_u32_e64 s[2:3], s2, v3
                                        ; implicit-def: $vgpr4
	s_and_saveexec_b64 s[8:9], s[2:3]
	s_xor_b64 s[2:3], exec, s[8:9]
; %bb.991:
	v_bfe_u32 v3, v2, 16, 1
	s_movk_i32 s8, 0x7fff
	v_add3_u32 v4, v2, v3, s8
                                        ; implicit-def: $vgpr2_vgpr3
; %bb.992:
	s_andn2_saveexec_b64 s[8:9], s[2:3]
; %bb.993:
	v_mov_b32_e32 v3, 0
	v_or_b32_e32 v4, 0x10000, v2
	v_cmp_eq_u32_sdwa s[2:3], v2, v3 src0_sel:WORD_0 src1_sel:DWORD
	v_cndmask_b32_e64 v4, v4, v2, s[2:3]
; %bb.994:
	s_or_b64 exec, exec, s[8:9]
	v_lshrrev_b32_e32 v49, 16, v4
	s_or_b64 exec, exec, s[6:7]
	v_and_b32_e32 v9, 0xffff, v49
	s_and_saveexec_b64 s[6:7], s[12:13]
	s_cbranch_execnz .LBB52_827
.LBB52_995:
	s_or_b64 exec, exec, s[6:7]
	v_and_b32_e32 v10, 0xffff, v46
	s_and_saveexec_b64 s[6:7], s[14:15]
	s_cbranch_execz .LBB52_832
.LBB52_996:
	v_lshlrev_b32_e32 v2, 16, v10
	v_pk_add_f32 v[2:3], v[2:3], v[14:15] op_sel_hi:[0,1]
	s_mov_b32 s2, 0x7f800000
	v_and_b32_e32 v3, 0x7f800000, v2
	v_cmp_ne_u32_e64 s[2:3], s2, v3
                                        ; implicit-def: $vgpr4
	s_and_saveexec_b64 s[8:9], s[2:3]
	s_xor_b64 s[2:3], exec, s[8:9]
; %bb.997:
	v_bfe_u32 v3, v2, 16, 1
	s_movk_i32 s8, 0x7fff
	v_add3_u32 v4, v2, v3, s8
                                        ; implicit-def: $vgpr2_vgpr3
; %bb.998:
	s_andn2_saveexec_b64 s[8:9], s[2:3]
; %bb.999:
	v_mov_b32_e32 v3, 0
	v_or_b32_e32 v4, 0x10000, v2
	v_cmp_eq_u32_sdwa s[2:3], v2, v3 src0_sel:WORD_0 src1_sel:DWORD
	v_cndmask_b32_e64 v4, v4, v2, s[2:3]
; %bb.1000:
	s_or_b64 exec, exec, s[8:9]
	v_lshrrev_b32_e32 v47, 16, v4
	s_or_b64 exec, exec, s[6:7]
	v_and_b32_e32 v11, 0xffff, v47
	s_and_saveexec_b64 s[6:7], s[16:17]
	s_cbranch_execnz .LBB52_833
.LBB52_1001:
	s_or_b64 exec, exec, s[6:7]
	v_and_b32_e32 v12, 0xffff, v44
	s_and_saveexec_b64 s[6:7], s[18:19]
	s_cbranch_execz .LBB52_838
.LBB52_1002:
	v_lshlrev_b32_e32 v2, 16, v12
	v_pk_add_f32 v[2:3], v[2:3], v[18:19] op_sel_hi:[0,1]
	s_mov_b32 s2, 0x7f800000
	v_and_b32_e32 v3, 0x7f800000, v2
	v_cmp_ne_u32_e64 s[2:3], s2, v3
                                        ; implicit-def: $vgpr4
	s_and_saveexec_b64 s[8:9], s[2:3]
	s_xor_b64 s[2:3], exec, s[8:9]
; %bb.1003:
	v_bfe_u32 v3, v2, 16, 1
	s_movk_i32 s8, 0x7fff
	v_add3_u32 v4, v2, v3, s8
                                        ; implicit-def: $vgpr2_vgpr3
; %bb.1004:
	s_andn2_saveexec_b64 s[8:9], s[2:3]
; %bb.1005:
	v_mov_b32_e32 v3, 0
	v_or_b32_e32 v4, 0x10000, v2
	v_cmp_eq_u32_sdwa s[2:3], v2, v3 src0_sel:WORD_0 src1_sel:DWORD
	v_cndmask_b32_e64 v4, v4, v2, s[2:3]
; %bb.1006:
	s_or_b64 exec, exec, s[8:9]
	v_lshrrev_b32_e32 v45, 16, v4
	s_or_b64 exec, exec, s[6:7]
	v_and_b32_e32 v13, 0xffff, v45
	s_and_saveexec_b64 s[6:7], s[20:21]
	s_cbranch_execnz .LBB52_839
.LBB52_1007:
	s_or_b64 exec, exec, s[6:7]
	v_and_b32_e32 v14, 0xffff, v42
	s_and_saveexec_b64 s[6:7], s[22:23]
	s_cbranch_execz .LBB52_844
.LBB52_1008:
	v_lshlrev_b32_e32 v2, 16, v14
	v_pk_add_f32 v[2:3], v[2:3], v[22:23] op_sel_hi:[0,1]
	s_mov_b32 s2, 0x7f800000
	v_and_b32_e32 v3, 0x7f800000, v2
	v_cmp_ne_u32_e64 s[2:3], s2, v3
                                        ; implicit-def: $vgpr4
	s_and_saveexec_b64 s[8:9], s[2:3]
	s_xor_b64 s[2:3], exec, s[8:9]
; %bb.1009:
	v_bfe_u32 v3, v2, 16, 1
	s_movk_i32 s8, 0x7fff
	v_add3_u32 v4, v2, v3, s8
                                        ; implicit-def: $vgpr2_vgpr3
; %bb.1010:
	s_andn2_saveexec_b64 s[8:9], s[2:3]
; %bb.1011:
	v_mov_b32_e32 v3, 0
	v_or_b32_e32 v4, 0x10000, v2
	v_cmp_eq_u32_sdwa s[2:3], v2, v3 src0_sel:WORD_0 src1_sel:DWORD
	v_cndmask_b32_e64 v4, v4, v2, s[2:3]
; %bb.1012:
	s_or_b64 exec, exec, s[8:9]
	v_lshrrev_b32_e32 v43, 16, v4
	s_or_b64 exec, exec, s[6:7]
	v_and_b32_e32 v15, 0xffff, v43
	s_and_saveexec_b64 s[6:7], s[24:25]
	s_cbranch_execnz .LBB52_845
.LBB52_1013:
	s_or_b64 exec, exec, s[6:7]
	v_and_b32_e32 v16, 0xffff, v40
	s_and_saveexec_b64 s[6:7], s[26:27]
	s_cbranch_execz .LBB52_850
.LBB52_1014:
	v_lshlrev_b32_e32 v2, 16, v16
	v_pk_add_f32 v[2:3], v[2:3], v[26:27] op_sel_hi:[0,1]
	s_mov_b32 s2, 0x7f800000
	v_and_b32_e32 v3, 0x7f800000, v2
	v_cmp_ne_u32_e64 s[2:3], s2, v3
                                        ; implicit-def: $vgpr4
	s_and_saveexec_b64 s[8:9], s[2:3]
	s_xor_b64 s[2:3], exec, s[8:9]
; %bb.1015:
	v_bfe_u32 v3, v2, 16, 1
	s_movk_i32 s8, 0x7fff
	v_add3_u32 v4, v2, v3, s8
                                        ; implicit-def: $vgpr2_vgpr3
; %bb.1016:
	s_andn2_saveexec_b64 s[8:9], s[2:3]
; %bb.1017:
	v_mov_b32_e32 v3, 0
	v_or_b32_e32 v4, 0x10000, v2
	v_cmp_eq_u32_sdwa s[2:3], v2, v3 src0_sel:WORD_0 src1_sel:DWORD
	v_cndmask_b32_e64 v4, v4, v2, s[2:3]
; %bb.1018:
	s_or_b64 exec, exec, s[8:9]
	v_lshrrev_b32_e32 v41, 16, v4
	s_or_b64 exec, exec, s[6:7]
	v_and_b32_e32 v17, 0xffff, v41
	s_and_saveexec_b64 s[6:7], s[28:29]
	s_cbranch_execnz .LBB52_851
.LBB52_1019:
	s_or_b64 exec, exec, s[6:7]
	v_and_b32_e32 v18, 0xffff, v38
	s_and_saveexec_b64 s[6:7], s[30:31]
	s_cbranch_execz .LBB52_856
.LBB52_1020:
	v_lshlrev_b32_e32 v2, 16, v18
	v_pk_add_f32 v[2:3], v[2:3], v[52:53] op_sel_hi:[0,1]
	s_mov_b32 s2, 0x7f800000
	v_and_b32_e32 v3, 0x7f800000, v2
	v_cmp_ne_u32_e64 s[2:3], s2, v3
                                        ; implicit-def: $vgpr4
	s_and_saveexec_b64 s[8:9], s[2:3]
	s_xor_b64 s[2:3], exec, s[8:9]
; %bb.1021:
	v_bfe_u32 v3, v2, 16, 1
	s_movk_i32 s8, 0x7fff
	v_add3_u32 v4, v2, v3, s8
                                        ; implicit-def: $vgpr2_vgpr3
; %bb.1022:
	s_andn2_saveexec_b64 s[8:9], s[2:3]
; %bb.1023:
	v_mov_b32_e32 v3, 0
	v_or_b32_e32 v4, 0x10000, v2
	v_cmp_eq_u32_sdwa s[2:3], v2, v3 src0_sel:WORD_0 src1_sel:DWORD
	v_cndmask_b32_e64 v4, v4, v2, s[2:3]
; %bb.1024:
	s_or_b64 exec, exec, s[8:9]
	v_lshrrev_b32_e32 v39, 16, v4
	s_or_b64 exec, exec, s[6:7]
	v_and_b32_e32 v19, 0xffff, v39
	s_and_saveexec_b64 s[6:7], s[34:35]
	s_cbranch_execnz .LBB52_857
.LBB52_1025:
	s_or_b64 exec, exec, s[6:7]
	v_and_b32_e32 v20, 0xffff, v36
	s_and_saveexec_b64 s[6:7], s[36:37]
	s_cbranch_execz .LBB52_862
.LBB52_1026:
	v_lshlrev_b32_e32 v2, 16, v20
	v_pk_add_f32 v[2:3], v[2:3], v[56:57] op_sel_hi:[0,1]
	s_mov_b32 s2, 0x7f800000
	v_and_b32_e32 v3, 0x7f800000, v2
	v_cmp_ne_u32_e64 s[2:3], s2, v3
                                        ; implicit-def: $vgpr4
	s_and_saveexec_b64 s[8:9], s[2:3]
	s_xor_b64 s[2:3], exec, s[8:9]
; %bb.1027:
	v_bfe_u32 v3, v2, 16, 1
	s_movk_i32 s8, 0x7fff
	v_add3_u32 v4, v2, v3, s8
                                        ; implicit-def: $vgpr2_vgpr3
; %bb.1028:
	s_andn2_saveexec_b64 s[8:9], s[2:3]
; %bb.1029:
	v_mov_b32_e32 v3, 0
	v_or_b32_e32 v4, 0x10000, v2
	v_cmp_eq_u32_sdwa s[2:3], v2, v3 src0_sel:WORD_0 src1_sel:DWORD
	v_cndmask_b32_e64 v4, v4, v2, s[2:3]
; %bb.1030:
	s_or_b64 exec, exec, s[8:9]
	v_lshrrev_b32_e32 v37, 16, v4
	s_or_b64 exec, exec, s[6:7]
	v_and_b32_e32 v21, 0xffff, v37
	s_and_saveexec_b64 s[6:7], s[38:39]
	s_cbranch_execnz .LBB52_863
.LBB52_1031:
	s_or_b64 exec, exec, s[6:7]
	v_and_b32_e32 v22, 0xffff, v34
	s_and_saveexec_b64 s[6:7], s[40:41]
	s_cbranch_execz .LBB52_868
.LBB52_1032:
	v_lshlrev_b32_e32 v2, 16, v22
	v_pk_add_f32 v[2:3], v[2:3], v[60:61] op_sel_hi:[0,1]
	s_mov_b32 s2, 0x7f800000
	v_and_b32_e32 v3, 0x7f800000, v2
	v_cmp_ne_u32_e64 s[2:3], s2, v3
                                        ; implicit-def: $vgpr4
	s_and_saveexec_b64 s[8:9], s[2:3]
	s_xor_b64 s[2:3], exec, s[8:9]
; %bb.1033:
	v_bfe_u32 v3, v2, 16, 1
	s_movk_i32 s8, 0x7fff
	v_add3_u32 v4, v2, v3, s8
                                        ; implicit-def: $vgpr2_vgpr3
; %bb.1034:
	s_andn2_saveexec_b64 s[8:9], s[2:3]
; %bb.1035:
	v_mov_b32_e32 v3, 0
	v_or_b32_e32 v4, 0x10000, v2
	v_cmp_eq_u32_sdwa s[2:3], v2, v3 src0_sel:WORD_0 src1_sel:DWORD
	v_cndmask_b32_e64 v4, v4, v2, s[2:3]
; %bb.1036:
	s_or_b64 exec, exec, s[8:9]
	v_lshrrev_b32_e32 v35, 16, v4
	s_or_b64 exec, exec, s[6:7]
	v_and_b32_e32 v23, 0xffff, v35
	s_and_saveexec_b64 s[6:7], s[42:43]
	s_cbranch_execnz .LBB52_869
.LBB52_1037:
	s_or_b64 exec, exec, s[6:7]
	v_and_b32_e32 v24, 0xffff, v32
	s_and_saveexec_b64 s[6:7], s[44:45]
	s_cbranch_execz .LBB52_874
.LBB52_1038:
	v_lshlrev_b32_e32 v2, 16, v24
	v_pk_add_f32 v[2:3], v[2:3], v[64:65] op_sel_hi:[0,1]
	s_mov_b32 s2, 0x7f800000
	v_and_b32_e32 v3, 0x7f800000, v2
	v_cmp_ne_u32_e64 s[2:3], s2, v3
                                        ; implicit-def: $vgpr4
	s_and_saveexec_b64 s[8:9], s[2:3]
	s_xor_b64 s[2:3], exec, s[8:9]
; %bb.1039:
	v_bfe_u32 v3, v2, 16, 1
	s_movk_i32 s8, 0x7fff
	v_add3_u32 v4, v2, v3, s8
                                        ; implicit-def: $vgpr2_vgpr3
; %bb.1040:
	s_andn2_saveexec_b64 s[8:9], s[2:3]
; %bb.1041:
	v_mov_b32_e32 v3, 0
	v_or_b32_e32 v4, 0x10000, v2
	v_cmp_eq_u32_sdwa s[2:3], v2, v3 src0_sel:WORD_0 src1_sel:DWORD
	v_cndmask_b32_e64 v4, v4, v2, s[2:3]
; %bb.1042:
	s_or_b64 exec, exec, s[8:9]
	v_lshrrev_b32_e32 v33, 16, v4
	s_or_b64 exec, exec, s[6:7]
	v_and_b32_e32 v25, 0xffff, v33
	s_and_saveexec_b64 s[6:7], s[46:47]
	s_cbranch_execnz .LBB52_875
.LBB52_1043:
	s_or_b64 exec, exec, s[6:7]
	v_and_b32_e32 v2, 0xffff, v30
	s_and_saveexec_b64 s[6:7], s[48:49]
	s_cbranch_execz .LBB52_880
.LBB52_1044:
	v_lshlrev_b32_e32 v4, 16, v2
	v_pk_add_f32 v[26:27], v[4:5], v[68:69] op_sel_hi:[0,1]
	s_mov_b32 s2, 0x7f800000
	v_and_b32_e32 v3, 0x7f800000, v26
	v_cmp_ne_u32_e64 s[2:3], s2, v3
                                        ; implicit-def: $vgpr3
	s_and_saveexec_b64 s[8:9], s[2:3]
	s_xor_b64 s[2:3], exec, s[8:9]
; %bb.1045:
	v_bfe_u32 v3, v26, 16, 1
	s_movk_i32 s8, 0x7fff
	v_add3_u32 v3, v26, v3, s8
                                        ; implicit-def: $vgpr26_vgpr27
; %bb.1046:
	s_andn2_saveexec_b64 s[8:9], s[2:3]
; %bb.1047:
	v_mov_b32_e32 v3, 0
	v_or_b32_e32 v4, 0x10000, v26
	v_cmp_eq_u32_sdwa s[2:3], v26, v3 src0_sel:WORD_0 src1_sel:DWORD
	v_cndmask_b32_e64 v3, v4, v26, s[2:3]
; %bb.1048:
	s_or_b64 exec, exec, s[8:9]
	v_lshrrev_b32_e32 v31, 16, v3
	s_or_b64 exec, exec, s[6:7]
	v_and_b32_e32 v3, 0xffff, v31
	s_and_saveexec_b64 s[6:7], s[50:51]
	s_cbranch_execnz .LBB52_881
.LBB52_1049:
	s_or_b64 exec, exec, s[6:7]
	v_and_b32_e32 v4, 0xffff, v1
	s_and_saveexec_b64 s[6:7], s[52:53]
	s_cbranch_execz .LBB52_886
.LBB52_1050:
	v_lshlrev_b32_e32 v26, 16, v4
	v_pk_add_f32 v[26:27], v[26:27], v[72:73] op_sel_hi:[0,1]
	s_mov_b32 s2, 0x7f800000
	v_and_b32_e32 v1, 0x7f800000, v26
	v_cmp_ne_u32_e64 s[2:3], s2, v1
                                        ; implicit-def: $vgpr1
	s_and_saveexec_b64 s[8:9], s[2:3]
	s_xor_b64 s[2:3], exec, s[8:9]
; %bb.1051:
	v_bfe_u32 v1, v26, 16, 1
	s_movk_i32 s8, 0x7fff
	v_add3_u32 v1, v26, v1, s8
                                        ; implicit-def: $vgpr26_vgpr27
; %bb.1052:
	s_andn2_saveexec_b64 s[8:9], s[2:3]
; %bb.1053:
	v_mov_b32_e32 v1, 0
	v_or_b32_e32 v5, 0x10000, v26
	v_cmp_eq_u32_sdwa s[2:3], v26, v1 src0_sel:WORD_0 src1_sel:DWORD
	v_cndmask_b32_e64 v1, v5, v26, s[2:3]
; %bb.1054:
	s_or_b64 exec, exec, s[8:9]
	v_lshrrev_b32_e32 v5, 16, v1
	s_or_b64 exec, exec, s[6:7]
	s_and_saveexec_b64 s[2:3], vcc
	s_cbranch_execnz .LBB52_887
	s_branch .LBB52_888
.LBB52_1055:
	s_mov_b64 s[0:1], 0
                                        ; implicit-def: $vgpr5
	s_cbranch_execz .LBB52_1057
; %bb.1056:
	s_mov_b32 s4, 0x5040100
	s_waitcnt lgkmcnt(1)
	v_lshlrev_b32_e32 v30, 1, v4
	s_waitcnt lgkmcnt(0)
	v_perm_b32 v5, v13, v12, s4
	v_perm_b32 v4, v11, v10, s4
	;; [unrolled: 1-line block ×4, first 2 shown]
	s_waitcnt lgkmcnt(0)
	; wave barrier
	ds_write_b128 v30, v[2:5]
	v_perm_b32 v5, v21, v20, s4
	v_perm_b32 v4, v19, v18, s4
	;; [unrolled: 1-line block ×4, first 2 shown]
	ds_write_b128 v30, v[2:5] offset:16
	v_perm_b32 v5, v29, v28, s4
	v_perm_b32 v4, v27, v26, s4
	;; [unrolled: 1-line block ×4, first 2 shown]
	s_movk_i32 s4, 0xffd2
	ds_write_b128 v30, v[2:5] offset:32
	v_mad_i32_i24 v2, v0, s4, v30
	s_waitcnt lgkmcnt(0)
	; wave barrier
	s_waitcnt lgkmcnt(0)
	ds_read_u16 v3, v2
	ds_read_u16 v4, v2 offset:128
	ds_read_u16 v6, v2 offset:256
	;; [unrolled: 1-line block ×23, first 2 shown]
	v_mov_b32_e32 v1, 0
	v_lshlrev_b32_e32 v2, 1, v0
	s_or_b64 s[0:1], s[0:1], exec
	s_waitcnt lgkmcnt(14)
	global_store_short v2, v3, s[2:3]
	global_store_short v2, v4, s[2:3] offset:128
	global_store_short v2, v6, s[2:3] offset:256
	global_store_short v2, v7, s[2:3] offset:384
	global_store_short v2, v8, s[2:3] offset:512
	global_store_short v2, v9, s[2:3] offset:640
	global_store_short v2, v10, s[2:3] offset:768
	global_store_short v2, v11, s[2:3] offset:896
	global_store_short v2, v12, s[2:3] offset:1024
	global_store_short v2, v13, s[2:3] offset:1152
	s_waitcnt lgkmcnt(13)
	global_store_short v2, v14, s[2:3] offset:1280
	s_waitcnt lgkmcnt(12)
	global_store_short v2, v15, s[2:3] offset:1408
	s_waitcnt lgkmcnt(11)
	global_store_short v2, v16, s[2:3] offset:1536
	s_waitcnt lgkmcnt(10)
	global_store_short v2, v17, s[2:3] offset:1664
	s_waitcnt lgkmcnt(9)
	global_store_short v2, v18, s[2:3] offset:1792
	s_waitcnt lgkmcnt(8)
	global_store_short v2, v19, s[2:3] offset:1920
	s_waitcnt lgkmcnt(7)
	global_store_short v2, v20, s[2:3] offset:2048
	s_waitcnt lgkmcnt(6)
	global_store_short v2, v21, s[2:3] offset:2176
	s_waitcnt lgkmcnt(5)
	global_store_short v2, v22, s[2:3] offset:2304
	s_waitcnt lgkmcnt(4)
	global_store_short v2, v23, s[2:3] offset:2432
	s_waitcnt lgkmcnt(3)
	global_store_short v2, v24, s[2:3] offset:2560
	s_waitcnt lgkmcnt(2)
	global_store_short v2, v25, s[2:3] offset:2688
	s_waitcnt lgkmcnt(1)
	global_store_short v2, v26, s[2:3] offset:2816
.LBB52_1057:
	s_and_saveexec_b64 s[4:5], s[0:1]
	s_cbranch_execz .LBB52_1059
; %bb.1058:
	v_lshlrev_b64 v[0:1], 1, v[0:1]
	v_mov_b32_e32 v2, s3
	v_add_co_u32_e32 v0, vcc, s2, v0
	v_addc_co_u32_e32 v1, vcc, v2, v1, vcc
	s_waitcnt lgkmcnt(0)
	global_store_short v[0:1], v5, off offset:2944
	s_endpgm
.LBB52_1059:
	s_endpgm
	.section	.rodata,"a",@progbits
	.p2align	6, 0x0
	.amdhsa_kernel _ZN7rocprim6detail25device_scan_by_key_kernelILNS0_25lookback_scan_determinismE0ELb0ENS0_26wrapped_scan_by_key_configINS_14default_configEi12hip_bfloat16EEPiN6hipcub22TransformInputIteratorIS5_NS8_6CastOpIS5_EEPS5_lEESC_S5_NS8_8EqualityENS8_3SumENS0_19lookback_scan_stateINS_5tupleIJS5_bEEELb0ELb1EEES5_EEvT2_T3_T4_T5_T6_T7_T8_mmmPKNSH_IJT9_bEEE
		.amdhsa_group_segment_fixed_size 6656
		.amdhsa_private_segment_fixed_size 0
		.amdhsa_kernarg_size 80
		.amdhsa_user_sgpr_count 6
		.amdhsa_user_sgpr_private_segment_buffer 1
		.amdhsa_user_sgpr_dispatch_ptr 0
		.amdhsa_user_sgpr_queue_ptr 0
		.amdhsa_user_sgpr_kernarg_segment_ptr 1
		.amdhsa_user_sgpr_dispatch_id 0
		.amdhsa_user_sgpr_flat_scratch_init 0
		.amdhsa_user_sgpr_kernarg_preload_length 0
		.amdhsa_user_sgpr_kernarg_preload_offset 0
		.amdhsa_user_sgpr_private_segment_size 0
		.amdhsa_uses_dynamic_stack 0
		.amdhsa_system_sgpr_private_segment_wavefront_offset 0
		.amdhsa_system_sgpr_workgroup_id_x 1
		.amdhsa_system_sgpr_workgroup_id_y 0
		.amdhsa_system_sgpr_workgroup_id_z 0
		.amdhsa_system_sgpr_workgroup_info 0
		.amdhsa_system_vgpr_workitem_id 0
		.amdhsa_next_free_vgpr 76
		.amdhsa_next_free_sgpr 76
		.amdhsa_accum_offset 76
		.amdhsa_reserve_vcc 1
		.amdhsa_reserve_flat_scratch 0
		.amdhsa_float_round_mode_32 0
		.amdhsa_float_round_mode_16_64 0
		.amdhsa_float_denorm_mode_32 3
		.amdhsa_float_denorm_mode_16_64 3
		.amdhsa_dx10_clamp 1
		.amdhsa_ieee_mode 1
		.amdhsa_fp16_overflow 0
		.amdhsa_tg_split 0
		.amdhsa_exception_fp_ieee_invalid_op 0
		.amdhsa_exception_fp_denorm_src 0
		.amdhsa_exception_fp_ieee_div_zero 0
		.amdhsa_exception_fp_ieee_overflow 0
		.amdhsa_exception_fp_ieee_underflow 0
		.amdhsa_exception_fp_ieee_inexact 0
		.amdhsa_exception_int_div_zero 0
	.end_amdhsa_kernel
	.section	.text._ZN7rocprim6detail25device_scan_by_key_kernelILNS0_25lookback_scan_determinismE0ELb0ENS0_26wrapped_scan_by_key_configINS_14default_configEi12hip_bfloat16EEPiN6hipcub22TransformInputIteratorIS5_NS8_6CastOpIS5_EEPS5_lEESC_S5_NS8_8EqualityENS8_3SumENS0_19lookback_scan_stateINS_5tupleIJS5_bEEELb0ELb1EEES5_EEvT2_T3_T4_T5_T6_T7_T8_mmmPKNSH_IJT9_bEEE,"axG",@progbits,_ZN7rocprim6detail25device_scan_by_key_kernelILNS0_25lookback_scan_determinismE0ELb0ENS0_26wrapped_scan_by_key_configINS_14default_configEi12hip_bfloat16EEPiN6hipcub22TransformInputIteratorIS5_NS8_6CastOpIS5_EEPS5_lEESC_S5_NS8_8EqualityENS8_3SumENS0_19lookback_scan_stateINS_5tupleIJS5_bEEELb0ELb1EEES5_EEvT2_T3_T4_T5_T6_T7_T8_mmmPKNSH_IJT9_bEEE,comdat
.Lfunc_end52:
	.size	_ZN7rocprim6detail25device_scan_by_key_kernelILNS0_25lookback_scan_determinismE0ELb0ENS0_26wrapped_scan_by_key_configINS_14default_configEi12hip_bfloat16EEPiN6hipcub22TransformInputIteratorIS5_NS8_6CastOpIS5_EEPS5_lEESC_S5_NS8_8EqualityENS8_3SumENS0_19lookback_scan_stateINS_5tupleIJS5_bEEELb0ELb1EEES5_EEvT2_T3_T4_T5_T6_T7_T8_mmmPKNSH_IJT9_bEEE, .Lfunc_end52-_ZN7rocprim6detail25device_scan_by_key_kernelILNS0_25lookback_scan_determinismE0ELb0ENS0_26wrapped_scan_by_key_configINS_14default_configEi12hip_bfloat16EEPiN6hipcub22TransformInputIteratorIS5_NS8_6CastOpIS5_EEPS5_lEESC_S5_NS8_8EqualityENS8_3SumENS0_19lookback_scan_stateINS_5tupleIJS5_bEEELb0ELb1EEES5_EEvT2_T3_T4_T5_T6_T7_T8_mmmPKNSH_IJT9_bEEE
                                        ; -- End function
	.section	.AMDGPU.csdata,"",@progbits
; Kernel info:
; codeLenInByte = 28848
; NumSgprs: 80
; NumVgprs: 76
; NumAgprs: 0
; TotalNumVgprs: 76
; ScratchSize: 0
; MemoryBound: 0
; FloatMode: 240
; IeeeMode: 1
; LDSByteSize: 6656 bytes/workgroup (compile time only)
; SGPRBlocks: 9
; VGPRBlocks: 9
; NumSGPRsForWavesPerEU: 80
; NumVGPRsForWavesPerEU: 76
; AccumOffset: 76
; Occupancy: 3
; WaveLimiterHint : 1
; COMPUTE_PGM_RSRC2:SCRATCH_EN: 0
; COMPUTE_PGM_RSRC2:USER_SGPR: 6
; COMPUTE_PGM_RSRC2:TRAP_HANDLER: 0
; COMPUTE_PGM_RSRC2:TGID_X_EN: 1
; COMPUTE_PGM_RSRC2:TGID_Y_EN: 0
; COMPUTE_PGM_RSRC2:TGID_Z_EN: 0
; COMPUTE_PGM_RSRC2:TIDIG_COMP_CNT: 0
; COMPUTE_PGM_RSRC3_GFX90A:ACCUM_OFFSET: 18
; COMPUTE_PGM_RSRC3_GFX90A:TG_SPLIT: 0
	.section	.text._ZN7rocprim6detail25device_scan_by_key_kernelILNS0_25lookback_scan_determinismE0ELb0ENS0_26wrapped_scan_by_key_configINS_14default_configEi12hip_bfloat16EEPiN6hipcub22TransformInputIteratorIS5_NS8_6CastOpIS5_EEPS5_lEESC_S5_NS8_8EqualityENS8_3MaxENS0_19lookback_scan_stateINS_5tupleIJS5_bEEELb1ELb1EEES5_EEvT2_T3_T4_T5_T6_T7_T8_mmmPKNSH_IJT9_bEEE,"axG",@progbits,_ZN7rocprim6detail25device_scan_by_key_kernelILNS0_25lookback_scan_determinismE0ELb0ENS0_26wrapped_scan_by_key_configINS_14default_configEi12hip_bfloat16EEPiN6hipcub22TransformInputIteratorIS5_NS8_6CastOpIS5_EEPS5_lEESC_S5_NS8_8EqualityENS8_3MaxENS0_19lookback_scan_stateINS_5tupleIJS5_bEEELb1ELb1EEES5_EEvT2_T3_T4_T5_T6_T7_T8_mmmPKNSH_IJT9_bEEE,comdat
	.protected	_ZN7rocprim6detail25device_scan_by_key_kernelILNS0_25lookback_scan_determinismE0ELb0ENS0_26wrapped_scan_by_key_configINS_14default_configEi12hip_bfloat16EEPiN6hipcub22TransformInputIteratorIS5_NS8_6CastOpIS5_EEPS5_lEESC_S5_NS8_8EqualityENS8_3MaxENS0_19lookback_scan_stateINS_5tupleIJS5_bEEELb1ELb1EEES5_EEvT2_T3_T4_T5_T6_T7_T8_mmmPKNSH_IJT9_bEEE ; -- Begin function _ZN7rocprim6detail25device_scan_by_key_kernelILNS0_25lookback_scan_determinismE0ELb0ENS0_26wrapped_scan_by_key_configINS_14default_configEi12hip_bfloat16EEPiN6hipcub22TransformInputIteratorIS5_NS8_6CastOpIS5_EEPS5_lEESC_S5_NS8_8EqualityENS8_3MaxENS0_19lookback_scan_stateINS_5tupleIJS5_bEEELb1ELb1EEES5_EEvT2_T3_T4_T5_T6_T7_T8_mmmPKNSH_IJT9_bEEE
	.globl	_ZN7rocprim6detail25device_scan_by_key_kernelILNS0_25lookback_scan_determinismE0ELb0ENS0_26wrapped_scan_by_key_configINS_14default_configEi12hip_bfloat16EEPiN6hipcub22TransformInputIteratorIS5_NS8_6CastOpIS5_EEPS5_lEESC_S5_NS8_8EqualityENS8_3MaxENS0_19lookback_scan_stateINS_5tupleIJS5_bEEELb1ELb1EEES5_EEvT2_T3_T4_T5_T6_T7_T8_mmmPKNSH_IJT9_bEEE
	.p2align	8
	.type	_ZN7rocprim6detail25device_scan_by_key_kernelILNS0_25lookback_scan_determinismE0ELb0ENS0_26wrapped_scan_by_key_configINS_14default_configEi12hip_bfloat16EEPiN6hipcub22TransformInputIteratorIS5_NS8_6CastOpIS5_EEPS5_lEESC_S5_NS8_8EqualityENS8_3MaxENS0_19lookback_scan_stateINS_5tupleIJS5_bEEELb1ELb1EEES5_EEvT2_T3_T4_T5_T6_T7_T8_mmmPKNSH_IJT9_bEEE,@function
_ZN7rocprim6detail25device_scan_by_key_kernelILNS0_25lookback_scan_determinismE0ELb0ENS0_26wrapped_scan_by_key_configINS_14default_configEi12hip_bfloat16EEPiN6hipcub22TransformInputIteratorIS5_NS8_6CastOpIS5_EEPS5_lEESC_S5_NS8_8EqualityENS8_3MaxENS0_19lookback_scan_stateINS_5tupleIJS5_bEEELb1ELb1EEES5_EEvT2_T3_T4_T5_T6_T7_T8_mmmPKNSH_IJT9_bEEE: ; @_ZN7rocprim6detail25device_scan_by_key_kernelILNS0_25lookback_scan_determinismE0ELb0ENS0_26wrapped_scan_by_key_configINS_14default_configEi12hip_bfloat16EEPiN6hipcub22TransformInputIteratorIS5_NS8_6CastOpIS5_EEPS5_lEESC_S5_NS8_8EqualityENS8_3MaxENS0_19lookback_scan_stateINS_5tupleIJS5_bEEELb1ELb1EEES5_EEvT2_T3_T4_T5_T6_T7_T8_mmmPKNSH_IJT9_bEEE
; %bb.0:
	s_endpgm
	.section	.rodata,"a",@progbits
	.p2align	6, 0x0
	.amdhsa_kernel _ZN7rocprim6detail25device_scan_by_key_kernelILNS0_25lookback_scan_determinismE0ELb0ENS0_26wrapped_scan_by_key_configINS_14default_configEi12hip_bfloat16EEPiN6hipcub22TransformInputIteratorIS5_NS8_6CastOpIS5_EEPS5_lEESC_S5_NS8_8EqualityENS8_3MaxENS0_19lookback_scan_stateINS_5tupleIJS5_bEEELb1ELb1EEES5_EEvT2_T3_T4_T5_T6_T7_T8_mmmPKNSH_IJT9_bEEE
		.amdhsa_group_segment_fixed_size 0
		.amdhsa_private_segment_fixed_size 0
		.amdhsa_kernarg_size 80
		.amdhsa_user_sgpr_count 6
		.amdhsa_user_sgpr_private_segment_buffer 1
		.amdhsa_user_sgpr_dispatch_ptr 0
		.amdhsa_user_sgpr_queue_ptr 0
		.amdhsa_user_sgpr_kernarg_segment_ptr 1
		.amdhsa_user_sgpr_dispatch_id 0
		.amdhsa_user_sgpr_flat_scratch_init 0
		.amdhsa_user_sgpr_kernarg_preload_length 0
		.amdhsa_user_sgpr_kernarg_preload_offset 0
		.amdhsa_user_sgpr_private_segment_size 0
		.amdhsa_uses_dynamic_stack 0
		.amdhsa_system_sgpr_private_segment_wavefront_offset 0
		.amdhsa_system_sgpr_workgroup_id_x 1
		.amdhsa_system_sgpr_workgroup_id_y 0
		.amdhsa_system_sgpr_workgroup_id_z 0
		.amdhsa_system_sgpr_workgroup_info 0
		.amdhsa_system_vgpr_workitem_id 0
		.amdhsa_next_free_vgpr 1
		.amdhsa_next_free_sgpr 0
		.amdhsa_accum_offset 4
		.amdhsa_reserve_vcc 0
		.amdhsa_reserve_flat_scratch 0
		.amdhsa_float_round_mode_32 0
		.amdhsa_float_round_mode_16_64 0
		.amdhsa_float_denorm_mode_32 3
		.amdhsa_float_denorm_mode_16_64 3
		.amdhsa_dx10_clamp 1
		.amdhsa_ieee_mode 1
		.amdhsa_fp16_overflow 0
		.amdhsa_tg_split 0
		.amdhsa_exception_fp_ieee_invalid_op 0
		.amdhsa_exception_fp_denorm_src 0
		.amdhsa_exception_fp_ieee_div_zero 0
		.amdhsa_exception_fp_ieee_overflow 0
		.amdhsa_exception_fp_ieee_underflow 0
		.amdhsa_exception_fp_ieee_inexact 0
		.amdhsa_exception_int_div_zero 0
	.end_amdhsa_kernel
	.section	.text._ZN7rocprim6detail25device_scan_by_key_kernelILNS0_25lookback_scan_determinismE0ELb0ENS0_26wrapped_scan_by_key_configINS_14default_configEi12hip_bfloat16EEPiN6hipcub22TransformInputIteratorIS5_NS8_6CastOpIS5_EEPS5_lEESC_S5_NS8_8EqualityENS8_3MaxENS0_19lookback_scan_stateINS_5tupleIJS5_bEEELb1ELb1EEES5_EEvT2_T3_T4_T5_T6_T7_T8_mmmPKNSH_IJT9_bEEE,"axG",@progbits,_ZN7rocprim6detail25device_scan_by_key_kernelILNS0_25lookback_scan_determinismE0ELb0ENS0_26wrapped_scan_by_key_configINS_14default_configEi12hip_bfloat16EEPiN6hipcub22TransformInputIteratorIS5_NS8_6CastOpIS5_EEPS5_lEESC_S5_NS8_8EqualityENS8_3MaxENS0_19lookback_scan_stateINS_5tupleIJS5_bEEELb1ELb1EEES5_EEvT2_T3_T4_T5_T6_T7_T8_mmmPKNSH_IJT9_bEEE,comdat
.Lfunc_end53:
	.size	_ZN7rocprim6detail25device_scan_by_key_kernelILNS0_25lookback_scan_determinismE0ELb0ENS0_26wrapped_scan_by_key_configINS_14default_configEi12hip_bfloat16EEPiN6hipcub22TransformInputIteratorIS5_NS8_6CastOpIS5_EEPS5_lEESC_S5_NS8_8EqualityENS8_3MaxENS0_19lookback_scan_stateINS_5tupleIJS5_bEEELb1ELb1EEES5_EEvT2_T3_T4_T5_T6_T7_T8_mmmPKNSH_IJT9_bEEE, .Lfunc_end53-_ZN7rocprim6detail25device_scan_by_key_kernelILNS0_25lookback_scan_determinismE0ELb0ENS0_26wrapped_scan_by_key_configINS_14default_configEi12hip_bfloat16EEPiN6hipcub22TransformInputIteratorIS5_NS8_6CastOpIS5_EEPS5_lEESC_S5_NS8_8EqualityENS8_3MaxENS0_19lookback_scan_stateINS_5tupleIJS5_bEEELb1ELb1EEES5_EEvT2_T3_T4_T5_T6_T7_T8_mmmPKNSH_IJT9_bEEE
                                        ; -- End function
	.section	.AMDGPU.csdata,"",@progbits
; Kernel info:
; codeLenInByte = 4
; NumSgprs: 4
; NumVgprs: 0
; NumAgprs: 0
; TotalNumVgprs: 0
; ScratchSize: 0
; MemoryBound: 0
; FloatMode: 240
; IeeeMode: 1
; LDSByteSize: 0 bytes/workgroup (compile time only)
; SGPRBlocks: 0
; VGPRBlocks: 0
; NumSGPRsForWavesPerEU: 4
; NumVGPRsForWavesPerEU: 1
; AccumOffset: 4
; Occupancy: 8
; WaveLimiterHint : 0
; COMPUTE_PGM_RSRC2:SCRATCH_EN: 0
; COMPUTE_PGM_RSRC2:USER_SGPR: 6
; COMPUTE_PGM_RSRC2:TRAP_HANDLER: 0
; COMPUTE_PGM_RSRC2:TGID_X_EN: 1
; COMPUTE_PGM_RSRC2:TGID_Y_EN: 0
; COMPUTE_PGM_RSRC2:TGID_Z_EN: 0
; COMPUTE_PGM_RSRC2:TIDIG_COMP_CNT: 0
; COMPUTE_PGM_RSRC3_GFX90A:ACCUM_OFFSET: 0
; COMPUTE_PGM_RSRC3_GFX90A:TG_SPLIT: 0
	.section	.text._ZN7rocprim6detail25device_scan_by_key_kernelILNS0_25lookback_scan_determinismE0ELb0ENS0_26wrapped_scan_by_key_configINS_14default_configEi12hip_bfloat16EEPiN6hipcub22TransformInputIteratorIS5_NS8_6CastOpIS5_EEPS5_lEESC_S5_NS8_8EqualityENS8_3MaxENS0_19lookback_scan_stateINS_5tupleIJS5_bEEELb0ELb1EEES5_EEvT2_T3_T4_T5_T6_T7_T8_mmmPKNSH_IJT9_bEEE,"axG",@progbits,_ZN7rocprim6detail25device_scan_by_key_kernelILNS0_25lookback_scan_determinismE0ELb0ENS0_26wrapped_scan_by_key_configINS_14default_configEi12hip_bfloat16EEPiN6hipcub22TransformInputIteratorIS5_NS8_6CastOpIS5_EEPS5_lEESC_S5_NS8_8EqualityENS8_3MaxENS0_19lookback_scan_stateINS_5tupleIJS5_bEEELb0ELb1EEES5_EEvT2_T3_T4_T5_T6_T7_T8_mmmPKNSH_IJT9_bEEE,comdat
	.protected	_ZN7rocprim6detail25device_scan_by_key_kernelILNS0_25lookback_scan_determinismE0ELb0ENS0_26wrapped_scan_by_key_configINS_14default_configEi12hip_bfloat16EEPiN6hipcub22TransformInputIteratorIS5_NS8_6CastOpIS5_EEPS5_lEESC_S5_NS8_8EqualityENS8_3MaxENS0_19lookback_scan_stateINS_5tupleIJS5_bEEELb0ELb1EEES5_EEvT2_T3_T4_T5_T6_T7_T8_mmmPKNSH_IJT9_bEEE ; -- Begin function _ZN7rocprim6detail25device_scan_by_key_kernelILNS0_25lookback_scan_determinismE0ELb0ENS0_26wrapped_scan_by_key_configINS_14default_configEi12hip_bfloat16EEPiN6hipcub22TransformInputIteratorIS5_NS8_6CastOpIS5_EEPS5_lEESC_S5_NS8_8EqualityENS8_3MaxENS0_19lookback_scan_stateINS_5tupleIJS5_bEEELb0ELb1EEES5_EEvT2_T3_T4_T5_T6_T7_T8_mmmPKNSH_IJT9_bEEE
	.globl	_ZN7rocprim6detail25device_scan_by_key_kernelILNS0_25lookback_scan_determinismE0ELb0ENS0_26wrapped_scan_by_key_configINS_14default_configEi12hip_bfloat16EEPiN6hipcub22TransformInputIteratorIS5_NS8_6CastOpIS5_EEPS5_lEESC_S5_NS8_8EqualityENS8_3MaxENS0_19lookback_scan_stateINS_5tupleIJS5_bEEELb0ELb1EEES5_EEvT2_T3_T4_T5_T6_T7_T8_mmmPKNSH_IJT9_bEEE
	.p2align	8
	.type	_ZN7rocprim6detail25device_scan_by_key_kernelILNS0_25lookback_scan_determinismE0ELb0ENS0_26wrapped_scan_by_key_configINS_14default_configEi12hip_bfloat16EEPiN6hipcub22TransformInputIteratorIS5_NS8_6CastOpIS5_EEPS5_lEESC_S5_NS8_8EqualityENS8_3MaxENS0_19lookback_scan_stateINS_5tupleIJS5_bEEELb0ELb1EEES5_EEvT2_T3_T4_T5_T6_T7_T8_mmmPKNSH_IJT9_bEEE,@function
_ZN7rocprim6detail25device_scan_by_key_kernelILNS0_25lookback_scan_determinismE0ELb0ENS0_26wrapped_scan_by_key_configINS_14default_configEi12hip_bfloat16EEPiN6hipcub22TransformInputIteratorIS5_NS8_6CastOpIS5_EEPS5_lEESC_S5_NS8_8EqualityENS8_3MaxENS0_19lookback_scan_stateINS_5tupleIJS5_bEEELb0ELb1EEES5_EEvT2_T3_T4_T5_T6_T7_T8_mmmPKNSH_IJT9_bEEE: ; @_ZN7rocprim6detail25device_scan_by_key_kernelILNS0_25lookback_scan_determinismE0ELb0ENS0_26wrapped_scan_by_key_configINS_14default_configEi12hip_bfloat16EEPiN6hipcub22TransformInputIteratorIS5_NS8_6CastOpIS5_EEPS5_lEESC_S5_NS8_8EqualityENS8_3MaxENS0_19lookback_scan_stateINS_5tupleIJS5_bEEELb0ELb1EEES5_EEvT2_T3_T4_T5_T6_T7_T8_mmmPKNSH_IJT9_bEEE
; %bb.0:
	s_load_dwordx4 s[0:3], s[4:5], 0x0
	s_load_dwordx8 s[60:67], s[4:5], 0x28
	s_load_dwordx2 s[56:57], s[4:5], 0x48
	s_mul_i32 s8, s6, 0x600
	s_mov_b32 s9, 0
	s_lshl_b64 s[10:11], s[8:9], 2
	s_waitcnt lgkmcnt(0)
	s_add_u32 s70, s0, s10
	s_addc_u32 s71, s1, s11
	s_lshl_b64 s[68:69], s[8:9], 1
	s_add_u32 s58, s2, s68
	s_addc_u32 s59, s3, s69
	s_add_u32 s0, s6, s64
	s_addc_u32 s1, 0, s65
	s_add_u32 s2, s66, -1
	s_addc_u32 s3, s67, -1
	v_pk_mov_b32 v[2:3], s[2:3], s[2:3] op_sel:[0,1]
	v_cmp_ge_u64_e64 s[0:1], s[0:1], v[2:3]
	s_mov_b64 s[34:35], -1
	s_and_b64 vcc, exec, s[0:1]
	s_mul_i32 s33, s2, 0xfffffa00
	v_lshlrev_b32_e32 v52, 2, v0
	s_cbranch_vccz .LBB54_124
; %bb.1:
	s_load_dword s63, s[70:71], 0x0
	s_add_i32 s7, s33, s62
	v_mov_b32_e32 v1, s71
	v_add_co_u32_e32 v2, vcc, s70, v52
	v_addc_co_u32_e32 v3, vcc, 0, v1, vcc
	v_cmp_gt_u32_e64 s[2:3], s7, v0
	s_waitcnt lgkmcnt(0)
	v_mov_b32_e32 v1, s63
	s_and_saveexec_b64 s[8:9], s[2:3]
	s_cbranch_execz .LBB54_3
; %bb.2:
	global_load_dword v1, v[2:3], off
.LBB54_3:
	s_or_b64 exec, exec, s[8:9]
	v_or_b32_e32 v4, 64, v0
	v_cmp_gt_u32_e64 s[54:55], s7, v4
	v_mov_b32_e32 v4, s63
	s_and_saveexec_b64 s[8:9], s[54:55]
	s_cbranch_execz .LBB54_5
; %bb.4:
	global_load_dword v4, v[2:3], off offset:256
.LBB54_5:
	s_or_b64 exec, exec, s[8:9]
	v_or_b32_e32 v5, 0x80, v0
	v_cmp_gt_u32_e64 s[8:9], s7, v5
	v_mov_b32_e32 v5, s63
	s_and_saveexec_b64 s[10:11], s[8:9]
	s_cbranch_execz .LBB54_7
; %bb.6:
	global_load_dword v5, v[2:3], off offset:512
.LBB54_7:
	;; [unrolled: 9-line block ×15, first 2 shown]
	s_or_b64 exec, exec, s[38:39]
	v_or_b32_e32 v19, 0x400, v0
	v_cmp_gt_u32_e64 s[38:39], s7, v19
	v_mov_b32_e32 v19, s63
	s_and_saveexec_b64 s[40:41], s[38:39]
	s_cbranch_execz .LBB54_35
; %bb.34:
	v_add_co_u32_e32 v20, vcc, 0x1000, v2
	v_addc_co_u32_e32 v21, vcc, 0, v3, vcc
	global_load_dword v19, v[20:21], off
.LBB54_35:
	s_or_b64 exec, exec, s[40:41]
	v_or_b32_e32 v20, 0x440, v0
	v_cmp_gt_u32_e64 s[40:41], s7, v20
	v_mov_b32_e32 v20, s63
	s_and_saveexec_b64 s[42:43], s[40:41]
	s_cbranch_execz .LBB54_37
; %bb.36:
	v_add_co_u32_e32 v20, vcc, 0x1000, v2
	v_addc_co_u32_e32 v21, vcc, 0, v3, vcc
	global_load_dword v20, v[20:21], off offset:256
.LBB54_37:
	s_or_b64 exec, exec, s[42:43]
	v_or_b32_e32 v21, 0x480, v0
	v_cmp_gt_u32_e64 s[42:43], s7, v21
	v_mov_b32_e32 v21, s63
	s_and_saveexec_b64 s[44:45], s[42:43]
	s_cbranch_execz .LBB54_39
; %bb.38:
	v_add_co_u32_e32 v22, vcc, 0x1000, v2
	v_addc_co_u32_e32 v23, vcc, 0, v3, vcc
	global_load_dword v21, v[22:23], off offset:512
.LBB54_39:
	;; [unrolled: 11-line block ×7, first 2 shown]
	s_or_b64 exec, exec, s[66:67]
	s_sub_u32 s66, 0, s6
	s_subb_u32 s67, 0, 0
	s_cmp_eq_u64 s[66:67], s[64:65]
	s_movk_i32 s63, 0x5c
	s_cselect_b32 s66, 0, -4
	s_waitcnt vmcnt(0)
	ds_write2st64_b32 v52, v1, v4 offset1:1
	ds_write2st64_b32 v52, v5, v6 offset0:2 offset1:3
	ds_write2st64_b32 v52, v7, v8 offset0:4 offset1:5
	;; [unrolled: 1-line block ×11, first 2 shown]
	v_mad_u32_u24 v1, v0, s63, v52
	s_cselect_b32 s63, 0, -1
	s_add_u32 s66, s70, s66
	s_addc_u32 s67, s71, s63
	s_waitcnt lgkmcnt(0)
	; wave barrier
	s_waitcnt lgkmcnt(0)
	ds_read_b128 v[42:45], v1
	ds_read_b128 v[38:41], v1 offset:16
	ds_read_b128 v[34:37], v1 offset:32
	;; [unrolled: 1-line block ×5, first 2 shown]
	s_load_dword s63, s[66:67], 0x0
	s_movk_i32 s66, 0xffa4
	v_mad_i32_i24 v1, v0, s66, v1
	v_cmp_ne_u32_e32 vcc, 0, v0
	s_waitcnt lgkmcnt(0)
	ds_write_b32 v1, v25 offset:6144
	v_mov_b32_e32 v46, s63
	s_waitcnt lgkmcnt(0)
	; wave barrier
	s_waitcnt lgkmcnt(0)
	s_and_saveexec_b64 s[66:67], vcc
	s_cbranch_execz .LBB54_51
; %bb.50:
	ds_read_b32 v46, v1 offset:6140
.LBB54_51:
	s_or_b64 exec, exec, s[66:67]
	v_lshlrev_b32_e32 v4, 1, v0
	v_mov_b32_e32 v3, s59
	v_add_co_u32_e32 v2, vcc, s58, v4
	v_addc_co_u32_e32 v3, vcc, 0, v3, vcc
	s_waitcnt lgkmcnt(0)
	; wave barrier
	s_waitcnt lgkmcnt(0)
                                        ; implicit-def: $vgpr5
	s_and_saveexec_b64 s[66:67], s[2:3]
	s_cbranch_execz .LBB54_191
; %bb.52:
	global_load_ushort v5, v[2:3], off
	s_or_b64 exec, exec, s[66:67]
                                        ; implicit-def: $vgpr6
	s_and_saveexec_b64 s[2:3], s[54:55]
	s_cbranch_execnz .LBB54_192
.LBB54_53:
	s_or_b64 exec, exec, s[2:3]
                                        ; implicit-def: $vgpr7
	s_and_saveexec_b64 s[2:3], s[8:9]
	s_cbranch_execz .LBB54_193
.LBB54_54:
	global_load_ushort v7, v[2:3], off offset:256
	s_or_b64 exec, exec, s[2:3]
                                        ; implicit-def: $vgpr8
	s_and_saveexec_b64 s[2:3], s[10:11]
	s_cbranch_execnz .LBB54_194
.LBB54_55:
	s_or_b64 exec, exec, s[2:3]
                                        ; implicit-def: $vgpr9
	s_and_saveexec_b64 s[2:3], s[12:13]
	s_cbranch_execz .LBB54_195
.LBB54_56:
	global_load_ushort v9, v[2:3], off offset:512
	s_or_b64 exec, exec, s[2:3]
                                        ; implicit-def: $vgpr10
	s_and_saveexec_b64 s[2:3], s[14:15]
	s_cbranch_execnz .LBB54_196
.LBB54_57:
	s_or_b64 exec, exec, s[2:3]
                                        ; implicit-def: $vgpr11
	s_and_saveexec_b64 s[2:3], s[16:17]
	s_cbranch_execz .LBB54_197
.LBB54_58:
	global_load_ushort v11, v[2:3], off offset:768
	s_or_b64 exec, exec, s[2:3]
                                        ; implicit-def: $vgpr12
	s_and_saveexec_b64 s[2:3], s[18:19]
	s_cbranch_execnz .LBB54_198
.LBB54_59:
	s_or_b64 exec, exec, s[2:3]
                                        ; implicit-def: $vgpr13
	s_and_saveexec_b64 s[2:3], s[20:21]
	s_cbranch_execz .LBB54_199
.LBB54_60:
	global_load_ushort v13, v[2:3], off offset:1024
	s_or_b64 exec, exec, s[2:3]
                                        ; implicit-def: $vgpr14
	s_and_saveexec_b64 s[2:3], s[22:23]
	s_cbranch_execnz .LBB54_200
.LBB54_61:
	s_or_b64 exec, exec, s[2:3]
                                        ; implicit-def: $vgpr15
	s_and_saveexec_b64 s[2:3], s[24:25]
	s_cbranch_execz .LBB54_201
.LBB54_62:
	global_load_ushort v15, v[2:3], off offset:1280
	s_or_b64 exec, exec, s[2:3]
                                        ; implicit-def: $vgpr16
	s_and_saveexec_b64 s[2:3], s[26:27]
	s_cbranch_execnz .LBB54_202
.LBB54_63:
	s_or_b64 exec, exec, s[2:3]
                                        ; implicit-def: $vgpr17
	s_and_saveexec_b64 s[2:3], s[28:29]
	s_cbranch_execz .LBB54_203
.LBB54_64:
	global_load_ushort v17, v[2:3], off offset:1536
	s_or_b64 exec, exec, s[2:3]
                                        ; implicit-def: $vgpr18
	s_and_saveexec_b64 s[2:3], s[30:31]
	s_cbranch_execnz .LBB54_204
.LBB54_65:
	s_or_b64 exec, exec, s[2:3]
                                        ; implicit-def: $vgpr19
	s_and_saveexec_b64 s[2:3], s[34:35]
	s_cbranch_execz .LBB54_205
.LBB54_66:
	global_load_ushort v19, v[2:3], off offset:1792
	s_or_b64 exec, exec, s[2:3]
                                        ; implicit-def: $vgpr20
	s_and_saveexec_b64 s[2:3], s[36:37]
	s_cbranch_execnz .LBB54_206
.LBB54_67:
	s_or_b64 exec, exec, s[2:3]
                                        ; implicit-def: $vgpr21
	s_and_saveexec_b64 s[2:3], s[38:39]
	s_cbranch_execz .LBB54_207
.LBB54_68:
	global_load_ushort v21, v[2:3], off offset:2048
	s_or_b64 exec, exec, s[2:3]
                                        ; implicit-def: $vgpr48
	s_and_saveexec_b64 s[2:3], s[40:41]
	s_cbranch_execnz .LBB54_208
.LBB54_69:
	s_or_b64 exec, exec, s[2:3]
                                        ; implicit-def: $vgpr49
	s_and_saveexec_b64 s[2:3], s[42:43]
	s_cbranch_execz .LBB54_209
.LBB54_70:
	global_load_ushort v49, v[2:3], off offset:2304
	s_or_b64 exec, exec, s[2:3]
                                        ; implicit-def: $vgpr50
	s_and_saveexec_b64 s[2:3], s[44:45]
	s_cbranch_execnz .LBB54_210
.LBB54_71:
	s_or_b64 exec, exec, s[2:3]
                                        ; implicit-def: $vgpr51
	s_and_saveexec_b64 s[2:3], s[46:47]
	s_cbranch_execz .LBB54_211
.LBB54_72:
	global_load_ushort v51, v[2:3], off offset:2560
	s_or_b64 exec, exec, s[2:3]
                                        ; implicit-def: $vgpr53
	s_and_saveexec_b64 s[2:3], s[48:49]
	s_cbranch_execnz .LBB54_212
.LBB54_73:
	s_or_b64 exec, exec, s[2:3]
                                        ; implicit-def: $vgpr55
	s_and_saveexec_b64 s[2:3], s[50:51]
	s_cbranch_execz .LBB54_75
.LBB54_74:
	global_load_ushort v55, v[2:3], off offset:2816
.LBB54_75:
	s_or_b64 exec, exec, s[2:3]
	v_mul_u32_u24_e32 v54, 24, v0
                                        ; implicit-def: $vgpr56
	s_and_saveexec_b64 s[2:3], s[52:53]
	s_cbranch_execz .LBB54_77
; %bb.76:
	global_load_ushort v56, v[2:3], off offset:2944
.LBB54_77:
	s_or_b64 exec, exec, s[2:3]
	s_mov_b32 s8, 0
	v_sub_u32_e32 v47, v1, v4
	s_mov_b32 s9, s8
	s_mov_b32 s24, s8
	;; [unrolled: 1-line block ×3, first 2 shown]
	s_waitcnt vmcnt(0)
	ds_write_b16 v47, v5
	ds_write_b16 v47, v6 offset:128
	ds_write_b16 v47, v7 offset:256
	;; [unrolled: 1-line block ×23, first 2 shown]
	s_mov_b32 s10, s8
	s_mov_b32 s11, s8
	;; [unrolled: 1-line block ×18, first 2 shown]
	v_pk_mov_b32 v[18:19], s[24:25], s[24:25] op_sel:[0,1]
	v_pk_mov_b32 v[2:3], s[8:9], s[8:9] op_sel:[0,1]
	v_cmp_gt_u32_e32 vcc, s7, v54
	s_mov_b64 s[34:35], 0
	v_pk_mov_b32 v[50:51], s[2:3], s[2:3] op_sel:[0,1]
	v_pk_mov_b32 v[20:21], s[26:27], s[26:27] op_sel:[0,1]
	;; [unrolled: 1-line block ×9, first 2 shown]
	v_mov_b32_e32 v1, 0
	s_mov_b64 s[14:15], 0
	s_waitcnt lgkmcnt(0)
	; wave barrier
	s_waitcnt lgkmcnt(0)
                                        ; implicit-def: $sgpr12_sgpr13
                                        ; implicit-def: $vgpr53
	s_and_saveexec_b64 s[10:11], vcc
	s_cbranch_execz .LBB54_123
; %bb.78:
	v_mad_u32_u24 v1, v0, 46, v47
	ds_read_u16 v1, v1
	s_waitcnt lgkmcnt(14)
	v_cmp_ne_u32_e32 vcc, v46, v42
	s_mov_b32 s12, 0
	v_or_b32_e32 v2, 1, v54
	v_cndmask_b32_e64 v3, 0, 1, vcc
	s_mov_b32 s13, s12
	s_mov_b32 s28, s12
	;; [unrolled: 1-line block ×3, first 2 shown]
	v_cmp_gt_u32_e32 vcc, s7, v2
	s_waitcnt lgkmcnt(0)
	v_lshl_or_b32 v50, v3, 16, v1
	v_mov_b32_e32 v51, 0
	s_mov_b32 s14, s12
	s_mov_b32 s15, s12
	s_mov_b32 s16, s12
	s_mov_b32 s17, s12
	s_mov_b32 s18, s12
	s_mov_b32 s19, s12
	s_mov_b32 s20, s12
	s_mov_b32 s21, s12
	s_mov_b32 s22, s12
	s_mov_b32 s23, s12
	s_mov_b32 s24, s12
	s_mov_b32 s25, s12
	s_mov_b32 s26, s12
	s_mov_b32 s27, s12
	s_mov_b32 s30, s12
	s_mov_b32 s31, s12
	v_pk_mov_b32 v[18:19], s[28:29], s[28:29] op_sel:[0,1]
	v_pk_mov_b32 v[2:3], s[12:13], s[12:13] op_sel:[0,1]
	s_mov_b64 s[2:3], 0
	v_pk_mov_b32 v[20:21], s[30:31], s[30:31] op_sel:[0,1]
	v_pk_mov_b32 v[4:5], s[14:15], s[14:15] op_sel:[0,1]
	;; [unrolled: 1-line block ×8, first 2 shown]
	v_mov_b32_e32 v1, v51
                                        ; implicit-def: $sgpr38_sgpr39
                                        ; implicit-def: $vgpr53
	s_and_saveexec_b64 s[36:37], vcc
	s_cbranch_execz .LBB54_122
; %bb.79:
	v_mul_u32_u24_e32 v1, 46, v0
	v_add_u32_e32 v55, v47, v1
	ds_read_b128 v[46:49], v55 offset:2
	v_or_b32_e32 v1, 2, v54
	v_cmp_ne_u32_e32 vcc, v42, v43
	v_cndmask_b32_e64 v2, 0, 1, vcc
	v_cmp_gt_u32_e32 vcc, s7, v1
	s_waitcnt lgkmcnt(0)
	v_and_b32_e32 v1, 0xffff, v46
	v_lshl_or_b32 v51, v2, 16, v1
	v_pk_mov_b32 v[18:19], s[28:29], s[28:29] op_sel:[0,1]
	v_pk_mov_b32 v[2:3], s[12:13], s[12:13] op_sel:[0,1]
	;; [unrolled: 1-line block ×10, first 2 shown]
	v_mov_b32_e32 v1, 0
                                        ; implicit-def: $sgpr12_sgpr13
                                        ; implicit-def: $vgpr53
	s_and_saveexec_b64 s[28:29], vcc
	s_cbranch_execz .LBB54_121
; %bb.80:
	s_mov_b32 s12, 0
	v_or_b32_e32 v2, 3, v54
	v_cmp_ne_u32_e32 vcc, v43, v44
	s_mov_b32 s13, s12
	s_mov_b32 s40, s12
	;; [unrolled: 1-line block ×3, first 2 shown]
	v_cndmask_b32_e64 v1, 0, 1, vcc
	v_cmp_gt_u32_e32 vcc, s7, v2
	s_mov_b32 s14, s12
	s_mov_b32 s15, s12
	;; [unrolled: 1-line block ×16, first 2 shown]
	v_pk_mov_b32 v[18:19], s[40:41], s[40:41] op_sel:[0,1]
	v_pk_mov_b32 v[2:3], s[12:13], s[12:13] op_sel:[0,1]
	v_alignbit_b32 v1, v1, v46, 16
	v_pk_mov_b32 v[20:21], s[42:43], s[42:43] op_sel:[0,1]
	v_pk_mov_b32 v[4:5], s[14:15], s[14:15] op_sel:[0,1]
	;; [unrolled: 1-line block ×8, first 2 shown]
                                        ; implicit-def: $sgpr38_sgpr39
                                        ; implicit-def: $vgpr53
	s_and_saveexec_b64 s[30:31], vcc
	s_cbranch_execz .LBB54_120
; %bb.81:
	v_cmp_ne_u32_e32 vcc, v44, v45
	v_and_b32_e32 v2, 0xffff, v47
	v_or_b32_e32 v3, 4, v54
	v_cndmask_b32_e64 v4, 0, 1, vcc
	v_lshl_or_b32 v18, v4, 16, v2
	v_cmp_gt_u32_e32 vcc, s7, v3
	v_mov_b32_e32 v20, 0
	v_pk_mov_b32 v[2:3], s[12:13], s[12:13] op_sel:[0,1]
	v_mov_b32_e32 v19, v20
	v_mov_b32_e32 v21, v20
	v_pk_mov_b32 v[4:5], s[14:15], s[14:15] op_sel:[0,1]
	v_pk_mov_b32 v[6:7], s[16:17], s[16:17] op_sel:[0,1]
	;; [unrolled: 1-line block ×7, first 2 shown]
                                        ; implicit-def: $sgpr12_sgpr13
                                        ; implicit-def: $vgpr53
	s_and_saveexec_b64 s[38:39], vcc
	s_cbranch_execz .LBB54_119
; %bb.82:
	v_cmp_ne_u32_e32 vcc, v45, v38
	s_mov_b32 s12, 0
	v_or_b32_e32 v2, 5, v54
	v_cndmask_b32_e64 v3, 0, 1, vcc
	s_mov_b32 s13, s12
	v_alignbit_b32 v19, v3, v47, 16
	v_cmp_gt_u32_e32 vcc, s7, v2
	s_mov_b32 s14, s12
	s_mov_b32 s15, s12
	;; [unrolled: 1-line block ×14, first 2 shown]
	v_pk_mov_b32 v[2:3], s[12:13], s[12:13] op_sel:[0,1]
	v_mov_b32_e32 v21, v20
	v_pk_mov_b32 v[4:5], s[14:15], s[14:15] op_sel:[0,1]
	v_pk_mov_b32 v[6:7], s[16:17], s[16:17] op_sel:[0,1]
	;; [unrolled: 1-line block ×7, first 2 shown]
                                        ; implicit-def: $sgpr42_sgpr43
                                        ; implicit-def: $vgpr53
	s_and_saveexec_b64 s[40:41], vcc
	s_cbranch_execz .LBB54_118
; %bb.83:
	v_cmp_ne_u32_e32 vcc, v38, v39
	v_and_b32_e32 v2, 0xffff, v48
	v_or_b32_e32 v3, 6, v54
	v_cndmask_b32_e64 v4, 0, 1, vcc
	v_lshl_or_b32 v20, v4, 16, v2
	v_cmp_gt_u32_e32 vcc, s7, v3
	v_pk_mov_b32 v[2:3], s[12:13], s[12:13] op_sel:[0,1]
	v_mov_b32_e32 v21, s12
	v_pk_mov_b32 v[4:5], s[14:15], s[14:15] op_sel:[0,1]
	v_pk_mov_b32 v[6:7], s[16:17], s[16:17] op_sel:[0,1]
	v_pk_mov_b32 v[8:9], s[18:19], s[18:19] op_sel:[0,1]
	v_pk_mov_b32 v[10:11], s[20:21], s[20:21] op_sel:[0,1]
	v_pk_mov_b32 v[12:13], s[22:23], s[22:23] op_sel:[0,1]
	v_pk_mov_b32 v[14:15], s[24:25], s[24:25] op_sel:[0,1]
	v_pk_mov_b32 v[16:17], s[26:27], s[26:27] op_sel:[0,1]
                                        ; implicit-def: $sgpr12_sgpr13
                                        ; implicit-def: $vgpr53
	s_and_saveexec_b64 s[42:43], vcc
	s_cbranch_execz .LBB54_117
; %bb.84:
	v_cmp_ne_u32_e32 vcc, v39, v40
	s_mov_b32 s12, 0
	v_or_b32_e32 v2, 7, v54
	v_cndmask_b32_e64 v3, 0, 1, vcc
	s_mov_b32 s13, s12
	v_alignbit_b32 v21, v3, v48, 16
	v_cmp_gt_u32_e32 vcc, s7, v2
	s_mov_b32 s14, s12
	s_mov_b32 s15, s12
	;; [unrolled: 1-line block ×14, first 2 shown]
	v_pk_mov_b32 v[2:3], s[12:13], s[12:13] op_sel:[0,1]
	v_pk_mov_b32 v[4:5], s[14:15], s[14:15] op_sel:[0,1]
	;; [unrolled: 1-line block ×8, first 2 shown]
                                        ; implicit-def: $sgpr14_sgpr15
                                        ; implicit-def: $vgpr53
	s_and_saveexec_b64 s[12:13], vcc
	s_cbranch_execz .LBB54_116
; %bb.85:
	v_cmp_ne_u32_e32 vcc, v40, v41
	v_and_b32_e32 v2, 0xffff, v49
	v_cndmask_b32_e64 v4, 0, 1, vcc
	v_add_u32_e32 v3, 8, v54
	v_lshl_or_b32 v2, v4, 16, v2
	v_mov_b32_e32 v4, 0
	v_cmp_gt_u32_e32 vcc, s7, v3
	v_mov_b32_e32 v3, v4
	v_mov_b32_e32 v5, v4
	;; [unrolled: 1-line block ×14, first 2 shown]
                                        ; implicit-def: $sgpr16_sgpr17
                                        ; implicit-def: $vgpr53
	s_and_saveexec_b64 s[14:15], vcc
	s_cbranch_execz .LBB54_115
; %bb.86:
	v_cmp_ne_u32_e32 vcc, v41, v34
	v_add_u32_e32 v5, 9, v54
	v_cndmask_b32_e64 v3, 0, 1, vcc
	v_alignbit_b32 v3, v3, v49, 16
	v_cmp_gt_u32_e32 vcc, s7, v5
	v_mov_b32_e32 v5, v4
	v_mov_b32_e32 v6, v4
	;; [unrolled: 1-line block ×13, first 2 shown]
                                        ; implicit-def: $sgpr18_sgpr19
                                        ; implicit-def: $vgpr53
	s_and_saveexec_b64 s[16:17], vcc
	s_cbranch_execz .LBB54_114
; %bb.87:
	ds_read_b128 v[38:41], v55 offset:18
	v_add_u32_e32 v4, 10, v54
	v_cmp_ne_u32_e32 vcc, v34, v35
	v_cndmask_b32_e64 v5, 0, 1, vcc
	v_cmp_gt_u32_e32 vcc, s7, v4
	s_waitcnt lgkmcnt(0)
	v_and_b32_e32 v4, 0xffff, v38
	v_mov_b32_e32 v6, 0
	v_lshl_or_b32 v4, v5, 16, v4
	v_mov_b32_e32 v5, v6
	v_mov_b32_e32 v7, v6
	;; [unrolled: 1-line block ×12, first 2 shown]
                                        ; implicit-def: $sgpr20_sgpr21
                                        ; implicit-def: $vgpr53
	s_and_saveexec_b64 s[18:19], vcc
	s_cbranch_execz .LBB54_113
; %bb.88:
	v_cmp_ne_u32_e32 vcc, v35, v36
	v_add_u32_e32 v7, 11, v54
	v_cndmask_b32_e64 v5, 0, 1, vcc
	v_alignbit_b32 v5, v5, v38, 16
	v_cmp_gt_u32_e32 vcc, s7, v7
	v_mov_b32_e32 v7, v6
	v_mov_b32_e32 v8, v6
	;; [unrolled: 1-line block ×11, first 2 shown]
                                        ; implicit-def: $sgpr22_sgpr23
                                        ; implicit-def: $vgpr53
	s_and_saveexec_b64 s[20:21], vcc
	s_cbranch_execz .LBB54_112
; %bb.89:
	v_cmp_ne_u32_e32 vcc, v36, v37
	v_and_b32_e32 v6, 0xffff, v39
	v_cndmask_b32_e64 v8, 0, 1, vcc
	v_add_u32_e32 v7, 12, v54
	v_lshl_or_b32 v6, v8, 16, v6
	v_mov_b32_e32 v8, 0
	v_cmp_gt_u32_e32 vcc, s7, v7
	v_mov_b32_e32 v7, v8
	v_mov_b32_e32 v9, v8
	;; [unrolled: 1-line block ×10, first 2 shown]
                                        ; implicit-def: $sgpr24_sgpr25
                                        ; implicit-def: $vgpr53
	s_and_saveexec_b64 s[22:23], vcc
	s_cbranch_execz .LBB54_111
; %bb.90:
	v_cmp_ne_u32_e32 vcc, v37, v30
	v_add_u32_e32 v9, 13, v54
	v_cndmask_b32_e64 v7, 0, 1, vcc
	v_alignbit_b32 v7, v7, v39, 16
	v_cmp_gt_u32_e32 vcc, s7, v9
	v_mov_b32_e32 v9, v8
	v_mov_b32_e32 v10, v8
	;; [unrolled: 1-line block ×9, first 2 shown]
                                        ; implicit-def: $sgpr26_sgpr27
                                        ; implicit-def: $vgpr53
	s_and_saveexec_b64 s[24:25], vcc
	s_cbranch_execz .LBB54_110
; %bb.91:
	v_cmp_ne_u32_e32 vcc, v30, v31
	v_and_b32_e32 v8, 0xffff, v40
	v_cndmask_b32_e64 v10, 0, 1, vcc
	v_add_u32_e32 v9, 14, v54
	v_lshl_or_b32 v8, v10, 16, v8
	v_mov_b32_e32 v10, 0
	v_cmp_gt_u32_e32 vcc, s7, v9
	v_mov_b32_e32 v9, v10
	v_mov_b32_e32 v11, v10
	v_mov_b32_e32 v12, v10
	v_mov_b32_e32 v13, v10
	v_mov_b32_e32 v14, v10
	v_mov_b32_e32 v15, v10
	v_mov_b32_e32 v16, v10
	v_mov_b32_e32 v17, v10
                                        ; implicit-def: $sgpr44_sgpr45
                                        ; implicit-def: $vgpr53
	s_and_saveexec_b64 s[26:27], vcc
	s_cbranch_execz .LBB54_109
; %bb.92:
	v_cmp_ne_u32_e32 vcc, v31, v32
	v_add_u32_e32 v11, 15, v54
	v_cndmask_b32_e64 v9, 0, 1, vcc
	v_alignbit_b32 v9, v9, v40, 16
	v_cmp_gt_u32_e32 vcc, s7, v11
	v_mov_b32_e32 v11, v10
	v_mov_b32_e32 v12, v10
	v_mov_b32_e32 v13, v10
	v_mov_b32_e32 v14, v10
	v_mov_b32_e32 v15, v10
	v_mov_b32_e32 v16, v10
	v_mov_b32_e32 v17, v10
                                        ; implicit-def: $sgpr46_sgpr47
                                        ; implicit-def: $vgpr53
	s_and_saveexec_b64 s[44:45], vcc
	s_cbranch_execz .LBB54_108
; %bb.93:
	v_cmp_ne_u32_e32 vcc, v32, v33
	v_and_b32_e32 v10, 0xffff, v41
	v_cndmask_b32_e64 v12, 0, 1, vcc
	v_add_u32_e32 v11, 16, v54
	v_lshl_or_b32 v10, v12, 16, v10
	v_mov_b32_e32 v12, 0
	v_cmp_gt_u32_e32 vcc, s7, v11
	v_mov_b32_e32 v11, v12
	v_mov_b32_e32 v13, v12
	;; [unrolled: 1-line block ×6, first 2 shown]
                                        ; implicit-def: $sgpr48_sgpr49
                                        ; implicit-def: $vgpr53
	s_and_saveexec_b64 s[46:47], vcc
	s_cbranch_execz .LBB54_107
; %bb.94:
	v_cmp_ne_u32_e32 vcc, v33, v26
	v_add_u32_e32 v13, 17, v54
	v_cndmask_b32_e64 v11, 0, 1, vcc
	v_alignbit_b32 v11, v11, v41, 16
	v_cmp_gt_u32_e32 vcc, s7, v13
	v_mov_b32_e32 v13, v12
	v_mov_b32_e32 v14, v12
	;; [unrolled: 1-line block ×5, first 2 shown]
                                        ; implicit-def: $sgpr50_sgpr51
                                        ; implicit-def: $vgpr53
	s_and_saveexec_b64 s[48:49], vcc
	s_cbranch_execz .LBB54_106
; %bb.95:
	ds_read_b96 v[30:32], v55 offset:34
	v_add_u32_e32 v12, 18, v54
	v_cmp_ne_u32_e32 vcc, v26, v27
	v_cndmask_b32_e64 v13, 0, 1, vcc
	v_cmp_gt_u32_e32 vcc, s7, v12
	s_waitcnt lgkmcnt(0)
	v_and_b32_e32 v12, 0xffff, v30
	v_mov_b32_e32 v14, 0
	v_lshl_or_b32 v12, v13, 16, v12
	v_mov_b32_e32 v13, v14
	v_mov_b32_e32 v15, v14
	;; [unrolled: 1-line block ×4, first 2 shown]
                                        ; implicit-def: $sgpr52_sgpr53
                                        ; implicit-def: $vgpr53
	s_and_saveexec_b64 s[50:51], vcc
	s_cbranch_execz .LBB54_105
; %bb.96:
	v_cmp_ne_u32_e32 vcc, v27, v28
	v_add_u32_e32 v15, 19, v54
	v_cndmask_b32_e64 v13, 0, 1, vcc
	v_alignbit_b32 v13, v13, v30, 16
	v_cmp_gt_u32_e32 vcc, s7, v15
	v_mov_b32_e32 v15, v14
	v_mov_b32_e32 v16, v14
	;; [unrolled: 1-line block ×3, first 2 shown]
                                        ; implicit-def: $sgpr54_sgpr55
                                        ; implicit-def: $vgpr53
	s_and_saveexec_b64 s[52:53], vcc
	s_cbranch_execz .LBB54_104
; %bb.97:
	v_cmp_ne_u32_e32 vcc, v28, v29
	v_and_b32_e32 v14, 0xffff, v31
	v_cndmask_b32_e64 v16, 0, 1, vcc
	v_add_u32_e32 v15, 20, v54
	v_lshl_or_b32 v14, v16, 16, v14
	v_mov_b32_e32 v16, 0
	v_cmp_gt_u32_e32 vcc, s7, v15
	v_mov_b32_e32 v15, v16
	v_mov_b32_e32 v17, v16
                                        ; implicit-def: $sgpr66_sgpr67
                                        ; implicit-def: $vgpr53
	s_and_saveexec_b64 s[54:55], vcc
	s_cbranch_execz .LBB54_103
; %bb.98:
	v_cmp_ne_u32_e32 vcc, v29, v22
	v_add_u32_e32 v17, 21, v54
	v_cndmask_b32_e64 v15, 0, 1, vcc
	v_alignbit_b32 v15, v15, v31, 16
	v_cmp_gt_u32_e32 vcc, s7, v17
	s_mov_b32 s9, 0
	v_mov_b32_e32 v17, v16
                                        ; implicit-def: $sgpr72_sgpr73
                                        ; implicit-def: $vgpr53
	s_and_saveexec_b64 s[66:67], vcc
	s_cbranch_execz .LBB54_102
; %bb.99:
	v_cmp_ne_u32_e32 vcc, v22, v23
	v_and_b32_e32 v16, 0xffff, v32
	v_add_u32_e32 v17, 22, v54
	v_cndmask_b32_e64 v22, 0, 1, vcc
	v_lshl_or_b32 v16, v22, 16, v16
	v_cmp_gt_u32_e32 vcc, s7, v17
	v_mov_b32_e32 v17, s9
                                        ; implicit-def: $sgpr72_sgpr73
                                        ; implicit-def: $vgpr53
	s_and_saveexec_b64 s[74:75], vcc
	s_xor_b64 s[74:75], exec, s[74:75]
	s_cbranch_execz .LBB54_101
; %bb.100:
	ds_read_u16 v53, v55 offset:46
	v_add_u32_e32 v22, 23, v54
	v_cmp_ne_u32_e64 s[2:3], v23, v24
	v_cmp_ne_u32_e32 vcc, v24, v25
	v_cndmask_b32_e64 v17, 0, 1, s[2:3]
	v_cmp_gt_u32_e64 s[2:3], s7, v22
	v_alignbit_b32 v17, v17, v32, 16
	s_and_b64 s[72:73], vcc, exec
	s_and_b64 s[2:3], s[2:3], exec
.LBB54_101:
	s_or_b64 exec, exec, s[74:75]
	s_and_b64 s[72:73], s[72:73], exec
	s_and_b64 s[2:3], s[2:3], exec
.LBB54_102:
	s_or_b64 exec, exec, s[66:67]
	s_and_b64 s[66:67], s[72:73], exec
	s_and_b64 s[2:3], s[2:3], exec
.LBB54_103:
	s_or_b64 exec, exec, s[54:55]
	s_and_b64 s[54:55], s[66:67], exec
	s_and_b64 s[2:3], s[2:3], exec
.LBB54_104:
	s_or_b64 exec, exec, s[52:53]
	s_and_b64 s[52:53], s[54:55], exec
	s_and_b64 s[2:3], s[2:3], exec
.LBB54_105:
	s_or_b64 exec, exec, s[50:51]
	s_and_b64 s[50:51], s[52:53], exec
	s_and_b64 s[2:3], s[2:3], exec
.LBB54_106:
	s_or_b64 exec, exec, s[48:49]
	s_and_b64 s[48:49], s[50:51], exec
	s_and_b64 s[2:3], s[2:3], exec
.LBB54_107:
	s_or_b64 exec, exec, s[46:47]
	s_and_b64 s[46:47], s[48:49], exec
	s_and_b64 s[2:3], s[2:3], exec
.LBB54_108:
	s_or_b64 exec, exec, s[44:45]
	s_and_b64 s[44:45], s[46:47], exec
	s_and_b64 s[2:3], s[2:3], exec
.LBB54_109:
	s_or_b64 exec, exec, s[26:27]
	s_and_b64 s[26:27], s[44:45], exec
	s_and_b64 s[2:3], s[2:3], exec
.LBB54_110:
	s_or_b64 exec, exec, s[24:25]
	s_and_b64 s[24:25], s[26:27], exec
	s_and_b64 s[2:3], s[2:3], exec
.LBB54_111:
	s_or_b64 exec, exec, s[22:23]
	s_and_b64 s[22:23], s[24:25], exec
	s_and_b64 s[2:3], s[2:3], exec
.LBB54_112:
	s_or_b64 exec, exec, s[20:21]
	s_and_b64 s[20:21], s[22:23], exec
	s_and_b64 s[2:3], s[2:3], exec
.LBB54_113:
	s_or_b64 exec, exec, s[18:19]
	s_and_b64 s[18:19], s[20:21], exec
	s_and_b64 s[2:3], s[2:3], exec
.LBB54_114:
	s_or_b64 exec, exec, s[16:17]
	s_and_b64 s[16:17], s[18:19], exec
	s_and_b64 s[2:3], s[2:3], exec
.LBB54_115:
	s_or_b64 exec, exec, s[14:15]
	s_and_b64 s[14:15], s[16:17], exec
	s_and_b64 s[2:3], s[2:3], exec
.LBB54_116:
	s_or_b64 exec, exec, s[12:13]
	s_and_b64 s[12:13], s[14:15], exec
	s_and_b64 s[2:3], s[2:3], exec
.LBB54_117:
	s_or_b64 exec, exec, s[42:43]
	s_and_b64 s[42:43], s[12:13], exec
	s_and_b64 s[2:3], s[2:3], exec
.LBB54_118:
	s_or_b64 exec, exec, s[40:41]
	s_and_b64 s[12:13], s[42:43], exec
	s_and_b64 s[2:3], s[2:3], exec
.LBB54_119:
	s_or_b64 exec, exec, s[38:39]
	s_and_b64 s[38:39], s[12:13], exec
	s_and_b64 s[2:3], s[2:3], exec
.LBB54_120:
	s_or_b64 exec, exec, s[30:31]
	s_and_b64 s[12:13], s[38:39], exec
	s_and_b64 s[2:3], s[2:3], exec
.LBB54_121:
	s_or_b64 exec, exec, s[28:29]
	s_and_b64 s[38:39], s[12:13], exec
	s_and_b64 s[2:3], s[2:3], exec
.LBB54_122:
	s_or_b64 exec, exec, s[36:37]
	s_and_b64 s[12:13], s[38:39], exec
	s_and_b64 s[14:15], s[2:3], exec
.LBB54_123:
	s_or_b64 exec, exec, s[10:11]
	s_and_b64 vcc, exec, s[34:35]
	v_cmp_ne_u32_e64 s[2:3], 0, v0
	s_cbranch_vccnz .LBB54_125
	s_branch .LBB54_128
.LBB54_124:
	s_mov_b64 s[14:15], 0
                                        ; implicit-def: $sgpr12_sgpr13
                                        ; implicit-def: $vgpr50_vgpr51
                                        ; implicit-def: $vgpr18_vgpr19_vgpr20_vgpr21
                                        ; implicit-def: $vgpr2_vgpr3_vgpr4_vgpr5_vgpr6_vgpr7_vgpr8_vgpr9_vgpr10_vgpr11_vgpr12_vgpr13_vgpr14_vgpr15_vgpr16_vgpr17
                                        ; implicit-def: $vgpr53
                                        ; implicit-def: $vgpr1
                                        ; implicit-def: $sgpr8
	s_and_b64 vcc, exec, s[34:35]
	v_cmp_ne_u32_e64 s[2:3], 0, v0
	s_cbranch_vccz .LBB54_128
.LBB54_125:
	v_mov_b32_e32 v1, s71
	v_add_co_u32_e32 v2, vcc, s70, v52
	v_addc_co_u32_e32 v1, vcc, 0, v1, vcc
	s_movk_i32 s7, 0x1000
	v_add_co_u32_e32 v2, vcc, s7, v2
	v_addc_co_u32_e32 v3, vcc, 0, v1, vcc
	global_load_dword v4, v52, s[70:71]
	global_load_dword v5, v52, s[70:71] offset:256
	global_load_dword v6, v52, s[70:71] offset:512
	;; [unrolled: 1-line block ×15, first 2 shown]
	global_load_dword v20, v[2:3], off
	global_load_dword v21, v[2:3], off offset:256
	global_load_dword v22, v[2:3], off offset:512
	;; [unrolled: 1-line block ×7, first 2 shown]
	s_sub_u32 s8, 0, s6
	s_subb_u32 s9, 0, 0
	s_cmp_eq_u64 s[8:9], s[64:65]
	s_movk_i32 s7, 0x5c
	s_cselect_b32 s8, 0, -4
	v_mad_u32_u24 v38, v0, s7, v52
	s_cselect_b32 s7, 0, -1
	s_add_u32 s8, s70, s8
	s_addc_u32 s9, s71, s7
	s_movk_i32 s10, 0xffa4
	v_mad_i32_i24 v1, v0, s10, v38
	s_waitcnt vmcnt(22)
	ds_write2st64_b32 v52, v4, v5 offset1:1
	s_waitcnt vmcnt(20)
	ds_write2st64_b32 v52, v6, v7 offset0:2 offset1:3
	s_waitcnt vmcnt(18)
	ds_write2st64_b32 v52, v8, v9 offset0:4 offset1:5
	;; [unrolled: 2-line block ×11, first 2 shown]
	s_waitcnt lgkmcnt(0)
	; wave barrier
	s_waitcnt lgkmcnt(0)
	ds_read2_b64 v[2:5], v38 offset1:11
	ds_read2_b64 v[34:37], v38 offset0:9 offset1:10
	ds_read2_b64 v[30:33], v38 offset0:7 offset1:8
	;; [unrolled: 1-line block ×3, first 2 shown]
	s_load_dword s7, s[8:9], 0x0
	ds_read2_b64 v[6:9], v38 offset0:1 offset1:2
	ds_read2_b64 v[22:25], v38 offset0:3 offset1:4
	s_waitcnt lgkmcnt(0)
	ds_write_b32 v1, v5 offset:6144
	s_waitcnt lgkmcnt(0)
	; wave barrier
	s_waitcnt lgkmcnt(0)
	v_mov_b32_e32 v10, s7
	s_and_saveexec_b64 s[8:9], s[2:3]
	s_cbranch_execz .LBB54_127
; %bb.126:
	ds_read_b32 v10, v1 offset:6140
.LBB54_127:
	s_or_b64 exec, exec, s[8:9]
	v_lshlrev_b32_e32 v11, 1, v0
	s_waitcnt lgkmcnt(0)
	; wave barrier
	s_waitcnt lgkmcnt(0)
	global_load_ushort v12, v11, s[58:59]
	global_load_ushort v13, v11, s[58:59] offset:128
	global_load_ushort v14, v11, s[58:59] offset:256
	;; [unrolled: 1-line block ×23, first 2 shown]
	v_cmp_ne_u32_e32 vcc, v2, v3
	v_cmp_ne_u32_e64 s[12:13], v4, v5
	v_cndmask_b32_e64 v5, 0, 1, vcc
	v_cmp_ne_u32_e32 vcc, v10, v2
	v_cndmask_b32_e64 v10, 0, 1, vcc
	v_cmp_ne_u32_e32 vcc, v3, v6
	;; [unrolled: 2-line block ×4, first 2 shown]
	v_sub_u32_e32 v1, v1, v11
	v_cndmask_b32_e64 v55, 0, 1, vcc
	v_cmp_ne_u32_e32 vcc, v8, v9
	v_mad_u32_u24 v11, v0, 46, v1
	v_cndmask_b32_e64 v56, 0, 1, vcc
	v_cmp_ne_u32_e32 vcc, v6, v7
	v_cndmask_b32_e64 v57, 0, 1, vcc
	v_cmp_ne_u32_e32 vcc, v37, v4
	s_mov_b64 s[14:15], -1
                                        ; implicit-def: $sgpr8
	s_waitcnt vmcnt(23)
	ds_write_b16 v1, v12
	s_waitcnt vmcnt(22)
	ds_write_b16 v1, v13 offset:128
	s_waitcnt vmcnt(21)
	ds_write_b16 v1, v14 offset:256
	;; [unrolled: 2-line block ×23, first 2 shown]
	s_waitcnt lgkmcnt(0)
	; wave barrier
	s_waitcnt lgkmcnt(0)
	ds_read_b32 v1, v11
	ds_read_u16 v12, v11 offset:4
	ds_read_b64 v[2:3], v11 offset:6
	ds_read_b128 v[38:41], v11 offset:14
	ds_read_b128 v[6:9], v11 offset:30
	ds_read_u16 v53, v11 offset:46
	s_waitcnt lgkmcnt(5)
	v_and_b32_e32 v11, 0xffff, v1
	v_alignbit_b32 v51, v5, v1, 16
	s_waitcnt lgkmcnt(4)
	v_lshl_or_b32 v1, v52, 16, v12
	s_waitcnt lgkmcnt(3)
	v_and_b32_e32 v12, 0xffff, v3
	v_alignbit_b32 v21, v54, v3, 16
	v_cndmask_b32_e64 v3, 0, 1, vcc
	v_cmp_ne_u32_e32 vcc, v35, v36
	s_waitcnt lgkmcnt(1)
	v_alignbit_b32 v17, v3, v9, 16
	v_cndmask_b32_e64 v3, 0, 1, vcc
	v_cmp_ne_u32_e32 vcc, v33, v34
	v_alignbit_b32 v15, v3, v8, 16
	v_cndmask_b32_e64 v3, 0, 1, vcc
	v_cmp_ne_u32_e32 vcc, v31, v32
	;; [unrolled: 3-line block ×3, first 2 shown]
	v_lshl_or_b32 v50, v10, 16, v11
	v_alignbit_b32 v11, v3, v6, 16
	v_cndmask_b32_e64 v3, 0, 1, vcc
	v_cmp_ne_u32_e32 vcc, v27, v28
	v_and_b32_e32 v16, 0xffff, v9
	v_alignbit_b32 v9, v3, v41, 16
	v_cndmask_b32_e64 v3, 0, 1, vcc
	v_cmp_ne_u32_e32 vcc, v25, v26
	v_and_b32_e32 v5, 0xffff, v2
	v_lshl_or_b32 v20, v56, 16, v12
	v_and_b32_e32 v12, 0xffff, v7
	v_alignbit_b32 v7, v3, v40, 16
	v_cndmask_b32_e64 v3, 0, 1, vcc
	v_cmp_ne_u32_e32 vcc, v23, v24
	v_lshl_or_b32 v18, v57, 16, v5
	v_alignbit_b32 v5, v3, v39, 16
	v_cndmask_b32_e64 v3, 0, 1, vcc
	v_cmp_ne_u32_e32 vcc, v36, v37
	v_cndmask_b32_e64 v4, 0, 1, vcc
	v_cmp_ne_u32_e32 vcc, v34, v35
	v_and_b32_e32 v14, 0xffff, v8
	v_lshl_or_b32 v16, v4, 16, v16
	v_cndmask_b32_e64 v4, 0, 1, vcc
	v_cmp_ne_u32_e32 vcc, v32, v33
	v_lshl_or_b32 v14, v4, 16, v14
	v_cndmask_b32_e64 v4, 0, 1, vcc
	v_cmp_ne_u32_e32 vcc, v30, v31
	v_and_b32_e32 v10, 0xffff, v6
	v_lshl_or_b32 v12, v4, 16, v12
	v_cndmask_b32_e64 v4, 0, 1, vcc
	v_cmp_ne_u32_e32 vcc, v28, v29
	v_and_b32_e32 v44, 0xffff, v41
	;; [unrolled: 4-line block ×3, first 2 shown]
	v_lshl_or_b32 v8, v4, 16, v44
	v_cndmask_b32_e64 v4, 0, 1, vcc
	v_cmp_ne_u32_e32 vcc, v24, v25
	v_lshl_or_b32 v6, v4, 16, v43
	v_cndmask_b32_e64 v4, 0, 1, vcc
	v_cmp_ne_u32_e32 vcc, v22, v23
	v_alignbit_b32 v19, v55, v2, 16
	v_and_b32_e32 v2, 0xffff, v38
	v_and_b32_e32 v42, 0xffff, v39
	v_cndmask_b32_e64 v22, 0, 1, vcc
	v_alignbit_b32 v3, v3, v38, 16
	v_lshl_or_b32 v4, v4, 16, v42
	v_lshl_or_b32 v2, v22, 16, v2
.LBB54_128:
	v_mov_b32_e32 v32, s8
	s_and_saveexec_b64 s[2:3], s[14:15]
	s_cbranch_execz .LBB54_130
; %bb.129:
	v_mov_b32_e32 v22, 0x10000
	v_cndmask_b32_e64 v22, 0, v22, s[12:13]
	s_waitcnt lgkmcnt(0)
	v_or_b32_sdwa v32, v22, v53 dst_sel:DWORD dst_unused:UNUSED_PAD src0_sel:DWORD src1_sel:WORD_0
.LBB54_130:
	s_or_b64 exec, exec, s[2:3]
	s_cmp_lg_u32 s6, 0
	v_lshlrev_b32_e32 v57, 16, v51
	v_lshlrev_b32_e32 v56, 16, v1
	;; [unrolled: 1-line block ×4, first 2 shown]
	s_waitcnt lgkmcnt(0)
	v_lshlrev_b32_e32 v53, 16, v20
	v_lshlrev_b32_e32 v52, 16, v21
	;; [unrolled: 1-line block ×19, first 2 shown]
	v_mbcnt_lo_u32_b32 v58, -1, 0
	s_waitcnt lgkmcnt(0)
	; wave barrier
	s_cbranch_scc0 .LBB54_213
; %bb.131:
	v_lshlrev_b32_e32 v59, 16, v50
	s_mov_b32 s7, 0x10000
	v_cmp_lt_f32_e32 vcc, v59, v57
	v_cndmask_b32_e32 v22, v50, v51, vcc
	v_cmp_gt_u32_e64 s[2:3], s7, v51
	v_cndmask_b32_e64 v22, v51, v22, s[2:3]
	v_lshlrev_b32_e32 v23, 16, v22
	v_cmp_lt_f32_e32 vcc, v23, v56
	v_cndmask_b32_e32 v22, v22, v1, vcc
	v_cmp_gt_u32_e64 s[54:55], s7, v1
	v_cndmask_b32_e64 v22, v1, v22, s[54:55]
	v_lshlrev_b32_e32 v23, 16, v22
	v_cmp_lt_f32_e32 vcc, v23, v55
	v_cndmask_b32_e32 v22, v22, v18, vcc
	v_cmp_gt_u32_e64 s[8:9], s7, v18
	v_cndmask_b32_e64 v22, v18, v22, s[8:9]
	v_lshlrev_b32_e32 v23, 16, v22
	v_cmp_lt_f32_e32 vcc, v23, v54
	v_cndmask_b32_e32 v22, v22, v19, vcc
	v_cmp_gt_u32_e64 s[10:11], s7, v19
	v_cndmask_b32_e64 v22, v19, v22, s[10:11]
	v_lshlrev_b32_e32 v23, 16, v22
	v_cmp_lt_f32_e32 vcc, v23, v53
	v_cndmask_b32_e32 v22, v22, v20, vcc
	v_cmp_gt_u32_e64 s[12:13], s7, v20
	v_cndmask_b32_e64 v22, v20, v22, s[12:13]
	v_lshlrev_b32_e32 v23, 16, v22
	v_cmp_lt_f32_e32 vcc, v23, v52
	v_cndmask_b32_e32 v22, v22, v21, vcc
	v_cmp_gt_u32_e64 s[14:15], s7, v21
	v_cndmask_b32_e64 v22, v21, v22, s[14:15]
	v_lshlrev_b32_e32 v23, 16, v22
	v_cmp_lt_f32_e32 vcc, v23, v49
	v_cndmask_b32_e32 v22, v22, v2, vcc
	v_cmp_gt_u32_e64 s[16:17], s7, v2
	v_cndmask_b32_e64 v22, v2, v22, s[16:17]
	v_lshlrev_b32_e32 v23, 16, v22
	v_cmp_lt_f32_e32 vcc, v23, v48
	v_cndmask_b32_e32 v22, v22, v3, vcc
	v_cmp_gt_u32_e64 s[18:19], s7, v3
	v_cndmask_b32_e64 v22, v3, v22, s[18:19]
	v_lshlrev_b32_e32 v23, 16, v22
	v_cmp_lt_f32_e32 vcc, v23, v47
	v_cndmask_b32_e32 v22, v22, v4, vcc
	v_cmp_gt_u32_e64 s[20:21], s7, v4
	v_cndmask_b32_e64 v22, v4, v22, s[20:21]
	v_lshlrev_b32_e32 v23, 16, v22
	v_cmp_lt_f32_e32 vcc, v23, v46
	v_cndmask_b32_e32 v22, v22, v5, vcc
	v_cmp_gt_u32_e64 s[22:23], s7, v5
	v_cndmask_b32_e64 v22, v5, v22, s[22:23]
	v_lshlrev_b32_e32 v23, 16, v22
	v_cmp_lt_f32_e32 vcc, v23, v45
	v_cndmask_b32_e32 v22, v22, v6, vcc
	v_cmp_gt_u32_e64 s[24:25], s7, v6
	v_cndmask_b32_e64 v22, v6, v22, s[24:25]
	v_lshlrev_b32_e32 v23, 16, v22
	v_cmp_lt_f32_e32 vcc, v23, v44
	v_cndmask_b32_e32 v22, v22, v7, vcc
	v_cmp_gt_u32_e64 s[26:27], s7, v7
	v_cndmask_b32_e64 v22, v7, v22, s[26:27]
	v_lshlrev_b32_e32 v23, 16, v22
	v_cmp_lt_f32_e32 vcc, v23, v43
	v_cndmask_b32_e32 v22, v22, v8, vcc
	v_cmp_gt_u32_e64 s[28:29], s7, v8
	v_cndmask_b32_e64 v22, v8, v22, s[28:29]
	v_lshlrev_b32_e32 v23, 16, v22
	v_cmp_lt_f32_e32 vcc, v23, v42
	v_cndmask_b32_e32 v22, v22, v9, vcc
	v_cmp_gt_u32_e64 s[30:31], s7, v9
	v_cndmask_b32_e64 v22, v9, v22, s[30:31]
	v_lshlrev_b32_e32 v23, 16, v22
	v_cmp_lt_f32_e32 vcc, v23, v41
	v_cndmask_b32_e32 v22, v22, v10, vcc
	v_cmp_gt_u32_e64 s[34:35], s7, v10
	v_cndmask_b32_e64 v22, v10, v22, s[34:35]
	v_lshlrev_b32_e32 v23, 16, v22
	v_cmp_lt_f32_e32 vcc, v23, v40
	v_cndmask_b32_e32 v22, v22, v11, vcc
	v_cmp_gt_u32_e64 s[36:37], s7, v11
	v_cndmask_b32_e64 v22, v11, v22, s[36:37]
	v_lshlrev_b32_e32 v23, 16, v22
	v_cmp_lt_f32_e32 vcc, v23, v39
	v_cndmask_b32_e32 v22, v22, v12, vcc
	v_cmp_gt_u32_e64 s[38:39], s7, v12
	v_cndmask_b32_e64 v22, v12, v22, s[38:39]
	v_lshlrev_b32_e32 v23, 16, v22
	v_cmp_lt_f32_e32 vcc, v23, v38
	v_cndmask_b32_e32 v22, v22, v13, vcc
	v_cmp_gt_u32_e64 s[40:41], s7, v13
	v_cndmask_b32_e64 v22, v13, v22, s[40:41]
	v_lshlrev_b32_e32 v23, 16, v22
	v_cmp_lt_f32_e32 vcc, v23, v37
	v_cndmask_b32_e32 v22, v22, v14, vcc
	v_cmp_gt_u32_e64 s[42:43], s7, v14
	v_cndmask_b32_e64 v22, v14, v22, s[42:43]
	v_lshlrev_b32_e32 v23, 16, v22
	v_cmp_lt_f32_e32 vcc, v23, v36
	v_cndmask_b32_e32 v22, v22, v15, vcc
	v_cmp_gt_u32_e64 s[44:45], s7, v15
	v_cndmask_b32_e64 v22, v15, v22, s[44:45]
	v_lshlrev_b32_e32 v23, 16, v22
	v_cmp_lt_f32_e32 vcc, v23, v35
	v_cndmask_b32_e32 v22, v22, v16, vcc
	v_cmp_gt_u32_e64 s[46:47], s7, v16
	v_cndmask_b32_e64 v22, v16, v22, s[46:47]
	v_lshlrev_b32_e32 v23, 16, v22
	v_cmp_lt_f32_e32 vcc, v23, v34
	v_cndmask_b32_e32 v22, v22, v17, vcc
	v_cmp_gt_u32_e64 s[48:49], s7, v17
	v_cndmask_b32_e64 v22, v17, v22, s[48:49]
	v_lshlrev_b32_e32 v23, 16, v22
	v_cmp_lt_f32_e32 vcc, v23, v33
	v_cndmask_b32_e32 v22, v22, v32, vcc
	v_cmp_gt_u32_e64 s[50:51], s7, v32
	v_cndmask_b32_e64 v23, v32, v22, s[50:51]
	v_or3_b32 v22, v32, v17, v16
	v_or3_b32 v22, v22, v15, v14
	;; [unrolled: 1-line block ×11, first 2 shown]
	v_and_b32_e32 v22, 0x10000, v22
	v_and_b32_e32 v24, 0x10000, v50
	v_mov_b32_e32 v25, 0x10000
	v_cmp_ne_u32_e32 vcc, 0, v22
	v_cndmask_b32_e32 v24, v24, v25, vcc
	v_mbcnt_hi_u32_b32 v25, -1, v58
	v_and_b32_e32 v28, 15, v25
	v_or_b32_sdwa v27, v24, v23 dst_sel:DWORD dst_unused:UNUSED_PAD src0_sel:DWORD src1_sel:WORD_0
	v_lshrrev_b32_e32 v22, 16, v24
	v_cmp_ne_u32_e32 vcc, 0, v28
	v_mov_b32_dpp v26, v27 row_shr:1 row_mask:0xf bank_mask:0xf
	s_and_saveexec_b64 s[52:53], vcc
	s_cbranch_execz .LBB54_133
; %bb.132:
	v_and_b32_e32 v22, 0x10000, v24
	v_mov_b32_e32 v27, 1
	v_and_b32_sdwa v27, v26, v27 dst_sel:DWORD dst_unused:UNUSED_PAD src0_sel:WORD_1 src1_sel:DWORD
	v_cmp_ne_u32_e32 vcc, 0, v22
	v_cndmask_b32_e64 v22, v27, 1, vcc
	v_mov_b32_e32 v27, 16
	v_lshlrev_b32_sdwa v27, v27, v23 dst_sel:DWORD dst_unused:UNUSED_PAD src0_sel:DWORD src1_sel:WORD_0
	v_lshlrev_b32_e32 v29, 16, v26
	v_cmp_lt_f32_e32 vcc, v29, v27
	v_cndmask_b32_e32 v26, v26, v23, vcc
	v_cmp_eq_u32_e32 vcc, 0, v24
	v_cndmask_b32_e32 v23, v23, v26, vcc
	v_lshlrev_b32_e32 v24, 16, v22
	v_or_b32_sdwa v27, v24, v23 dst_sel:DWORD dst_unused:UNUSED_PAD src0_sel:DWORD src1_sel:WORD_0
.LBB54_133:
	s_or_b64 exec, exec, s[52:53]
	v_lshrrev_b32_e32 v26, 16, v27
	v_mov_b32_dpp v29, v27 row_shr:2 row_mask:0xf bank_mask:0xf
	v_cmp_lt_u32_e32 vcc, 1, v28
	v_mov_b32_e32 v24, v27
	s_and_saveexec_b64 s[52:53], vcc
	s_cbranch_execz .LBB54_135
; %bb.134:
	v_and_b32_e32 v22, 0x10000, v27
	v_mov_b32_e32 v23, 1
	v_and_b32_sdwa v23, v29, v23 dst_sel:DWORD dst_unused:UNUSED_PAD src0_sel:WORD_1 src1_sel:DWORD
	v_cmp_ne_u32_e32 vcc, 0, v22
	v_cndmask_b32_e64 v22, v23, 1, vcc
	v_lshlrev_b32_e32 v23, 16, v27
	v_lshlrev_b32_e32 v24, 16, v29
	v_cmp_lt_f32_e32 vcc, v24, v23
	v_cndmask_b32_e32 v23, v29, v27, vcc
	v_cmp_gt_u32_e32 vcc, s7, v27
	v_cndmask_b32_e32 v23, v27, v23, vcc
	v_lshlrev_b32_e32 v24, 16, v22
	v_or_b32_sdwa v27, v24, v23 dst_sel:DWORD dst_unused:UNUSED_PAD src0_sel:DWORD src1_sel:WORD_0
	v_mov_b32_e32 v24, v23
	v_mov_b32_e32 v26, v22
.LBB54_135:
	s_or_b64 exec, exec, s[52:53]
	v_mov_b32_dpp v29, v27 row_shr:4 row_mask:0xf bank_mask:0xf
	v_cmp_lt_u32_e32 vcc, 3, v28
	s_and_saveexec_b64 s[52:53], vcc
	s_cbranch_execz .LBB54_137
; %bb.136:
	v_and_b32_e32 v22, 1, v26
	v_mov_b32_e32 v23, 1
	v_and_b32_sdwa v23, v29, v23 dst_sel:DWORD dst_unused:UNUSED_PAD src0_sel:WORD_1 src1_sel:DWORD
	v_cmp_eq_u32_e32 vcc, 1, v22
	v_cndmask_b32_e64 v22, v23, 1, vcc
	v_lshlrev_b32_e32 v23, 16, v29
	v_lshlrev_b32_e32 v27, 16, v24
	v_cmp_lt_f32_e32 vcc, v23, v27
	v_cndmask_b32_e32 v23, v29, v24, vcc
	v_cmp_eq_u16_e32 vcc, 0, v26
	v_cndmask_b32_e32 v23, v24, v23, vcc
	v_lshlrev_b32_e32 v24, 16, v22
	v_or_b32_sdwa v27, v24, v23 dst_sel:DWORD dst_unused:UNUSED_PAD src0_sel:DWORD src1_sel:WORD_0
	v_mov_b32_e32 v24, v23
	v_mov_b32_e32 v26, v22
.LBB54_137:
	s_or_b64 exec, exec, s[52:53]
	v_mov_b32_dpp v29, v27 row_shr:8 row_mask:0xf bank_mask:0xf
	v_cmp_lt_u32_e32 vcc, 7, v28
	s_and_saveexec_b64 s[52:53], vcc
	s_cbranch_execz .LBB54_139
; %bb.138:
	v_and_b32_e32 v22, 1, v26
	v_mov_b32_e32 v23, 1
	v_and_b32_sdwa v23, v29, v23 dst_sel:DWORD dst_unused:UNUSED_PAD src0_sel:WORD_1 src1_sel:DWORD
	v_cmp_eq_u32_e32 vcc, 1, v22
	v_cndmask_b32_e64 v22, v23, 1, vcc
	v_lshlrev_b32_e32 v23, 16, v29
	v_lshlrev_b32_e32 v27, 16, v24
	v_cmp_lt_f32_e32 vcc, v23, v27
	v_cndmask_b32_e32 v23, v29, v24, vcc
	v_cmp_eq_u16_e32 vcc, 0, v26
	v_cndmask_b32_e32 v23, v24, v23, vcc
	v_lshlrev_b32_e32 v24, 16, v22
	v_or_b32_sdwa v27, v24, v23 dst_sel:DWORD dst_unused:UNUSED_PAD src0_sel:DWORD src1_sel:WORD_0
	v_mov_b32_e32 v24, v23
	v_mov_b32_e32 v26, v22
.LBB54_139:
	s_or_b64 exec, exec, s[52:53]
	v_and_b32_e32 v29, 16, v25
	v_mov_b32_dpp v28, v27 row_bcast:15 row_mask:0xf bank_mask:0xf
	v_cmp_ne_u32_e32 vcc, 0, v29
	s_and_saveexec_b64 s[52:53], vcc
	s_cbranch_execz .LBB54_141
; %bb.140:
	v_and_b32_e32 v22, 1, v26
	v_mov_b32_e32 v23, 1
	v_and_b32_sdwa v23, v28, v23 dst_sel:DWORD dst_unused:UNUSED_PAD src0_sel:WORD_1 src1_sel:DWORD
	v_cmp_eq_u32_e32 vcc, 1, v22
	v_cndmask_b32_e64 v22, v23, 1, vcc
	v_lshlrev_b32_e32 v23, 16, v28
	v_lshlrev_b32_e32 v27, 16, v24
	v_cmp_lt_f32_e32 vcc, v23, v27
	v_cndmask_b32_e32 v23, v28, v24, vcc
	v_cmp_eq_u16_e32 vcc, 0, v26
	v_cndmask_b32_e32 v23, v24, v23, vcc
	v_lshlrev_b32_e32 v24, 16, v22
	v_or_b32_sdwa v27, v24, v23 dst_sel:DWORD dst_unused:UNUSED_PAD src0_sel:DWORD src1_sel:WORD_0
	v_mov_b32_e32 v24, v23
	v_mov_b32_e32 v26, v22
.LBB54_141:
	s_or_b64 exec, exec, s[52:53]
	v_mov_b32_dpp v27, v27 row_bcast:31 row_mask:0xf bank_mask:0xf
	v_cmp_lt_u32_e32 vcc, 31, v25
	s_and_saveexec_b64 s[52:53], vcc
	s_cbranch_execz .LBB54_143
; %bb.142:
	v_and_b32_e32 v22, 1, v26
	v_mov_b32_e32 v23, 1
	v_and_b32_sdwa v23, v27, v23 dst_sel:DWORD dst_unused:UNUSED_PAD src0_sel:WORD_1 src1_sel:DWORD
	v_cmp_eq_u32_e32 vcc, 1, v22
	v_cndmask_b32_e64 v22, v23, 1, vcc
	v_lshlrev_b32_e32 v23, 16, v27
	v_lshlrev_b32_e32 v28, 16, v24
	v_cmp_lt_f32_e32 vcc, v23, v28
	v_cndmask_b32_e32 v23, v27, v24, vcc
	v_cmp_eq_u16_e32 vcc, 0, v26
	v_cndmask_b32_e32 v23, v24, v23, vcc
	v_mov_b32_e32 v26, v22
	v_mov_b32_e32 v24, v23
.LBB54_143:
	s_or_b64 exec, exec, s[52:53]
	v_cmp_eq_u32_e32 vcc, 63, v0
	s_and_saveexec_b64 s[52:53], vcc
	s_cbranch_execz .LBB54_145
; %bb.144:
	v_mov_b32_e32 v27, 0
	ds_write_b16 v27, v24
	ds_write_b8 v27, v26 offset:2
.LBB54_145:
	s_or_b64 exec, exec, s[52:53]
	v_lshlrev_b32_e32 v22, 16, v22
	v_or_b32_sdwa v22, v22, v23 dst_sel:DWORD dst_unused:UNUSED_PAD src0_sel:DWORD src1_sel:WORD_0
	v_add_u32_e32 v23, -1, v25
	v_and_b32_e32 v24, 64, v25
	v_cmp_lt_i32_e32 vcc, v23, v24
	v_cndmask_b32_e32 v23, v23, v25, vcc
	v_lshlrev_b32_e32 v23, 2, v23
	ds_bpermute_b32 v60, v23, v22
	v_cmp_gt_u32_e32 vcc, 64, v0
	s_waitcnt lgkmcnt(0)
	; wave barrier
	s_waitcnt lgkmcnt(0)
	s_and_saveexec_b64 s[58:59], vcc
	s_cbranch_execz .LBB54_188
; %bb.146:
	v_mov_b32_e32 v29, 0
	ds_read_b32 v22, v29
	s_mov_b32 s67, 0
	v_cmp_eq_u32_e64 s[52:53], 0, v25
	s_and_saveexec_b64 s[64:65], s[52:53]
	s_cbranch_execz .LBB54_148
; %bb.147:
	s_add_i32 s66, s6, 64
	s_lshl_b64 s[66:67], s[66:67], 3
	s_add_u32 s66, s60, s66
	s_addc_u32 s67, s61, s67
	v_mov_b32_e32 v23, 1
	s_waitcnt lgkmcnt(0)
	global_store_dwordx2 v29, v[22:23], s[66:67]
.LBB54_148:
	s_or_b64 exec, exec, s[64:65]
	v_xad_u32 v24, v25, -1, s6
	v_add_u32_e32 v28, 64, v24
	v_lshlrev_b64 v[26:27], 3, v[28:29]
	v_mov_b32_e32 v23, s61
	v_add_co_u32_e32 v30, vcc, s60, v26
	v_addc_co_u32_e32 v31, vcc, v23, v27, vcc
	global_load_dwordx2 v[26:27], v[30:31], off glc
	s_waitcnt vmcnt(0)
	v_cmp_eq_u16_sdwa s[66:67], v27, v29 src0_sel:BYTE_0 src1_sel:DWORD
	s_and_saveexec_b64 s[64:65], s[66:67]
	s_cbranch_execz .LBB54_152
; %bb.149:
	s_mov_b64 s[66:67], 0
	v_mov_b32_e32 v23, 0
.LBB54_150:                             ; =>This Inner Loop Header: Depth=1
	global_load_dwordx2 v[26:27], v[30:31], off glc
	s_waitcnt vmcnt(0)
	v_cmp_ne_u16_sdwa s[70:71], v27, v23 src0_sel:BYTE_0 src1_sel:DWORD
	s_or_b64 s[66:67], s[70:71], s[66:67]
	s_andn2_b64 exec, exec, s[66:67]
	s_cbranch_execnz .LBB54_150
; %bb.151:
	s_or_b64 exec, exec, s[66:67]
.LBB54_152:
	s_or_b64 exec, exec, s[64:65]
	v_mov_b32_e32 v23, 2
	v_cmp_eq_u16_sdwa s[64:65], v27, v23 src0_sel:BYTE_0 src1_sel:DWORD
	v_lshlrev_b64 v[28:29], v25, -1
	v_and_b32_e32 v23, s65, v29
	v_or_b32_e32 v23, 0x80000000, v23
	v_and_b32_e32 v30, s64, v28
	v_ffbl_b32_e32 v23, v23
	v_and_b32_e32 v31, 63, v25
	v_add_u32_e32 v23, 32, v23
	v_ffbl_b32_e32 v30, v30
	v_cmp_ne_u32_e32 vcc, 63, v31
	v_min_u32_e32 v30, v30, v23
	v_addc_co_u32_e32 v23, vcc, 0, v25, vcc
	v_and_b32_e32 v72, 0xffffff, v26
	v_lshlrev_b32_e32 v23, 2, v23
	ds_bpermute_b32 v62, v23, v72
	v_add_u32_e32 v61, 1, v25
	v_lshrrev_b32_e32 v76, 16, v26
	v_cmp_le_u32_e32 vcc, v61, v30
	v_bfe_u32 v70, v26, 16, 8
	s_and_saveexec_b64 s[64:65], vcc
	s_cbranch_execz .LBB54_154
; %bb.153:
	s_waitcnt lgkmcnt(0)
	v_lshlrev_b32_e32 v64, 16, v62
	v_lshlrev_b32_e32 v65, 16, v26
	v_and_b32_e32 v63, 0xff0000, v26
	v_cmp_lt_f32_e32 vcc, v64, v65
	v_cndmask_b32_e32 v64, v62, v26, vcc
	v_cmp_eq_u32_e32 vcc, 0, v63
	v_cndmask_b32_e32 v26, v26, v64, vcc
	v_and_b32_e32 v63, 0x10000, v63
	v_mov_b32_e32 v64, 1
	v_and_b32_sdwa v62, v62, v64 dst_sel:DWORD dst_unused:UNUSED_PAD src0_sel:WORD_1 src1_sel:DWORD
	v_cmp_ne_u32_e32 vcc, 0, v63
	v_cndmask_b32_e64 v76, v62, 1, vcc
	v_lshlrev_b32_e32 v62, 16, v76
	v_or_b32_sdwa v72, v62, v26 dst_sel:DWORD dst_unused:UNUSED_PAD src0_sel:DWORD src1_sel:WORD_0
	v_mov_b32_e32 v70, v76
.LBB54_154:
	s_or_b64 exec, exec, s[64:65]
	v_cmp_gt_u32_e32 vcc, 62, v31
	s_waitcnt lgkmcnt(0)
	v_cndmask_b32_e64 v62, 0, 1, vcc
	v_lshlrev_b32_e32 v62, 1, v62
	v_add_lshl_u32 v62, v62, v25, 2
	ds_bpermute_b32 v64, v62, v72
	v_add_u32_e32 v63, 2, v25
	v_cmp_le_u32_e32 vcc, v63, v30
	s_and_saveexec_b64 s[64:65], vcc
	s_cbranch_execz .LBB54_156
; %bb.155:
	s_waitcnt lgkmcnt(0)
	v_lshlrev_b32_e32 v65, 16, v64
	v_lshlrev_b32_e32 v66, 16, v26
	v_cmp_lt_f32_e32 vcc, v65, v66
	v_cndmask_b32_e32 v65, v64, v26, vcc
	v_cmp_eq_u16_e32 vcc, 0, v70
	v_cndmask_b32_e32 v26, v26, v65, vcc
	v_and_b32_e32 v65, 1, v70
	v_mov_b32_e32 v66, 1
	v_and_b32_sdwa v64, v64, v66 dst_sel:DWORD dst_unused:UNUSED_PAD src0_sel:WORD_1 src1_sel:DWORD
	v_cmp_eq_u32_e32 vcc, 1, v65
	v_cndmask_b32_e64 v76, v64, 1, vcc
	v_lshlrev_b32_e32 v64, 16, v76
	v_or_b32_sdwa v72, v64, v26 dst_sel:DWORD dst_unused:UNUSED_PAD src0_sel:DWORD src1_sel:WORD_0
	v_mov_b32_e32 v70, v76
.LBB54_156:
	s_or_b64 exec, exec, s[64:65]
	v_cmp_gt_u32_e32 vcc, 60, v31
	s_waitcnt lgkmcnt(0)
	v_cndmask_b32_e64 v64, 0, 1, vcc
	v_lshlrev_b32_e32 v64, 2, v64
	v_add_lshl_u32 v64, v64, v25, 2
	ds_bpermute_b32 v66, v64, v72
	v_add_u32_e32 v65, 4, v25
	v_cmp_le_u32_e32 vcc, v65, v30
	s_and_saveexec_b64 s[64:65], vcc
	s_cbranch_execz .LBB54_158
; %bb.157:
	s_waitcnt lgkmcnt(0)
	v_lshlrev_b32_e32 v67, 16, v66
	v_lshlrev_b32_e32 v68, 16, v26
	v_cmp_lt_f32_e32 vcc, v67, v68
	v_cndmask_b32_e32 v67, v66, v26, vcc
	v_cmp_eq_u16_e32 vcc, 0, v70
	v_cndmask_b32_e32 v26, v26, v67, vcc
	v_and_b32_e32 v67, 1, v70
	v_mov_b32_e32 v68, 1
	v_and_b32_sdwa v66, v66, v68 dst_sel:DWORD dst_unused:UNUSED_PAD src0_sel:WORD_1 src1_sel:DWORD
	v_cmp_eq_u32_e32 vcc, 1, v67
	v_cndmask_b32_e64 v76, v66, 1, vcc
	v_lshlrev_b32_e32 v66, 16, v76
	v_or_b32_sdwa v72, v66, v26 dst_sel:DWORD dst_unused:UNUSED_PAD src0_sel:DWORD src1_sel:WORD_0
	v_mov_b32_e32 v70, v76
.LBB54_158:
	;; [unrolled: 28-line block ×4, first 2 shown]
	s_or_b64 exec, exec, s[64:65]
	v_cmp_gt_u32_e32 vcc, 32, v31
	v_cndmask_b32_e64 v31, 0, 1, vcc
	v_lshlrev_b32_e32 v31, 5, v31
	s_waitcnt lgkmcnt(0)
	v_add_lshl_u32 v71, v31, v25, 2
	ds_bpermute_b32 v31, v71, v72
	v_add_u32_e32 v73, 32, v25
	v_cmp_le_u32_e32 vcc, v73, v30
	s_and_saveexec_b64 s[64:65], vcc
	s_cbranch_execz .LBB54_164
; %bb.163:
	s_waitcnt lgkmcnt(0)
	v_lshlrev_b32_e32 v25, 16, v31
	v_lshlrev_b32_e32 v30, 16, v26
	v_cmp_lt_f32_e32 vcc, v25, v30
	v_cndmask_b32_e32 v25, v31, v26, vcc
	v_cmp_eq_u16_e32 vcc, 0, v70
	v_cndmask_b32_e32 v26, v26, v25, vcc
	v_and_b32_e32 v25, 1, v70
	v_mov_b32_e32 v30, 1
	v_and_b32_sdwa v30, v31, v30 dst_sel:DWORD dst_unused:UNUSED_PAD src0_sel:WORD_1 src1_sel:DWORD
	v_cmp_eq_u32_e32 vcc, 1, v25
	v_cndmask_b32_e64 v76, v30, 1, vcc
.LBB54_164:
	s_or_b64 exec, exec, s[64:65]
	v_mov_b32_e32 v25, 0
	v_mov_b32_e32 v74, 2
	;; [unrolled: 1-line block ×3, first 2 shown]
	s_branch .LBB54_166
.LBB54_165:                             ;   in Loop: Header=BB54_166 Depth=1
	s_or_b64 exec, exec, s[64:65]
	v_lshlrev_b32_e32 v30, 16, v26
	v_lshlrev_b32_e32 v76, 16, v72
	v_cmp_lt_f32_e32 vcc, v30, v76
	v_cndmask_b32_e32 v26, v26, v72, vcc
	v_cmp_eq_u16_sdwa vcc, v70, v25 src0_sel:BYTE_0 src1_sel:DWORD
	v_and_b32_e32 v30, 1, v70
	v_cndmask_b32_e32 v26, v72, v26, vcc
	v_and_b32_e32 v31, 1, v31
	v_cmp_eq_u32_e32 vcc, 1, v30
	v_subrev_u32_e32 v24, 64, v24
	v_cndmask_b32_e64 v76, v31, 1, vcc
.LBB54_166:                             ; =>This Loop Header: Depth=1
                                        ;     Child Loop BB54_169 Depth 2
	v_cmp_ne_u16_sdwa s[64:65], v27, v74 src0_sel:BYTE_0 src1_sel:DWORD
	v_cndmask_b32_e64 v27, 0, 1, s[64:65]
	;;#ASMSTART
	;;#ASMEND
	v_cmp_ne_u32_e32 vcc, 0, v27
	v_mov_b32_e32 v70, v76
	s_cmp_lg_u64 vcc, exec
	v_mov_b32_e32 v72, v26
	s_cbranch_scc1 .LBB54_183
; %bb.167:                              ;   in Loop: Header=BB54_166 Depth=1
	v_lshlrev_b64 v[26:27], 3, v[24:25]
	s_waitcnt lgkmcnt(0)
	v_mov_b32_e32 v31, s61
	v_add_co_u32_e32 v30, vcc, s60, v26
	v_addc_co_u32_e32 v31, vcc, v31, v27, vcc
	global_load_dwordx2 v[26:27], v[30:31], off glc
	s_waitcnt vmcnt(0)
	v_cmp_eq_u16_sdwa s[66:67], v27, v25 src0_sel:BYTE_0 src1_sel:DWORD
	s_and_saveexec_b64 s[64:65], s[66:67]
	s_cbranch_execz .LBB54_171
; %bb.168:                              ;   in Loop: Header=BB54_166 Depth=1
	s_mov_b64 s[66:67], 0
.LBB54_169:                             ;   Parent Loop BB54_166 Depth=1
                                        ; =>  This Inner Loop Header: Depth=2
	global_load_dwordx2 v[26:27], v[30:31], off glc
	s_waitcnt vmcnt(0)
	v_cmp_ne_u16_sdwa s[70:71], v27, v25 src0_sel:BYTE_0 src1_sel:DWORD
	s_or_b64 s[66:67], s[70:71], s[66:67]
	s_andn2_b64 exec, exec, s[66:67]
	s_cbranch_execnz .LBB54_169
; %bb.170:                              ;   in Loop: Header=BB54_166 Depth=1
	s_or_b64 exec, exec, s[66:67]
.LBB54_171:                             ;   in Loop: Header=BB54_166 Depth=1
	s_or_b64 exec, exec, s[64:65]
	v_cmp_eq_u16_sdwa s[64:65], v27, v74 src0_sel:BYTE_0 src1_sel:DWORD
	v_and_b32_e32 v30, s65, v29
	v_and_b32_e32 v77, 0xffffff, v26
	v_or_b32_e32 v30, 0x80000000, v30
	ds_bpermute_b32 v78, v23, v77
	v_and_b32_e32 v31, s64, v28
	v_ffbl_b32_e32 v30, v30
	v_add_u32_e32 v30, 32, v30
	v_ffbl_b32_e32 v31, v31
	v_min_u32_e32 v30, v31, v30
	v_lshrrev_b32_e32 v31, 16, v26
	v_cmp_le_u32_e32 vcc, v61, v30
	v_bfe_u32 v76, v26, 16, 8
	s_and_saveexec_b64 s[64:65], vcc
	s_cbranch_execz .LBB54_173
; %bb.172:                              ;   in Loop: Header=BB54_166 Depth=1
	s_waitcnt lgkmcnt(0)
	v_lshlrev_b32_e32 v76, 16, v78
	v_lshlrev_b32_e32 v77, 16, v26
	v_and_b32_e32 v31, 0xff0000, v26
	v_cmp_lt_f32_e32 vcc, v76, v77
	v_cndmask_b32_e32 v76, v78, v26, vcc
	v_cmp_eq_u32_e32 vcc, 0, v31
	v_and_b32_e32 v31, 0x10000, v31
	v_cndmask_b32_e32 v26, v26, v76, vcc
	v_and_b32_sdwa v76, v78, v75 dst_sel:DWORD dst_unused:UNUSED_PAD src0_sel:WORD_1 src1_sel:DWORD
	v_cmp_ne_u32_e32 vcc, 0, v31
	v_cndmask_b32_e64 v31, v76, 1, vcc
	v_lshlrev_b32_e32 v76, 16, v31
	v_or_b32_sdwa v77, v76, v26 dst_sel:DWORD dst_unused:UNUSED_PAD src0_sel:DWORD src1_sel:WORD_0
	v_mov_b32_e32 v76, v31
.LBB54_173:                             ;   in Loop: Header=BB54_166 Depth=1
	s_or_b64 exec, exec, s[64:65]
	s_waitcnt lgkmcnt(0)
	ds_bpermute_b32 v78, v62, v77
	v_cmp_le_u32_e32 vcc, v63, v30
	s_and_saveexec_b64 s[64:65], vcc
	s_cbranch_execz .LBB54_175
; %bb.174:                              ;   in Loop: Header=BB54_166 Depth=1
	s_waitcnt lgkmcnt(0)
	v_lshlrev_b32_e32 v31, 16, v78
	v_lshlrev_b32_e32 v77, 16, v26
	v_cmp_lt_f32_e32 vcc, v31, v77
	v_cndmask_b32_e32 v31, v78, v26, vcc
	v_cmp_eq_u16_e32 vcc, 0, v76
	v_cndmask_b32_e32 v26, v26, v31, vcc
	v_and_b32_e32 v31, 1, v76
	v_and_b32_sdwa v76, v78, v75 dst_sel:DWORD dst_unused:UNUSED_PAD src0_sel:WORD_1 src1_sel:DWORD
	v_cmp_eq_u32_e32 vcc, 1, v31
	v_cndmask_b32_e64 v31, v76, 1, vcc
	v_lshlrev_b32_e32 v76, 16, v31
	v_or_b32_sdwa v77, v76, v26 dst_sel:DWORD dst_unused:UNUSED_PAD src0_sel:DWORD src1_sel:WORD_0
	v_mov_b32_e32 v76, v31
.LBB54_175:                             ;   in Loop: Header=BB54_166 Depth=1
	s_or_b64 exec, exec, s[64:65]
	s_waitcnt lgkmcnt(0)
	ds_bpermute_b32 v78, v64, v77
	v_cmp_le_u32_e32 vcc, v65, v30
	s_and_saveexec_b64 s[64:65], vcc
	s_cbranch_execz .LBB54_177
; %bb.176:                              ;   in Loop: Header=BB54_166 Depth=1
	s_waitcnt lgkmcnt(0)
	v_lshlrev_b32_e32 v31, 16, v78
	v_lshlrev_b32_e32 v77, 16, v26
	v_cmp_lt_f32_e32 vcc, v31, v77
	v_cndmask_b32_e32 v31, v78, v26, vcc
	v_cmp_eq_u16_e32 vcc, 0, v76
	v_cndmask_b32_e32 v26, v26, v31, vcc
	v_and_b32_e32 v31, 1, v76
	v_and_b32_sdwa v76, v78, v75 dst_sel:DWORD dst_unused:UNUSED_PAD src0_sel:WORD_1 src1_sel:DWORD
	v_cmp_eq_u32_e32 vcc, 1, v31
	v_cndmask_b32_e64 v31, v76, 1, vcc
	v_lshlrev_b32_e32 v76, 16, v31
	v_or_b32_sdwa v77, v76, v26 dst_sel:DWORD dst_unused:UNUSED_PAD src0_sel:DWORD src1_sel:WORD_0
	v_mov_b32_e32 v76, v31
.LBB54_177:                             ;   in Loop: Header=BB54_166 Depth=1
	;; [unrolled: 22-line block ×4, first 2 shown]
	s_or_b64 exec, exec, s[64:65]
	ds_bpermute_b32 v77, v71, v77
	v_cmp_le_u32_e32 vcc, v73, v30
	s_and_saveexec_b64 s[64:65], vcc
	s_cbranch_execz .LBB54_165
; %bb.182:                              ;   in Loop: Header=BB54_166 Depth=1
	s_waitcnt lgkmcnt(0)
	v_lshlrev_b32_e32 v30, 16, v77
	v_lshlrev_b32_e32 v31, 16, v26
	v_cmp_lt_f32_e32 vcc, v30, v31
	v_cndmask_b32_e32 v30, v77, v26, vcc
	v_cmp_eq_u16_e32 vcc, 0, v76
	v_cndmask_b32_e32 v26, v26, v30, vcc
	v_and_b32_e32 v30, 1, v76
	v_lshrrev_b32_e32 v31, 16, v77
	v_cmp_eq_u32_e32 vcc, 1, v30
	v_cndmask_b32_e64 v31, v31, 1, vcc
	s_branch .LBB54_165
.LBB54_183:                             ;   in Loop: Header=BB54_166 Depth=1
                                        ; implicit-def: $vgpr76
                                        ; implicit-def: $vgpr26
	s_cbranch_execz .LBB54_166
; %bb.184:
	s_and_saveexec_b64 s[64:65], s[52:53]
	s_cbranch_execz .LBB54_186
; %bb.185:
	v_lshlrev_b32_e32 v24, 16, v22
	v_lshlrev_b32_e32 v25, 16, v72
	v_and_b32_e32 v23, 0xff0000, v22
	v_cmp_lt_f32_e32 vcc, v25, v24
	v_cndmask_b32_e32 v24, v72, v22, vcc
	v_cmp_eq_u32_e32 vcc, 0, v23
	s_mov_b32 s7, 0
	v_cndmask_b32_e32 v23, v22, v24, vcc
	v_and_b32_e32 v22, 0x10000, v22
	v_mov_b32_e32 v24, 1
	s_add_i32 s6, s6, 64
	v_and_b32_sdwa v24, v70, v24 dst_sel:WORD_1 dst_unused:UNUSED_PAD src0_sel:DWORD src1_sel:DWORD
	v_and_b32_e32 v25, 0xffff, v23
	s_lshl_b64 s[6:7], s[6:7], 3
	v_mov_b32_e32 v23, 0x10000
	v_cmp_eq_u32_e32 vcc, 0, v22
	s_add_u32 s6, s60, s6
	v_cndmask_b32_e32 v22, v23, v24, vcc
	s_addc_u32 s7, s61, s7
	v_mov_b32_e32 v26, 0
	v_mov_b32_e32 v23, 2
	v_or_b32_e32 v22, v22, v25
	global_store_dwordx2 v26, v[22:23], s[6:7]
.LBB54_186:
	s_or_b64 exec, exec, s[64:65]
	v_cmp_eq_u32_e32 vcc, 0, v0
	s_and_b64 exec, exec, vcc
	s_cbranch_execz .LBB54_188
; %bb.187:
	v_mov_b32_e32 v22, 0
	ds_write_b16 v22, v72
	ds_write_b8 v22, v70 offset:2
.LBB54_188:
	s_or_b64 exec, exec, s[58:59]
	v_mov_b32_e32 v22, 0
	s_waitcnt lgkmcnt(0)
	; wave barrier
	s_waitcnt lgkmcnt(0)
	ds_read_b32 v23, v22
	v_lshrrev_b32_e32 v25, 16, v50
	v_cmp_ne_u32_e32 vcc, 0, v0
	v_mov_b32_e32 v24, v50
	s_and_saveexec_b64 s[6:7], vcc
; %bb.189:
	v_lshlrev_b32_e32 v24, 16, v60
	s_mov_b32 s52, 0x10000
	v_cmp_gt_f32_e32 vcc, v59, v24
	v_cndmask_b32_e32 v24, v60, v50, vcc
	v_cmp_gt_u32_e32 vcc, s52, v50
	v_and_b32_e32 v25, 0x10000, v50
	v_mov_b32_e32 v26, 1
	v_cndmask_b32_e32 v24, v50, v24, vcc
	v_and_b32_sdwa v26, v60, v26 dst_sel:DWORD dst_unused:UNUSED_PAD src0_sel:WORD_1 src1_sel:DWORD
	v_cmp_ne_u32_e32 vcc, 0, v25
	v_cndmask_b32_e64 v25, v26, 1, vcc
; %bb.190:
	s_or_b64 exec, exec, s[6:7]
	s_waitcnt lgkmcnt(0)
	v_lshlrev_b32_e32 v26, 16, v23
	v_lshlrev_b32_e32 v27, 16, v24
	v_cmp_lt_f32_e32 vcc, v26, v27
	v_cndmask_b32_e32 v23, v23, v24, vcc
	v_cmp_eq_u16_sdwa vcc, v25, v22 src0_sel:BYTE_0 src1_sel:DWORD
	v_cndmask_b32_e32 v23, v24, v23, vcc
	v_lshlrev_b32_e32 v24, 16, v23
	v_cmp_gt_f32_e32 vcc, v57, v24
	v_and_b32_e32 v22, 0xffff, v23
	v_cndmask_b32_e32 v23, v23, v51, vcc
	v_cndmask_b32_e64 v23, v51, v23, s[2:3]
	v_lshlrev_b32_e32 v24, 16, v23
	v_cmp_gt_f32_e32 vcc, v56, v24
	v_cndmask_b32_e32 v24, v23, v1, vcc
	v_cndmask_b32_e64 v24, v1, v24, s[54:55]
	v_lshlrev_b32_e32 v25, 16, v24
	v_cmp_gt_f32_e32 vcc, v55, v25
	;; [unrolled: 4-line block ×22, first 2 shown]
	v_cndmask_b32_e32 v72, v71, v32, vcc
	v_cndmask_b32_e64 v72, v32, v72, s[50:51]
	s_branch .LBB54_237
.LBB54_191:
	s_or_b64 exec, exec, s[66:67]
                                        ; implicit-def: $vgpr6
	s_and_saveexec_b64 s[2:3], s[54:55]
	s_cbranch_execz .LBB54_53
.LBB54_192:
	global_load_ushort v6, v[2:3], off offset:128
	s_or_b64 exec, exec, s[2:3]
                                        ; implicit-def: $vgpr7
	s_and_saveexec_b64 s[2:3], s[8:9]
	s_cbranch_execnz .LBB54_54
.LBB54_193:
	s_or_b64 exec, exec, s[2:3]
                                        ; implicit-def: $vgpr8
	s_and_saveexec_b64 s[2:3], s[10:11]
	s_cbranch_execz .LBB54_55
.LBB54_194:
	global_load_ushort v8, v[2:3], off offset:384
	s_or_b64 exec, exec, s[2:3]
                                        ; implicit-def: $vgpr9
	s_and_saveexec_b64 s[2:3], s[12:13]
	s_cbranch_execnz .LBB54_56
.LBB54_195:
	s_or_b64 exec, exec, s[2:3]
                                        ; implicit-def: $vgpr10
	s_and_saveexec_b64 s[2:3], s[14:15]
	s_cbranch_execz .LBB54_57
.LBB54_196:
	global_load_ushort v10, v[2:3], off offset:640
	s_or_b64 exec, exec, s[2:3]
                                        ; implicit-def: $vgpr11
	s_and_saveexec_b64 s[2:3], s[16:17]
	s_cbranch_execnz .LBB54_58
.LBB54_197:
	s_or_b64 exec, exec, s[2:3]
                                        ; implicit-def: $vgpr12
	s_and_saveexec_b64 s[2:3], s[18:19]
	s_cbranch_execz .LBB54_59
.LBB54_198:
	global_load_ushort v12, v[2:3], off offset:896
	s_or_b64 exec, exec, s[2:3]
                                        ; implicit-def: $vgpr13
	s_and_saveexec_b64 s[2:3], s[20:21]
	s_cbranch_execnz .LBB54_60
.LBB54_199:
	s_or_b64 exec, exec, s[2:3]
                                        ; implicit-def: $vgpr14
	s_and_saveexec_b64 s[2:3], s[22:23]
	s_cbranch_execz .LBB54_61
.LBB54_200:
	global_load_ushort v14, v[2:3], off offset:1152
	s_or_b64 exec, exec, s[2:3]
                                        ; implicit-def: $vgpr15
	s_and_saveexec_b64 s[2:3], s[24:25]
	s_cbranch_execnz .LBB54_62
.LBB54_201:
	s_or_b64 exec, exec, s[2:3]
                                        ; implicit-def: $vgpr16
	s_and_saveexec_b64 s[2:3], s[26:27]
	s_cbranch_execz .LBB54_63
.LBB54_202:
	global_load_ushort v16, v[2:3], off offset:1408
	s_or_b64 exec, exec, s[2:3]
                                        ; implicit-def: $vgpr17
	s_and_saveexec_b64 s[2:3], s[28:29]
	s_cbranch_execnz .LBB54_64
.LBB54_203:
	s_or_b64 exec, exec, s[2:3]
                                        ; implicit-def: $vgpr18
	s_and_saveexec_b64 s[2:3], s[30:31]
	s_cbranch_execz .LBB54_65
.LBB54_204:
	global_load_ushort v18, v[2:3], off offset:1664
	s_or_b64 exec, exec, s[2:3]
                                        ; implicit-def: $vgpr19
	s_and_saveexec_b64 s[2:3], s[34:35]
	s_cbranch_execnz .LBB54_66
.LBB54_205:
	s_or_b64 exec, exec, s[2:3]
                                        ; implicit-def: $vgpr20
	s_and_saveexec_b64 s[2:3], s[36:37]
	s_cbranch_execz .LBB54_67
.LBB54_206:
	global_load_ushort v20, v[2:3], off offset:1920
	s_or_b64 exec, exec, s[2:3]
                                        ; implicit-def: $vgpr21
	s_and_saveexec_b64 s[2:3], s[38:39]
	s_cbranch_execnz .LBB54_68
.LBB54_207:
	s_or_b64 exec, exec, s[2:3]
                                        ; implicit-def: $vgpr48
	s_and_saveexec_b64 s[2:3], s[40:41]
	s_cbranch_execz .LBB54_69
.LBB54_208:
	global_load_ushort v48, v[2:3], off offset:2176
	s_or_b64 exec, exec, s[2:3]
                                        ; implicit-def: $vgpr49
	s_and_saveexec_b64 s[2:3], s[42:43]
	s_cbranch_execnz .LBB54_70
.LBB54_209:
	s_or_b64 exec, exec, s[2:3]
                                        ; implicit-def: $vgpr50
	s_and_saveexec_b64 s[2:3], s[44:45]
	s_cbranch_execz .LBB54_71
.LBB54_210:
	global_load_ushort v50, v[2:3], off offset:2432
	s_or_b64 exec, exec, s[2:3]
                                        ; implicit-def: $vgpr51
	s_and_saveexec_b64 s[2:3], s[46:47]
	s_cbranch_execnz .LBB54_72
.LBB54_211:
	s_or_b64 exec, exec, s[2:3]
                                        ; implicit-def: $vgpr53
	s_and_saveexec_b64 s[2:3], s[48:49]
	s_cbranch_execz .LBB54_73
.LBB54_212:
	global_load_ushort v53, v[2:3], off offset:2688
	s_or_b64 exec, exec, s[2:3]
                                        ; implicit-def: $vgpr55
	s_and_saveexec_b64 s[2:3], s[50:51]
	s_cbranch_execz .LBB54_75
	s_branch .LBB54_74
.LBB54_213:
                                        ; implicit-def: $vgpr22
                                        ; implicit-def: $vgpr23
                                        ; implicit-def: $vgpr24
                                        ; implicit-def: $vgpr25
                                        ; implicit-def: $vgpr26
                                        ; implicit-def: $vgpr27
                                        ; implicit-def: $vgpr28
                                        ; implicit-def: $vgpr30
                                        ; implicit-def: $vgpr29
                                        ; implicit-def: $vgpr31
                                        ; implicit-def: $vgpr59
                                        ; implicit-def: $vgpr60
                                        ; implicit-def: $vgpr61
                                        ; implicit-def: $vgpr62
                                        ; implicit-def: $vgpr63
                                        ; implicit-def: $vgpr65
                                        ; implicit-def: $vgpr64
                                        ; implicit-def: $vgpr66
                                        ; implicit-def: $vgpr67
                                        ; implicit-def: $vgpr68
                                        ; implicit-def: $vgpr69
                                        ; implicit-def: $vgpr70
                                        ; implicit-def: $vgpr71
                                        ; implicit-def: $vgpr72
	s_cbranch_execz .LBB54_237
; %bb.214:
	s_cmp_lg_u64 s[56:57], 0
	s_cselect_b64 s[6:7], -1, 0
	v_cmp_eq_u32_e32 vcc, 0, v0
	v_cmp_ne_u32_e64 s[2:3], 0, v0
	s_and_b64 s[6:7], vcc, s[6:7]
	s_and_saveexec_b64 s[8:9], s[6:7]
	s_cbranch_execz .LBB54_216
; %bb.215:
	v_mov_b32_e32 v22, 0
	global_load_ushort v23, v22, s[56:57]
	global_load_ubyte v24, v22, s[56:57] offset:2
	v_lshlrev_b32_e32 v22, 16, v50
	s_mov_b32 s10, 0x10000
	v_and_b32_e32 v25, 0x10000, v50
	v_mov_b32_e32 v26, 1
	v_mov_b32_e32 v27, 0x10000
	s_waitcnt vmcnt(1)
	v_lshlrev_b32_e32 v28, 16, v23
	v_cmp_lt_f32_e64 s[6:7], v28, v22
	v_cndmask_b32_e64 v22, v23, v50, s[6:7]
	v_cmp_gt_u32_e64 s[6:7], s10, v50
	s_waitcnt vmcnt(0)
	v_and_b32_sdwa v24, v24, v26 dst_sel:WORD_1 dst_unused:UNUSED_PAD src0_sel:DWORD src1_sel:DWORD
	v_cndmask_b32_e64 v22, v50, v22, s[6:7]
	v_cmp_eq_u32_e64 s[6:7], 0, v25
	v_cndmask_b32_e64 v23, v27, v24, s[6:7]
	v_or_b32_sdwa v50, v23, v22 dst_sel:DWORD dst_unused:UNUSED_PAD src0_sel:DWORD src1_sel:WORD_0
.LBB54_216:
	s_or_b64 exec, exec, s[8:9]
	v_lshlrev_b32_e32 v22, 16, v50
	s_mov_b32 s56, 0x10000
	v_cmp_lt_f32_e64 s[6:7], v22, v57
	v_cndmask_b32_e64 v23, v50, v51, s[6:7]
	v_cmp_gt_u32_e64 s[6:7], s56, v51
	v_cndmask_b32_e64 v23, v51, v23, s[6:7]
	v_and_b32_e32 v25, 0x10000, v51
	v_cmp_ne_u32_e64 s[54:55], 0, v25
	v_lshlrev_b32_e32 v25, 16, v23
	v_cmp_lt_f32_e64 s[8:9], v25, v56
	v_cndmask_b32_e64 v23, v23, v1, s[8:9]
	v_cmp_gt_u32_e64 s[8:9], s56, v1
	v_cndmask_b32_e64 v23, v1, v23, s[8:9]
	v_lshlrev_b32_e32 v25, 16, v23
	v_cmp_lt_f32_e64 s[10:11], v25, v55
	v_cndmask_b32_e64 v23, v23, v18, s[10:11]
	v_cmp_gt_u32_e64 s[10:11], s56, v18
	v_cndmask_b32_e64 v23, v18, v23, s[10:11]
	;; [unrolled: 5-line block ×4, first 2 shown]
	v_lshlrev_b32_e32 v25, 16, v23
	v_cmp_lt_f32_e64 s[16:17], v25, v52
	v_bfe_u32 v25, v19, 16, 1
	v_mov_b32_e32 v26, 1
	v_lshlrev_b16_e32 v25, 1, v25
	v_and_b32_sdwa v28, v18, v26 dst_sel:DWORD dst_unused:UNUSED_PAD src0_sel:WORD_1 src1_sel:DWORD
	v_or_b32_e32 v25, v28, v25
	v_bfe_u32 v28, v21, 16, 1
	v_and_b32_sdwa v29, v20, v26 dst_sel:DWORD dst_unused:UNUSED_PAD src0_sel:WORD_1 src1_sel:DWORD
	v_cndmask_b32_e64 v23, v23, v21, s[16:17]
	v_cmp_gt_u32_e64 s[16:17], s56, v21
	v_lshlrev_b16_e32 v28, 3, v28
	v_lshlrev_b16_e32 v29, 2, v29
	v_cndmask_b32_e64 v23, v21, v23, s[16:17]
	v_or_b32_e32 v28, v28, v29
	v_or_b32_e32 v28, v25, v28
	v_lshlrev_b32_e32 v25, 16, v23
	v_cmp_lt_f32_e64 s[18:19], v25, v49
	v_cndmask_b32_e64 v23, v23, v2, s[18:19]
	v_cmp_gt_u32_e64 s[18:19], s56, v2
	v_cndmask_b32_e64 v23, v2, v23, s[18:19]
	v_lshlrev_b32_e32 v25, 16, v23
	v_cmp_lt_f32_e64 s[20:21], v25, v48
	v_cndmask_b32_e64 v23, v23, v3, s[20:21]
	v_cmp_gt_u32_e64 s[20:21], s56, v3
	v_cndmask_b32_e64 v23, v3, v23, s[20:21]
	v_lshlrev_b32_e32 v25, 16, v23
	v_cmp_lt_f32_e64 s[22:23], v25, v47
	v_cndmask_b32_e64 v23, v23, v4, s[22:23]
	v_cmp_gt_u32_e64 s[22:23], s56, v4
	v_cndmask_b32_e64 v23, v4, v23, s[22:23]
	v_lshlrev_b32_e32 v25, 16, v23
	v_cmp_lt_f32_e64 s[24:25], v25, v46
	v_cndmask_b32_e64 v23, v23, v5, s[24:25]
	v_cmp_gt_u32_e64 s[24:25], s56, v5
	v_cndmask_b32_e64 v23, v5, v23, s[24:25]
	v_lshlrev_b32_e32 v25, 16, v23
	v_cmp_lt_f32_e64 s[26:27], v25, v45
	v_cndmask_b32_e64 v23, v23, v6, s[26:27]
	v_cmp_gt_u32_e64 s[26:27], s56, v6
	v_cndmask_b32_e64 v23, v6, v23, s[26:27]
	v_lshlrev_b32_e32 v25, 16, v23
	v_cmp_lt_f32_e64 s[28:29], v25, v44
	v_cndmask_b32_e64 v23, v23, v7, s[28:29]
	v_cmp_gt_u32_e64 s[28:29], s56, v7
	v_cndmask_b32_e64 v23, v7, v23, s[28:29]
	v_lshlrev_b32_e32 v25, 16, v23
	v_cmp_lt_f32_e64 s[30:31], v25, v43
	v_cndmask_b32_e64 v23, v23, v8, s[30:31]
	v_cmp_gt_u32_e64 s[30:31], s56, v8
	v_cndmask_b32_e64 v23, v8, v23, s[30:31]
	v_lshlrev_b32_e32 v25, 16, v23
	v_cmp_lt_f32_e64 s[34:35], v25, v42
	v_cndmask_b32_e64 v23, v23, v9, s[34:35]
	v_cmp_gt_u32_e64 s[34:35], s56, v9
	v_cndmask_b32_e64 v23, v9, v23, s[34:35]
	v_lshlrev_b32_e32 v25, 16, v23
	v_cmp_lt_f32_e64 s[36:37], v25, v41
	v_cndmask_b32_e64 v23, v23, v10, s[36:37]
	v_cmp_gt_u32_e64 s[36:37], s56, v10
	v_cndmask_b32_e64 v23, v10, v23, s[36:37]
	v_lshlrev_b32_e32 v25, 16, v23
	v_cmp_lt_f32_e64 s[38:39], v25, v40
	v_cndmask_b32_e64 v23, v23, v11, s[38:39]
	v_cmp_gt_u32_e64 s[38:39], s56, v11
	v_cndmask_b32_e64 v23, v11, v23, s[38:39]
	v_lshlrev_b32_e32 v25, 16, v23
	v_cmp_lt_f32_e64 s[40:41], v25, v39
	v_cndmask_b32_e64 v23, v23, v12, s[40:41]
	v_cmp_gt_u32_e64 s[40:41], s56, v12
	v_cndmask_b32_e64 v23, v12, v23, s[40:41]
	v_lshlrev_b32_e32 v25, 16, v23
	v_cmp_lt_f32_e64 s[42:43], v25, v38
	v_cndmask_b32_e64 v23, v23, v13, s[42:43]
	v_cmp_gt_u32_e64 s[42:43], s56, v13
	v_cndmask_b32_e64 v23, v13, v23, s[42:43]
	v_lshlrev_b32_e32 v25, 16, v23
	v_cmp_lt_f32_e64 s[44:45], v25, v37
	v_cndmask_b32_e64 v23, v23, v14, s[44:45]
	v_cmp_gt_u32_e64 s[44:45], s56, v14
	v_cndmask_b32_e64 v23, v14, v23, s[44:45]
	v_lshlrev_b32_e32 v25, 16, v23
	v_cmp_lt_f32_e64 s[46:47], v25, v36
	v_cndmask_b32_e64 v23, v23, v15, s[46:47]
	v_cmp_gt_u32_e64 s[46:47], s56, v15
	v_cndmask_b32_e64 v23, v15, v23, s[46:47]
	v_lshlrev_b32_e32 v25, 16, v23
	v_cmp_lt_f32_e64 s[48:49], v25, v35
	v_cndmask_b32_e64 v23, v23, v16, s[48:49]
	v_cmp_gt_u32_e64 s[48:49], s56, v16
	v_cndmask_b32_e64 v23, v16, v23, s[48:49]
	v_lshlrev_b32_e32 v25, 16, v23
	v_cmp_lt_f32_e64 s[50:51], v25, v34
	v_bfe_u32 v25, v11, 16, 1
	v_lshlrev_b16_e32 v25, 1, v25
	v_and_b32_sdwa v29, v10, v26 dst_sel:DWORD dst_unused:UNUSED_PAD src0_sel:WORD_1 src1_sel:DWORD
	v_or_b32_e32 v25, v29, v25
	v_bfe_u32 v29, v13, 16, 1
	v_and_b32_sdwa v30, v12, v26 dst_sel:DWORD dst_unused:UNUSED_PAD src0_sel:WORD_1 src1_sel:DWORD
	v_lshlrev_b16_e32 v29, 3, v29
	v_lshlrev_b16_e32 v30, 2, v30
	v_or_b32_e32 v29, v29, v30
	v_or_b32_sdwa v25, v25, v29 dst_sel:BYTE_1 dst_unused:UNUSED_PAD src0_sel:DWORD src1_sel:DWORD
	v_bfe_u32 v29, v15, 16, 1
	v_lshlrev_b16_e32 v29, 1, v29
	v_and_b32_sdwa v30, v14, v26 dst_sel:DWORD dst_unused:UNUSED_PAD src0_sel:WORD_1 src1_sel:DWORD
	v_or_b32_e32 v29, v30, v29
	v_bfe_u32 v30, v17, 16, 1
	v_and_b32_sdwa v31, v16, v26 dst_sel:DWORD dst_unused:UNUSED_PAD src0_sel:WORD_1 src1_sel:DWORD
	v_lshlrev_b16_e32 v30, 3, v30
	v_lshlrev_b16_e32 v31, 2, v31
	v_or_b32_e32 v30, v30, v31
	v_or_b32_e32 v29, v29, v30
	v_lshlrev_b16_e32 v29, 12, v29
	v_or_b32_e32 v25, v29, v25
	v_bfe_u32 v29, v3, 16, 1
	v_lshlrev_b16_e32 v29, 1, v29
	v_and_b32_sdwa v30, v2, v26 dst_sel:DWORD dst_unused:UNUSED_PAD src0_sel:WORD_1 src1_sel:DWORD
	v_or_b32_e32 v29, v30, v29
	v_bfe_u32 v30, v5, 16, 1
	v_and_b32_sdwa v31, v4, v26 dst_sel:DWORD dst_unused:UNUSED_PAD src0_sel:WORD_1 src1_sel:DWORD
	v_lshlrev_b16_e32 v30, 3, v30
	v_lshlrev_b16_e32 v31, 2, v31
	v_or_b32_e32 v30, v30, v31
	v_or_b32_e32 v29, v29, v30
	v_bfe_u32 v30, v7, 16, 1
	v_lshlrev_b16_e32 v30, 1, v30
	v_and_b32_sdwa v31, v6, v26 dst_sel:DWORD dst_unused:UNUSED_PAD src0_sel:WORD_1 src1_sel:DWORD
	v_or_b32_e32 v30, v31, v30
	v_bfe_u32 v31, v9, 16, 1
	v_and_b32_sdwa v59, v8, v26 dst_sel:DWORD dst_unused:UNUSED_PAD src0_sel:WORD_1 src1_sel:DWORD
	v_lshlrev_b16_e32 v31, 3, v31
	v_lshlrev_b16_e32 v59, 2, v59
	v_or_b32_e32 v31, v31, v59
	v_or_b32_e32 v30, v30, v31
	v_cndmask_b32_e64 v23, v23, v17, s[50:51]
	v_cmp_gt_u32_e64 s[50:51], s56, v17
	v_lshlrev_b16_e32 v30, 4, v30
	v_cndmask_b32_e64 v23, v17, v23, s[50:51]
	v_or_b32_e32 v29, v29, v30
	v_or_b32_sdwa v29, v29, v25 dst_sel:DWORD dst_unused:UNUSED_PAD src0_sel:BYTE_0 src1_sel:DWORD
	v_lshlrev_b32_e32 v25, 16, v23
	v_cmp_lt_f32_e64 s[52:53], v25, v33
	v_cndmask_b32_e64 v23, v23, v32, s[52:53]
	v_cmp_gt_u32_e64 s[52:53], s56, v32
	v_cndmask_b32_e64 v25, v32, v23, s[52:53]
	v_or_b32_e32 v23, v29, v28
	v_cmp_ne_u16_e64 s[56:57], 0, v23
	v_or_b32_e32 v23, v32, v1
	v_and_b32_e32 v23, 0x10000, v23
	v_cmp_ne_u32_e64 s[58:59], 0, v23
	s_or_b64 s[56:57], s[58:59], s[56:57]
	v_mov_b32_e32 v24, 0x10000
	v_and_b32_e32 v27, 0x10000, v50
	s_or_b64 s[54:55], s[56:57], s[54:55]
	v_cndmask_b32_e64 v27, v27, v24, s[54:55]
	v_mbcnt_hi_u32_b32 v23, -1, v58
	v_and_b32_e32 v29, 15, v23
	v_or_b32_sdwa v28, v27, v25 dst_sel:DWORD dst_unused:UNUSED_PAD src0_sel:DWORD src1_sel:WORD_0
	v_lshrrev_b32_e32 v24, 16, v27
	v_cmp_ne_u32_e64 s[54:55], 0, v29
	v_mov_b32_dpp v30, v28 row_shr:1 row_mask:0xf bank_mask:0xf
	s_and_saveexec_b64 s[56:57], s[54:55]
	s_cbranch_execz .LBB54_218
; %bb.217:
	v_and_b32_e32 v24, 0x10000, v27
	v_and_b32_sdwa v26, v30, v26 dst_sel:DWORD dst_unused:UNUSED_PAD src0_sel:WORD_1 src1_sel:DWORD
	v_cmp_ne_u32_e64 s[54:55], 0, v24
	v_cndmask_b32_e64 v24, v26, 1, s[54:55]
	v_mov_b32_e32 v26, 16
	v_lshlrev_b32_sdwa v26, v26, v25 dst_sel:DWORD dst_unused:UNUSED_PAD src0_sel:DWORD src1_sel:WORD_0
	v_lshlrev_b32_e32 v28, 16, v30
	v_cmp_lt_f32_e64 s[54:55], v28, v26
	v_cndmask_b32_e64 v26, v30, v25, s[54:55]
	v_cmp_eq_u32_e64 s[54:55], 0, v27
	v_cndmask_b32_e64 v25, v25, v26, s[54:55]
	v_lshlrev_b32_e32 v26, 16, v24
	v_or_b32_sdwa v28, v26, v25 dst_sel:DWORD dst_unused:UNUSED_PAD src0_sel:DWORD src1_sel:WORD_0
.LBB54_218:
	s_or_b64 exec, exec, s[56:57]
	v_lshrrev_b32_e32 v27, 16, v28
	v_mov_b32_dpp v30, v28 row_shr:2 row_mask:0xf bank_mask:0xf
	v_cmp_lt_u32_e64 s[54:55], 1, v29
	v_mov_b32_e32 v26, v28
	s_and_saveexec_b64 s[56:57], s[54:55]
	s_cbranch_execz .LBB54_220
; %bb.219:
	v_and_b32_e32 v24, 0x10000, v28
	v_mov_b32_e32 v25, 1
	v_and_b32_sdwa v25, v30, v25 dst_sel:DWORD dst_unused:UNUSED_PAD src0_sel:WORD_1 src1_sel:DWORD
	v_cmp_ne_u32_e64 s[54:55], 0, v24
	v_cndmask_b32_e64 v24, v25, 1, s[54:55]
	v_lshlrev_b32_e32 v25, 16, v28
	v_lshlrev_b32_e32 v26, 16, v30
	s_mov_b32 s58, 0x10000
	v_cmp_lt_f32_e64 s[54:55], v26, v25
	v_cndmask_b32_e64 v25, v30, v28, s[54:55]
	v_cmp_gt_u32_e64 s[54:55], s58, v28
	v_cndmask_b32_e64 v25, v28, v25, s[54:55]
	v_lshlrev_b32_e32 v26, 16, v24
	v_or_b32_sdwa v28, v26, v25 dst_sel:DWORD dst_unused:UNUSED_PAD src0_sel:DWORD src1_sel:WORD_0
	v_mov_b32_e32 v26, v25
	v_mov_b32_e32 v27, v24
.LBB54_220:
	s_or_b64 exec, exec, s[56:57]
	v_mov_b32_dpp v30, v28 row_shr:4 row_mask:0xf bank_mask:0xf
	v_cmp_lt_u32_e64 s[54:55], 3, v29
	s_and_saveexec_b64 s[56:57], s[54:55]
	s_cbranch_execz .LBB54_222
; %bb.221:
	v_and_b32_e32 v24, 1, v27
	v_mov_b32_e32 v25, 1
	v_and_b32_sdwa v25, v30, v25 dst_sel:DWORD dst_unused:UNUSED_PAD src0_sel:WORD_1 src1_sel:DWORD
	v_cmp_eq_u32_e64 s[54:55], 1, v24
	v_cndmask_b32_e64 v24, v25, 1, s[54:55]
	v_lshlrev_b32_e32 v25, 16, v30
	v_lshlrev_b32_e32 v28, 16, v26
	v_cmp_lt_f32_e64 s[54:55], v25, v28
	v_cndmask_b32_e64 v25, v30, v26, s[54:55]
	v_cmp_eq_u16_e64 s[54:55], 0, v27
	v_cndmask_b32_e64 v25, v26, v25, s[54:55]
	v_lshlrev_b32_e32 v26, 16, v24
	v_or_b32_sdwa v28, v26, v25 dst_sel:DWORD dst_unused:UNUSED_PAD src0_sel:DWORD src1_sel:WORD_0
	v_mov_b32_e32 v26, v25
	v_mov_b32_e32 v27, v24
.LBB54_222:
	s_or_b64 exec, exec, s[56:57]
	v_mov_b32_dpp v30, v28 row_shr:8 row_mask:0xf bank_mask:0xf
	v_cmp_lt_u32_e64 s[54:55], 7, v29
	s_and_saveexec_b64 s[56:57], s[54:55]
	s_cbranch_execz .LBB54_224
; %bb.223:
	v_and_b32_e32 v24, 1, v27
	v_mov_b32_e32 v25, 1
	v_and_b32_sdwa v25, v30, v25 dst_sel:DWORD dst_unused:UNUSED_PAD src0_sel:WORD_1 src1_sel:DWORD
	v_cmp_eq_u32_e64 s[54:55], 1, v24
	v_cndmask_b32_e64 v24, v25, 1, s[54:55]
	v_lshlrev_b32_e32 v25, 16, v30
	v_lshlrev_b32_e32 v28, 16, v26
	v_cmp_lt_f32_e64 s[54:55], v25, v28
	v_cndmask_b32_e64 v25, v30, v26, s[54:55]
	v_cmp_eq_u16_e64 s[54:55], 0, v27
	v_cndmask_b32_e64 v25, v26, v25, s[54:55]
	v_lshlrev_b32_e32 v26, 16, v24
	v_or_b32_sdwa v28, v26, v25 dst_sel:DWORD dst_unused:UNUSED_PAD src0_sel:DWORD src1_sel:WORD_0
	v_mov_b32_e32 v26, v25
	v_mov_b32_e32 v27, v24
.LBB54_224:
	s_or_b64 exec, exec, s[56:57]
	v_and_b32_e32 v30, 16, v23
	v_mov_b32_dpp v29, v28 row_bcast:15 row_mask:0xf bank_mask:0xf
	v_cmp_ne_u32_e64 s[54:55], 0, v30
	s_and_saveexec_b64 s[56:57], s[54:55]
	s_cbranch_execz .LBB54_226
; %bb.225:
	v_and_b32_e32 v24, 1, v27
	v_mov_b32_e32 v25, 1
	v_and_b32_sdwa v25, v29, v25 dst_sel:DWORD dst_unused:UNUSED_PAD src0_sel:WORD_1 src1_sel:DWORD
	v_cmp_eq_u32_e64 s[54:55], 1, v24
	v_cndmask_b32_e64 v24, v25, 1, s[54:55]
	v_lshlrev_b32_e32 v25, 16, v29
	v_lshlrev_b32_e32 v28, 16, v26
	v_cmp_lt_f32_e64 s[54:55], v25, v28
	v_cndmask_b32_e64 v25, v29, v26, s[54:55]
	v_cmp_eq_u16_e64 s[54:55], 0, v27
	v_cndmask_b32_e64 v25, v26, v25, s[54:55]
	v_lshlrev_b32_e32 v26, 16, v24
	v_or_b32_sdwa v28, v26, v25 dst_sel:DWORD dst_unused:UNUSED_PAD src0_sel:DWORD src1_sel:WORD_0
	v_mov_b32_e32 v26, v25
	v_mov_b32_e32 v27, v24
.LBB54_226:
	s_or_b64 exec, exec, s[56:57]
	v_mov_b32_dpp v28, v28 row_bcast:31 row_mask:0xf bank_mask:0xf
	v_cmp_lt_u32_e64 s[54:55], 31, v23
	s_and_saveexec_b64 s[56:57], s[54:55]
	s_cbranch_execz .LBB54_228
; %bb.227:
	v_and_b32_e32 v24, 1, v27
	v_mov_b32_e32 v25, 1
	v_and_b32_sdwa v25, v28, v25 dst_sel:DWORD dst_unused:UNUSED_PAD src0_sel:WORD_1 src1_sel:DWORD
	v_cmp_eq_u32_e64 s[54:55], 1, v24
	v_cndmask_b32_e64 v24, v25, 1, s[54:55]
	v_lshlrev_b32_e32 v25, 16, v28
	v_lshlrev_b32_e32 v29, 16, v26
	v_cmp_lt_f32_e64 s[54:55], v25, v29
	v_cndmask_b32_e64 v25, v28, v26, s[54:55]
	v_cmp_eq_u16_e64 s[54:55], 0, v27
	v_cndmask_b32_e64 v25, v26, v25, s[54:55]
	v_mov_b32_e32 v27, v24
	v_mov_b32_e32 v26, v25
.LBB54_228:
	s_or_b64 exec, exec, s[56:57]
	v_cmp_eq_u32_e64 s[54:55], 63, v0
	s_and_saveexec_b64 s[56:57], s[54:55]
	s_cbranch_execz .LBB54_230
; %bb.229:
	v_mov_b32_e32 v28, 0
	ds_write_b16 v28, v26
	ds_write_b8 v28, v27 offset:2
.LBB54_230:
	s_or_b64 exec, exec, s[56:57]
	v_lshlrev_b32_e32 v24, 16, v24
	v_or_b32_sdwa v24, v24, v25 dst_sel:DWORD dst_unused:UNUSED_PAD src0_sel:DWORD src1_sel:WORD_0
	v_add_u32_e32 v25, -1, v23
	v_and_b32_e32 v26, 64, v23
	v_cmp_lt_i32_e64 s[54:55], v25, v26
	v_cndmask_b32_e64 v23, v25, v23, s[54:55]
	v_lshlrev_b32_e32 v23, 2, v23
	ds_bpermute_b32 v24, v23, v24
	s_waitcnt lgkmcnt(0)
	; wave barrier
	s_waitcnt lgkmcnt(0)
                                        ; implicit-def: $vgpr23
	s_and_saveexec_b64 s[54:55], s[2:3]
	s_xor_b64 s[54:55], exec, s[54:55]
	s_cbranch_execz .LBB54_232
; %bb.231:
	s_waitcnt lgkmcnt(0)
	v_lshlrev_b32_e32 v25, 16, v24
	v_and_b32_e32 v23, 0xff0000, v50
	v_cmp_gt_f32_e64 s[2:3], v22, v25
	v_cndmask_b32_e64 v22, v24, v50, s[2:3]
	v_cmp_eq_u32_e64 s[2:3], 0, v23
	v_cndmask_b32_e64 v50, v50, v22, s[2:3]
	v_and_b32_e32 v23, 0xffff, v50
.LBB54_232:
	s_or_saveexec_b64 s[2:3], s[54:55]
	v_mov_b32_e32 v22, v23
	s_xor_b64 exec, exec, s[2:3]
; %bb.233:
	v_and_b32_e32 v23, 0xffff, v50
	v_mov_b32_e32 v22, v50
; %bb.234:
	s_or_b64 exec, exec, s[2:3]
	v_lshlrev_b32_e32 v23, 16, v23
	v_cmp_gt_f32_e64 s[2:3], v57, v23
	v_cndmask_b32_e64 v23, v50, v51, s[2:3]
	v_cndmask_b32_e64 v23, v51, v23, s[6:7]
	s_waitcnt lgkmcnt(0)
	v_lshlrev_b32_e32 v24, 16, v23
	v_cmp_gt_f32_e64 s[2:3], v56, v24
	v_cndmask_b32_e64 v24, v23, v1, s[2:3]
	v_cndmask_b32_e64 v24, v1, v24, s[8:9]
	v_lshlrev_b32_e32 v1, 16, v24
	v_cmp_gt_f32_e64 s[2:3], v55, v1
	v_cndmask_b32_e64 v1, v24, v18, s[2:3]
	v_cndmask_b32_e64 v25, v18, v1, s[10:11]
	;; [unrolled: 4-line block ×21, first 2 shown]
	v_lshlrev_b32_e32 v1, 16, v71
	v_cmp_gt_f32_e64 s[2:3], v33, v1
	v_cndmask_b32_e64 v1, v71, v32, s[2:3]
	s_and_saveexec_b64 s[2:3], vcc
	s_cbranch_execz .LBB54_236
; %bb.235:
	v_mov_b32_e32 v4, 0
	ds_read_u8 v2, v4 offset:2
	ds_read_u16 v3, v4
	s_waitcnt lgkmcnt(1)
	v_lshlrev_b32_e32 v2, 16, v2
	s_waitcnt lgkmcnt(0)
	v_or_b32_e32 v2, v2, v3
	v_mov_b32_e32 v3, 2
	global_store_dwordx2 v4, v[2:3], s[60:61] offset:512
.LBB54_236:
	s_or_b64 exec, exec, s[2:3]
	v_cndmask_b32_e64 v72, v32, v1, s[52:53]
.LBB54_237:
	s_load_dwordx2 s[2:3], s[4:5], 0x18
	v_mul_u32_u24_e32 v5, 24, v0
	v_lshlrev_b32_e32 v4, 1, v0
	s_waitcnt lgkmcnt(0)
	s_add_u32 s2, s2, s68
	s_addc_u32 s3, s3, s69
	s_and_b64 vcc, exec, s[0:1]
	s_cbranch_vccz .LBB54_285
; %bb.238:
	s_mov_b32 s0, 0x5040100
	v_lshlrev_b32_e32 v36, 1, v5
	v_perm_b32 v9, v30, v28, s0
	v_perm_b32 v8, v27, v26, s0
	;; [unrolled: 1-line block ×4, first 2 shown]
	s_waitcnt lgkmcnt(0)
	; wave barrier
	ds_write_b128 v36, v[6:9]
	v_perm_b32 v9, v65, v63, s0
	v_perm_b32 v8, v62, v61, s0
	v_perm_b32 v7, v60, v59, s0
	v_perm_b32 v6, v31, v29, s0
	ds_write_b128 v36, v[6:9] offset:16
	v_perm_b32 v9, v72, v71, s0
	v_perm_b32 v8, v70, v69, s0
	;; [unrolled: 1-line block ×4, first 2 shown]
	s_movk_i32 s0, 0xffd2
	v_mad_i32_i24 v2, v0, s0, v36
	ds_write_b128 v36, v[6:9] offset:32
	s_waitcnt lgkmcnt(0)
	; wave barrier
	s_waitcnt lgkmcnt(0)
	ds_read_u16 v39, v2 offset:128
	ds_read_u16 v38, v2 offset:256
	;; [unrolled: 1-line block ×23, first 2 shown]
	v_mov_b32_e32 v3, s3
	v_add_co_u32_e32 v2, vcc, s2, v4
	s_add_i32 s33, s33, s62
	v_addc_co_u32_e32 v3, vcc, 0, v3, vcc
	v_mov_b32_e32 v1, 0
	v_cmp_gt_u32_e32 vcc, s33, v0
	s_and_saveexec_b64 s[0:1], vcc
	s_cbranch_execz .LBB54_240
; %bb.239:
	v_mul_i32_i24_e32 v40, 0xffffffd2, v0
	v_add_u32_e32 v36, v36, v40
	ds_read_u16 v36, v36
	s_waitcnt lgkmcnt(0)
	global_store_short v[2:3], v36, off
.LBB54_240:
	s_or_b64 exec, exec, s[0:1]
	v_or_b32_e32 v36, 64, v0
	v_cmp_gt_u32_e32 vcc, s33, v36
	s_and_saveexec_b64 s[0:1], vcc
	s_cbranch_execz .LBB54_242
; %bb.241:
	s_waitcnt lgkmcnt(14)
	global_store_short v[2:3], v39, off offset:128
.LBB54_242:
	s_or_b64 exec, exec, s[0:1]
	v_or_b32_e32 v36, 0x80, v0
	v_cmp_gt_u32_e32 vcc, s33, v36
	s_and_saveexec_b64 s[0:1], vcc
	s_cbranch_execz .LBB54_244
; %bb.243:
	s_waitcnt lgkmcnt(14)
	global_store_short v[2:3], v38, off offset:256
.LBB54_244:
	;; [unrolled: 9-line block ×4, first 2 shown]
	s_or_b64 exec, exec, s[0:1]
	s_waitcnt lgkmcnt(14)
	v_or_b32_e32 v35, 0x140, v0
	v_cmp_gt_u32_e32 vcc, s33, v35
	s_and_saveexec_b64 s[0:1], vcc
	s_cbranch_execz .LBB54_250
; %bb.249:
	global_store_short v[2:3], v34, off offset:640
.LBB54_250:
	s_or_b64 exec, exec, s[0:1]
	v_or_b32_e32 v34, 0x180, v0
	v_cmp_gt_u32_e32 vcc, s33, v34
	s_and_saveexec_b64 s[0:1], vcc
	s_cbranch_execz .LBB54_252
; %bb.251:
	global_store_short v[2:3], v33, off offset:768
.LBB54_252:
	s_or_b64 exec, exec, s[0:1]
	;; [unrolled: 8-line block ×5, first 2 shown]
	v_or_b32_e32 v20, 0x280, v0
	v_cmp_gt_u32_e32 vcc, s33, v20
	s_and_saveexec_b64 s[0:1], vcc
	s_cbranch_execz .LBB54_260
; %bb.259:
	s_waitcnt lgkmcnt(13)
	global_store_short v[2:3], v19, off offset:1280
.LBB54_260:
	s_or_b64 exec, exec, s[0:1]
	s_waitcnt lgkmcnt(13)
	v_or_b32_e32 v19, 0x2c0, v0
	v_cmp_gt_u32_e32 vcc, s33, v19
	s_and_saveexec_b64 s[0:1], vcc
	s_cbranch_execz .LBB54_262
; %bb.261:
	s_waitcnt lgkmcnt(12)
	global_store_short v[2:3], v18, off offset:1408
.LBB54_262:
	s_or_b64 exec, exec, s[0:1]
	s_waitcnt lgkmcnt(12)
	;; [unrolled: 10-line block ×12, first 2 shown]
	v_or_b32_e32 v8, 0x580, v0
	v_cmp_gt_u32_e32 vcc, s33, v8
	s_and_saveexec_b64 s[0:1], vcc
	s_cbranch_execz .LBB54_284
; %bb.283:
	s_waitcnt lgkmcnt(1)
	global_store_short v[2:3], v7, off offset:2816
.LBB54_284:
	s_or_b64 exec, exec, s[0:1]
	v_or_b32_e32 v2, 0x5c0, v0
	v_cmp_gt_u32_e64 s[0:1], s33, v2
	s_branch .LBB54_287
.LBB54_285:
	s_mov_b64 s[0:1], 0
                                        ; implicit-def: $vgpr6
	s_cbranch_execz .LBB54_287
; %bb.286:
	s_mov_b32 s4, 0x5040100
	v_lshlrev_b32_e32 v2, 1, v5
	v_perm_b32 v9, v30, v28, s4
	v_perm_b32 v8, v27, v26, s4
	s_waitcnt lgkmcnt(1)
	v_perm_b32 v7, v25, v24, s4
	s_waitcnt lgkmcnt(0)
	;; [unrolled: 2-line block ×3, first 2 shown]
	; wave barrier
	ds_write_b128 v2, v[6:9]
	v_perm_b32 v9, v65, v63, s4
	v_perm_b32 v8, v62, v61, s4
	;; [unrolled: 1-line block ×4, first 2 shown]
	ds_write_b128 v2, v[6:9] offset:16
	v_perm_b32 v9, v72, v71, s4
	v_perm_b32 v8, v70, v69, s4
	v_perm_b32 v7, v68, v67, s4
	v_perm_b32 v6, v66, v64, s4
	s_movk_i32 s4, 0xffd2
	ds_write_b128 v2, v[6:9] offset:32
	v_mad_i32_i24 v2, v0, s4, v2
	s_waitcnt lgkmcnt(0)
	; wave barrier
	s_waitcnt lgkmcnt(0)
	ds_read_u16 v3, v2
	ds_read_u16 v5, v2 offset:128
	ds_read_u16 v7, v2 offset:256
	;; [unrolled: 1-line block ×23, first 2 shown]
	v_mov_b32_e32 v1, 0
	s_or_b64 s[0:1], s[0:1], exec
	s_waitcnt lgkmcnt(14)
	global_store_short v4, v3, s[2:3]
	global_store_short v4, v5, s[2:3] offset:128
	global_store_short v4, v7, s[2:3] offset:256
	;; [unrolled: 1-line block ×9, first 2 shown]
	s_waitcnt lgkmcnt(13)
	global_store_short v4, v15, s[2:3] offset:1280
	s_waitcnt lgkmcnt(12)
	global_store_short v4, v16, s[2:3] offset:1408
	;; [unrolled: 2-line block ×13, first 2 shown]
.LBB54_287:
	s_and_saveexec_b64 s[4:5], s[0:1]
	s_cbranch_execz .LBB54_289
; %bb.288:
	v_lshlrev_b64 v[0:1], 1, v[0:1]
	v_mov_b32_e32 v2, s3
	v_add_co_u32_e32 v0, vcc, s2, v0
	v_addc_co_u32_e32 v1, vcc, v2, v1, vcc
	s_waitcnt lgkmcnt(0)
	global_store_short v[0:1], v6, off offset:2944
	s_endpgm
.LBB54_289:
	s_endpgm
	.section	.rodata,"a",@progbits
	.p2align	6, 0x0
	.amdhsa_kernel _ZN7rocprim6detail25device_scan_by_key_kernelILNS0_25lookback_scan_determinismE0ELb0ENS0_26wrapped_scan_by_key_configINS_14default_configEi12hip_bfloat16EEPiN6hipcub22TransformInputIteratorIS5_NS8_6CastOpIS5_EEPS5_lEESC_S5_NS8_8EqualityENS8_3MaxENS0_19lookback_scan_stateINS_5tupleIJS5_bEEELb0ELb1EEES5_EEvT2_T3_T4_T5_T6_T7_T8_mmmPKNSH_IJT9_bEEE
		.amdhsa_group_segment_fixed_size 6656
		.amdhsa_private_segment_fixed_size 0
		.amdhsa_kernarg_size 80
		.amdhsa_user_sgpr_count 6
		.amdhsa_user_sgpr_private_segment_buffer 1
		.amdhsa_user_sgpr_dispatch_ptr 0
		.amdhsa_user_sgpr_queue_ptr 0
		.amdhsa_user_sgpr_kernarg_segment_ptr 1
		.amdhsa_user_sgpr_dispatch_id 0
		.amdhsa_user_sgpr_flat_scratch_init 0
		.amdhsa_user_sgpr_kernarg_preload_length 0
		.amdhsa_user_sgpr_kernarg_preload_offset 0
		.amdhsa_user_sgpr_private_segment_size 0
		.amdhsa_uses_dynamic_stack 0
		.amdhsa_system_sgpr_private_segment_wavefront_offset 0
		.amdhsa_system_sgpr_workgroup_id_x 1
		.amdhsa_system_sgpr_workgroup_id_y 0
		.amdhsa_system_sgpr_workgroup_id_z 0
		.amdhsa_system_sgpr_workgroup_info 0
		.amdhsa_system_vgpr_workitem_id 0
		.amdhsa_next_free_vgpr 79
		.amdhsa_next_free_sgpr 76
		.amdhsa_accum_offset 80
		.amdhsa_reserve_vcc 1
		.amdhsa_reserve_flat_scratch 0
		.amdhsa_float_round_mode_32 0
		.amdhsa_float_round_mode_16_64 0
		.amdhsa_float_denorm_mode_32 3
		.amdhsa_float_denorm_mode_16_64 3
		.amdhsa_dx10_clamp 1
		.amdhsa_ieee_mode 1
		.amdhsa_fp16_overflow 0
		.amdhsa_tg_split 0
		.amdhsa_exception_fp_ieee_invalid_op 0
		.amdhsa_exception_fp_denorm_src 0
		.amdhsa_exception_fp_ieee_div_zero 0
		.amdhsa_exception_fp_ieee_overflow 0
		.amdhsa_exception_fp_ieee_underflow 0
		.amdhsa_exception_fp_ieee_inexact 0
		.amdhsa_exception_int_div_zero 0
	.end_amdhsa_kernel
	.section	.text._ZN7rocprim6detail25device_scan_by_key_kernelILNS0_25lookback_scan_determinismE0ELb0ENS0_26wrapped_scan_by_key_configINS_14default_configEi12hip_bfloat16EEPiN6hipcub22TransformInputIteratorIS5_NS8_6CastOpIS5_EEPS5_lEESC_S5_NS8_8EqualityENS8_3MaxENS0_19lookback_scan_stateINS_5tupleIJS5_bEEELb0ELb1EEES5_EEvT2_T3_T4_T5_T6_T7_T8_mmmPKNSH_IJT9_bEEE,"axG",@progbits,_ZN7rocprim6detail25device_scan_by_key_kernelILNS0_25lookback_scan_determinismE0ELb0ENS0_26wrapped_scan_by_key_configINS_14default_configEi12hip_bfloat16EEPiN6hipcub22TransformInputIteratorIS5_NS8_6CastOpIS5_EEPS5_lEESC_S5_NS8_8EqualityENS8_3MaxENS0_19lookback_scan_stateINS_5tupleIJS5_bEEELb0ELb1EEES5_EEvT2_T3_T4_T5_T6_T7_T8_mmmPKNSH_IJT9_bEEE,comdat
.Lfunc_end54:
	.size	_ZN7rocprim6detail25device_scan_by_key_kernelILNS0_25lookback_scan_determinismE0ELb0ENS0_26wrapped_scan_by_key_configINS_14default_configEi12hip_bfloat16EEPiN6hipcub22TransformInputIteratorIS5_NS8_6CastOpIS5_EEPS5_lEESC_S5_NS8_8EqualityENS8_3MaxENS0_19lookback_scan_stateINS_5tupleIJS5_bEEELb0ELb1EEES5_EEvT2_T3_T4_T5_T6_T7_T8_mmmPKNSH_IJT9_bEEE, .Lfunc_end54-_ZN7rocprim6detail25device_scan_by_key_kernelILNS0_25lookback_scan_determinismE0ELb0ENS0_26wrapped_scan_by_key_configINS_14default_configEi12hip_bfloat16EEPiN6hipcub22TransformInputIteratorIS5_NS8_6CastOpIS5_EEPS5_lEESC_S5_NS8_8EqualityENS8_3MaxENS0_19lookback_scan_stateINS_5tupleIJS5_bEEELb0ELb1EEES5_EEvT2_T3_T4_T5_T6_T7_T8_mmmPKNSH_IJT9_bEEE
                                        ; -- End function
	.section	.AMDGPU.csdata,"",@progbits
; Kernel info:
; codeLenInByte = 16116
; NumSgprs: 80
; NumVgprs: 79
; NumAgprs: 0
; TotalNumVgprs: 79
; ScratchSize: 0
; MemoryBound: 0
; FloatMode: 240
; IeeeMode: 1
; LDSByteSize: 6656 bytes/workgroup (compile time only)
; SGPRBlocks: 9
; VGPRBlocks: 9
; NumSGPRsForWavesPerEU: 80
; NumVGPRsForWavesPerEU: 79
; AccumOffset: 80
; Occupancy: 3
; WaveLimiterHint : 1
; COMPUTE_PGM_RSRC2:SCRATCH_EN: 0
; COMPUTE_PGM_RSRC2:USER_SGPR: 6
; COMPUTE_PGM_RSRC2:TRAP_HANDLER: 0
; COMPUTE_PGM_RSRC2:TGID_X_EN: 1
; COMPUTE_PGM_RSRC2:TGID_Y_EN: 0
; COMPUTE_PGM_RSRC2:TGID_Z_EN: 0
; COMPUTE_PGM_RSRC2:TIDIG_COMP_CNT: 0
; COMPUTE_PGM_RSRC3_GFX90A:ACCUM_OFFSET: 19
; COMPUTE_PGM_RSRC3_GFX90A:TG_SPLIT: 0
	.section	.text._ZN7rocprim6detail25device_scan_by_key_kernelILNS0_25lookback_scan_determinismE0ELb0ENS0_26wrapped_scan_by_key_configINS_14default_configEiiEEPiN6hipcub22TransformInputIteratorIiNS7_6CastOpIiEES6_lEEPdiNS7_8EqualityENS7_3SumENS0_19lookback_scan_stateINS_5tupleIJibEEELb1ELb1EEEiEEvT2_T3_T4_T5_T6_T7_T8_mmmPKNSG_IJT9_bEEE,"axG",@progbits,_ZN7rocprim6detail25device_scan_by_key_kernelILNS0_25lookback_scan_determinismE0ELb0ENS0_26wrapped_scan_by_key_configINS_14default_configEiiEEPiN6hipcub22TransformInputIteratorIiNS7_6CastOpIiEES6_lEEPdiNS7_8EqualityENS7_3SumENS0_19lookback_scan_stateINS_5tupleIJibEEELb1ELb1EEEiEEvT2_T3_T4_T5_T6_T7_T8_mmmPKNSG_IJT9_bEEE,comdat
	.protected	_ZN7rocprim6detail25device_scan_by_key_kernelILNS0_25lookback_scan_determinismE0ELb0ENS0_26wrapped_scan_by_key_configINS_14default_configEiiEEPiN6hipcub22TransformInputIteratorIiNS7_6CastOpIiEES6_lEEPdiNS7_8EqualityENS7_3SumENS0_19lookback_scan_stateINS_5tupleIJibEEELb1ELb1EEEiEEvT2_T3_T4_T5_T6_T7_T8_mmmPKNSG_IJT9_bEEE ; -- Begin function _ZN7rocprim6detail25device_scan_by_key_kernelILNS0_25lookback_scan_determinismE0ELb0ENS0_26wrapped_scan_by_key_configINS_14default_configEiiEEPiN6hipcub22TransformInputIteratorIiNS7_6CastOpIiEES6_lEEPdiNS7_8EqualityENS7_3SumENS0_19lookback_scan_stateINS_5tupleIJibEEELb1ELb1EEEiEEvT2_T3_T4_T5_T6_T7_T8_mmmPKNSG_IJT9_bEEE
	.globl	_ZN7rocprim6detail25device_scan_by_key_kernelILNS0_25lookback_scan_determinismE0ELb0ENS0_26wrapped_scan_by_key_configINS_14default_configEiiEEPiN6hipcub22TransformInputIteratorIiNS7_6CastOpIiEES6_lEEPdiNS7_8EqualityENS7_3SumENS0_19lookback_scan_stateINS_5tupleIJibEEELb1ELb1EEEiEEvT2_T3_T4_T5_T6_T7_T8_mmmPKNSG_IJT9_bEEE
	.p2align	8
	.type	_ZN7rocprim6detail25device_scan_by_key_kernelILNS0_25lookback_scan_determinismE0ELb0ENS0_26wrapped_scan_by_key_configINS_14default_configEiiEEPiN6hipcub22TransformInputIteratorIiNS7_6CastOpIiEES6_lEEPdiNS7_8EqualityENS7_3SumENS0_19lookback_scan_stateINS_5tupleIJibEEELb1ELb1EEEiEEvT2_T3_T4_T5_T6_T7_T8_mmmPKNSG_IJT9_bEEE,@function
_ZN7rocprim6detail25device_scan_by_key_kernelILNS0_25lookback_scan_determinismE0ELb0ENS0_26wrapped_scan_by_key_configINS_14default_configEiiEEPiN6hipcub22TransformInputIteratorIiNS7_6CastOpIiEES6_lEEPdiNS7_8EqualityENS7_3SumENS0_19lookback_scan_stateINS_5tupleIJibEEELb1ELb1EEEiEEvT2_T3_T4_T5_T6_T7_T8_mmmPKNSG_IJT9_bEEE: ; @_ZN7rocprim6detail25device_scan_by_key_kernelILNS0_25lookback_scan_determinismE0ELb0ENS0_26wrapped_scan_by_key_configINS_14default_configEiiEEPiN6hipcub22TransformInputIteratorIiNS7_6CastOpIiEES6_lEEPdiNS7_8EqualityENS7_3SumENS0_19lookback_scan_stateINS_5tupleIJibEEELb1ELb1EEEiEEvT2_T3_T4_T5_T6_T7_T8_mmmPKNSG_IJT9_bEEE
; %bb.0:
	s_endpgm
	.section	.rodata,"a",@progbits
	.p2align	6, 0x0
	.amdhsa_kernel _ZN7rocprim6detail25device_scan_by_key_kernelILNS0_25lookback_scan_determinismE0ELb0ENS0_26wrapped_scan_by_key_configINS_14default_configEiiEEPiN6hipcub22TransformInputIteratorIiNS7_6CastOpIiEES6_lEEPdiNS7_8EqualityENS7_3SumENS0_19lookback_scan_stateINS_5tupleIJibEEELb1ELb1EEEiEEvT2_T3_T4_T5_T6_T7_T8_mmmPKNSG_IJT9_bEEE
		.amdhsa_group_segment_fixed_size 0
		.amdhsa_private_segment_fixed_size 0
		.amdhsa_kernarg_size 80
		.amdhsa_user_sgpr_count 6
		.amdhsa_user_sgpr_private_segment_buffer 1
		.amdhsa_user_sgpr_dispatch_ptr 0
		.amdhsa_user_sgpr_queue_ptr 0
		.amdhsa_user_sgpr_kernarg_segment_ptr 1
		.amdhsa_user_sgpr_dispatch_id 0
		.amdhsa_user_sgpr_flat_scratch_init 0
		.amdhsa_user_sgpr_kernarg_preload_length 0
		.amdhsa_user_sgpr_kernarg_preload_offset 0
		.amdhsa_user_sgpr_private_segment_size 0
		.amdhsa_uses_dynamic_stack 0
		.amdhsa_system_sgpr_private_segment_wavefront_offset 0
		.amdhsa_system_sgpr_workgroup_id_x 1
		.amdhsa_system_sgpr_workgroup_id_y 0
		.amdhsa_system_sgpr_workgroup_id_z 0
		.amdhsa_system_sgpr_workgroup_info 0
		.amdhsa_system_vgpr_workitem_id 0
		.amdhsa_next_free_vgpr 1
		.amdhsa_next_free_sgpr 0
		.amdhsa_accum_offset 4
		.amdhsa_reserve_vcc 0
		.amdhsa_reserve_flat_scratch 0
		.amdhsa_float_round_mode_32 0
		.amdhsa_float_round_mode_16_64 0
		.amdhsa_float_denorm_mode_32 3
		.amdhsa_float_denorm_mode_16_64 3
		.amdhsa_dx10_clamp 1
		.amdhsa_ieee_mode 1
		.amdhsa_fp16_overflow 0
		.amdhsa_tg_split 0
		.amdhsa_exception_fp_ieee_invalid_op 0
		.amdhsa_exception_fp_denorm_src 0
		.amdhsa_exception_fp_ieee_div_zero 0
		.amdhsa_exception_fp_ieee_overflow 0
		.amdhsa_exception_fp_ieee_underflow 0
		.amdhsa_exception_fp_ieee_inexact 0
		.amdhsa_exception_int_div_zero 0
	.end_amdhsa_kernel
	.section	.text._ZN7rocprim6detail25device_scan_by_key_kernelILNS0_25lookback_scan_determinismE0ELb0ENS0_26wrapped_scan_by_key_configINS_14default_configEiiEEPiN6hipcub22TransformInputIteratorIiNS7_6CastOpIiEES6_lEEPdiNS7_8EqualityENS7_3SumENS0_19lookback_scan_stateINS_5tupleIJibEEELb1ELb1EEEiEEvT2_T3_T4_T5_T6_T7_T8_mmmPKNSG_IJT9_bEEE,"axG",@progbits,_ZN7rocprim6detail25device_scan_by_key_kernelILNS0_25lookback_scan_determinismE0ELb0ENS0_26wrapped_scan_by_key_configINS_14default_configEiiEEPiN6hipcub22TransformInputIteratorIiNS7_6CastOpIiEES6_lEEPdiNS7_8EqualityENS7_3SumENS0_19lookback_scan_stateINS_5tupleIJibEEELb1ELb1EEEiEEvT2_T3_T4_T5_T6_T7_T8_mmmPKNSG_IJT9_bEEE,comdat
.Lfunc_end55:
	.size	_ZN7rocprim6detail25device_scan_by_key_kernelILNS0_25lookback_scan_determinismE0ELb0ENS0_26wrapped_scan_by_key_configINS_14default_configEiiEEPiN6hipcub22TransformInputIteratorIiNS7_6CastOpIiEES6_lEEPdiNS7_8EqualityENS7_3SumENS0_19lookback_scan_stateINS_5tupleIJibEEELb1ELb1EEEiEEvT2_T3_T4_T5_T6_T7_T8_mmmPKNSG_IJT9_bEEE, .Lfunc_end55-_ZN7rocprim6detail25device_scan_by_key_kernelILNS0_25lookback_scan_determinismE0ELb0ENS0_26wrapped_scan_by_key_configINS_14default_configEiiEEPiN6hipcub22TransformInputIteratorIiNS7_6CastOpIiEES6_lEEPdiNS7_8EqualityENS7_3SumENS0_19lookback_scan_stateINS_5tupleIJibEEELb1ELb1EEEiEEvT2_T3_T4_T5_T6_T7_T8_mmmPKNSG_IJT9_bEEE
                                        ; -- End function
	.section	.AMDGPU.csdata,"",@progbits
; Kernel info:
; codeLenInByte = 4
; NumSgprs: 4
; NumVgprs: 0
; NumAgprs: 0
; TotalNumVgprs: 0
; ScratchSize: 0
; MemoryBound: 0
; FloatMode: 240
; IeeeMode: 1
; LDSByteSize: 0 bytes/workgroup (compile time only)
; SGPRBlocks: 0
; VGPRBlocks: 0
; NumSGPRsForWavesPerEU: 4
; NumVGPRsForWavesPerEU: 1
; AccumOffset: 4
; Occupancy: 8
; WaveLimiterHint : 0
; COMPUTE_PGM_RSRC2:SCRATCH_EN: 0
; COMPUTE_PGM_RSRC2:USER_SGPR: 6
; COMPUTE_PGM_RSRC2:TRAP_HANDLER: 0
; COMPUTE_PGM_RSRC2:TGID_X_EN: 1
; COMPUTE_PGM_RSRC2:TGID_Y_EN: 0
; COMPUTE_PGM_RSRC2:TGID_Z_EN: 0
; COMPUTE_PGM_RSRC2:TIDIG_COMP_CNT: 0
; COMPUTE_PGM_RSRC3_GFX90A:ACCUM_OFFSET: 0
; COMPUTE_PGM_RSRC3_GFX90A:TG_SPLIT: 0
	.section	.text._ZN7rocprim6detail25device_scan_by_key_kernelILNS0_25lookback_scan_determinismE0ELb0ENS0_26wrapped_scan_by_key_configINS_14default_configEiiEEPiN6hipcub22TransformInputIteratorIiNS7_6CastOpIiEES6_lEEPdiNS7_8EqualityENS7_3SumENS0_19lookback_scan_stateINS_5tupleIJibEEELb0ELb1EEEiEEvT2_T3_T4_T5_T6_T7_T8_mmmPKNSG_IJT9_bEEE,"axG",@progbits,_ZN7rocprim6detail25device_scan_by_key_kernelILNS0_25lookback_scan_determinismE0ELb0ENS0_26wrapped_scan_by_key_configINS_14default_configEiiEEPiN6hipcub22TransformInputIteratorIiNS7_6CastOpIiEES6_lEEPdiNS7_8EqualityENS7_3SumENS0_19lookback_scan_stateINS_5tupleIJibEEELb0ELb1EEEiEEvT2_T3_T4_T5_T6_T7_T8_mmmPKNSG_IJT9_bEEE,comdat
	.protected	_ZN7rocprim6detail25device_scan_by_key_kernelILNS0_25lookback_scan_determinismE0ELb0ENS0_26wrapped_scan_by_key_configINS_14default_configEiiEEPiN6hipcub22TransformInputIteratorIiNS7_6CastOpIiEES6_lEEPdiNS7_8EqualityENS7_3SumENS0_19lookback_scan_stateINS_5tupleIJibEEELb0ELb1EEEiEEvT2_T3_T4_T5_T6_T7_T8_mmmPKNSG_IJT9_bEEE ; -- Begin function _ZN7rocprim6detail25device_scan_by_key_kernelILNS0_25lookback_scan_determinismE0ELb0ENS0_26wrapped_scan_by_key_configINS_14default_configEiiEEPiN6hipcub22TransformInputIteratorIiNS7_6CastOpIiEES6_lEEPdiNS7_8EqualityENS7_3SumENS0_19lookback_scan_stateINS_5tupleIJibEEELb0ELb1EEEiEEvT2_T3_T4_T5_T6_T7_T8_mmmPKNSG_IJT9_bEEE
	.globl	_ZN7rocprim6detail25device_scan_by_key_kernelILNS0_25lookback_scan_determinismE0ELb0ENS0_26wrapped_scan_by_key_configINS_14default_configEiiEEPiN6hipcub22TransformInputIteratorIiNS7_6CastOpIiEES6_lEEPdiNS7_8EqualityENS7_3SumENS0_19lookback_scan_stateINS_5tupleIJibEEELb0ELb1EEEiEEvT2_T3_T4_T5_T6_T7_T8_mmmPKNSG_IJT9_bEEE
	.p2align	8
	.type	_ZN7rocprim6detail25device_scan_by_key_kernelILNS0_25lookback_scan_determinismE0ELb0ENS0_26wrapped_scan_by_key_configINS_14default_configEiiEEPiN6hipcub22TransformInputIteratorIiNS7_6CastOpIiEES6_lEEPdiNS7_8EqualityENS7_3SumENS0_19lookback_scan_stateINS_5tupleIJibEEELb0ELb1EEEiEEvT2_T3_T4_T5_T6_T7_T8_mmmPKNSG_IJT9_bEEE,@function
_ZN7rocprim6detail25device_scan_by_key_kernelILNS0_25lookback_scan_determinismE0ELb0ENS0_26wrapped_scan_by_key_configINS_14default_configEiiEEPiN6hipcub22TransformInputIteratorIiNS7_6CastOpIiEES6_lEEPdiNS7_8EqualityENS7_3SumENS0_19lookback_scan_stateINS_5tupleIJibEEELb0ELb1EEEiEEvT2_T3_T4_T5_T6_T7_T8_mmmPKNSG_IJT9_bEEE: ; @_ZN7rocprim6detail25device_scan_by_key_kernelILNS0_25lookback_scan_determinismE0ELb0ENS0_26wrapped_scan_by_key_configINS_14default_configEiiEEPiN6hipcub22TransformInputIteratorIiNS7_6CastOpIiEES6_lEEPdiNS7_8EqualityENS7_3SumENS0_19lookback_scan_stateINS_5tupleIJibEEELb0ELb1EEEiEEvT2_T3_T4_T5_T6_T7_T8_mmmPKNSG_IJT9_bEEE
; %bb.0:
	s_load_dwordx4 s[0:3], s[4:5], 0x0
	s_load_dwordx8 s[40:47], s[4:5], 0x28
	s_load_dwordx2 s[48:49], s[4:5], 0x48
	s_mul_i32 s38, s6, 0xe00
	s_mov_b32 s39, 0
	s_lshl_b64 s[8:9], s[38:39], 2
	s_waitcnt lgkmcnt(0)
	s_add_u32 s50, s0, s8
	s_addc_u32 s51, s1, s9
	s_add_u32 s36, s2, s8
	s_addc_u32 s37, s3, s9
	;; [unrolled: 2-line block ×3, first 2 shown]
	s_add_u32 s2, s46, -1
	s_addc_u32 s3, s47, -1
	v_pk_mov_b32 v[2:3], s[2:3], s[2:3] op_sel:[0,1]
	v_cmp_ge_u64_e64 s[0:1], s[0:1], v[2:3]
	s_mov_b64 s[16:17], -1
	s_and_b64 vcc, exec, s[0:1]
	s_mul_i32 s33, s2, 0xfffff200
	v_lshlrev_b32_e32 v1, 2, v0
	s_cbranch_vccz .LBB56_74
; %bb.1:
	s_load_dword s43, s[50:51], 0x0
	s_add_i32 s7, s33, s42
	v_mov_b32_e32 v3, s51
	v_add_co_u32_e32 v2, vcc, s50, v1
	v_addc_co_u32_e32 v3, vcc, 0, v3, vcc
	v_cmp_gt_u32_e64 s[2:3], s7, v0
	s_waitcnt lgkmcnt(0)
	v_mov_b32_e32 v4, s43
	s_and_saveexec_b64 s[8:9], s[2:3]
	s_cbranch_execz .LBB56_3
; %bb.2:
	global_load_dword v4, v[2:3], off
.LBB56_3:
	s_or_b64 exec, exec, s[8:9]
	v_or_b32_e32 v5, 0x100, v0
	v_cmp_gt_u32_e64 s[34:35], s7, v5
	v_mov_b32_e32 v5, s43
	s_and_saveexec_b64 s[8:9], s[34:35]
	s_cbranch_execz .LBB56_5
; %bb.4:
	global_load_dword v5, v[2:3], off offset:1024
.LBB56_5:
	s_or_b64 exec, exec, s[8:9]
	v_or_b32_e32 v6, 0x200, v0
	v_cmp_gt_u32_e64 s[8:9], s7, v6
	v_mov_b32_e32 v6, s43
	s_and_saveexec_b64 s[10:11], s[8:9]
	s_cbranch_execz .LBB56_7
; %bb.6:
	global_load_dword v6, v[2:3], off offset:2048
.LBB56_7:
	;; [unrolled: 9-line block ×3, first 2 shown]
	s_or_b64 exec, exec, s[12:13]
	v_or_b32_e32 v8, 0x400, v0
	v_cmp_gt_u32_e64 s[12:13], s7, v8
	v_mov_b32_e32 v8, s43
	s_and_saveexec_b64 s[14:15], s[12:13]
	s_cbranch_execz .LBB56_11
; %bb.10:
	v_add_co_u32_e32 v8, vcc, 0x1000, v2
	v_addc_co_u32_e32 v9, vcc, 0, v3, vcc
	global_load_dword v8, v[8:9], off
.LBB56_11:
	s_or_b64 exec, exec, s[14:15]
	v_or_b32_e32 v9, 0x500, v0
	v_cmp_gt_u32_e64 s[14:15], s7, v9
	v_mov_b32_e32 v9, s43
	s_and_saveexec_b64 s[16:17], s[14:15]
	s_cbranch_execz .LBB56_13
; %bb.12:
	v_add_co_u32_e32 v10, vcc, 0x1000, v2
	v_addc_co_u32_e32 v11, vcc, 0, v3, vcc
	global_load_dword v9, v[10:11], off offset:1024
.LBB56_13:
	s_or_b64 exec, exec, s[16:17]
	v_or_b32_e32 v10, 0x600, v0
	v_cmp_gt_u32_e64 s[16:17], s7, v10
	v_mov_b32_e32 v10, s43
	s_and_saveexec_b64 s[18:19], s[16:17]
	s_cbranch_execz .LBB56_15
; %bb.14:
	v_add_co_u32_e32 v10, vcc, 0x1000, v2
	v_addc_co_u32_e32 v11, vcc, 0, v3, vcc
	global_load_dword v10, v[10:11], off offset:2048
.LBB56_15:
	;; [unrolled: 11-line block ×3, first 2 shown]
	s_or_b64 exec, exec, s[20:21]
	v_or_b32_e32 v12, 0x800, v0
	v_cmp_gt_u32_e64 s[20:21], s7, v12
	v_mov_b32_e32 v12, s43
	s_and_saveexec_b64 s[22:23], s[20:21]
	s_cbranch_execz .LBB56_19
; %bb.18:
	v_add_co_u32_e32 v12, vcc, 0x2000, v2
	v_addc_co_u32_e32 v13, vcc, 0, v3, vcc
	global_load_dword v12, v[12:13], off
.LBB56_19:
	s_or_b64 exec, exec, s[22:23]
	v_or_b32_e32 v13, 0x900, v0
	v_cmp_gt_u32_e64 s[22:23], s7, v13
	v_mov_b32_e32 v13, s43
	s_and_saveexec_b64 s[24:25], s[22:23]
	s_cbranch_execz .LBB56_21
; %bb.20:
	v_add_co_u32_e32 v14, vcc, 0x2000, v2
	v_addc_co_u32_e32 v15, vcc, 0, v3, vcc
	global_load_dword v13, v[14:15], off offset:1024
.LBB56_21:
	s_or_b64 exec, exec, s[24:25]
	v_or_b32_e32 v14, 0xa00, v0
	v_cmp_gt_u32_e64 s[24:25], s7, v14
	v_mov_b32_e32 v14, s43
	s_and_saveexec_b64 s[26:27], s[24:25]
	s_cbranch_execz .LBB56_23
; %bb.22:
	v_add_co_u32_e32 v14, vcc, 0x2000, v2
	v_addc_co_u32_e32 v15, vcc, 0, v3, vcc
	global_load_dword v14, v[14:15], off offset:2048
.LBB56_23:
	;; [unrolled: 11-line block ×3, first 2 shown]
	s_or_b64 exec, exec, s[28:29]
	v_or_b32_e32 v16, 0xc00, v0
	v_cmp_gt_u32_e64 s[28:29], s7, v16
	v_mov_b32_e32 v16, s43
	s_and_saveexec_b64 s[30:31], s[28:29]
	s_cbranch_execz .LBB56_27
; %bb.26:
	v_add_co_u32_e32 v16, vcc, 0x3000, v2
	v_addc_co_u32_e32 v17, vcc, 0, v3, vcc
	global_load_dword v16, v[16:17], off
.LBB56_27:
	s_or_b64 exec, exec, s[30:31]
	v_or_b32_e32 v17, 0xd00, v0
	v_cmp_gt_u32_e64 s[30:31], s7, v17
	v_mov_b32_e32 v17, s43
	s_and_saveexec_b64 s[46:47], s[30:31]
	s_cbranch_execz .LBB56_29
; %bb.28:
	v_add_co_u32_e32 v2, vcc, 0x3000, v2
	v_addc_co_u32_e32 v3, vcc, 0, v3, vcc
	global_load_dword v17, v[2:3], off offset:1024
.LBB56_29:
	s_or_b64 exec, exec, s[46:47]
	s_sub_u32 s46, 0, s6
	s_subb_u32 s47, 0, 0
	s_cmp_eq_u64 s[46:47], s[44:45]
	s_cselect_b32 s46, 0, -4
	s_cselect_b32 s43, 0, -1
	s_add_u32 s46, s50, s46
	v_mad_u32_u24 v42, v0, 52, v1
	s_addc_u32 s47, s51, s43
	s_waitcnt vmcnt(0)
	ds_write2st64_b32 v1, v4, v5 offset1:4
	ds_write2st64_b32 v1, v6, v7 offset0:8 offset1:12
	ds_write2st64_b32 v1, v8, v9 offset0:16 offset1:20
	;; [unrolled: 1-line block ×6, first 2 shown]
	s_waitcnt lgkmcnt(0)
	s_barrier
	ds_read2_b64 v[34:37], v42 offset1:1
	ds_read2_b64 v[30:33], v42 offset0:2 offset1:3
	ds_read2_b64 v[26:29], v42 offset0:4 offset1:5
	ds_read_b64 v[40:41], v42 offset:48
	s_load_dword s43, s[46:47], 0x0
	s_movk_i32 s46, 0xffcc
	v_mad_i32_i24 v2, v0, s46, v42
	v_cmp_ne_u32_e32 vcc, 0, v0
	s_waitcnt lgkmcnt(0)
	ds_write_b32 v2, v41 offset:14336
	v_mov_b32_e32 v44, s43
	s_waitcnt lgkmcnt(0)
	s_barrier
	s_and_saveexec_b64 s[46:47], vcc
	s_cbranch_execz .LBB56_31
; %bb.30:
	v_mul_i32_i24_e32 v2, 0xffffffcc, v0
	v_add_u32_e32 v2, v42, v2
	ds_read_b32 v44, v2 offset:14332
.LBB56_31:
	s_or_b64 exec, exec, s[46:47]
	v_mov_b32_e32 v3, s37
	v_add_co_u32_e32 v2, vcc, s36, v1
	v_addc_co_u32_e32 v3, vcc, 0, v3, vcc
	s_waitcnt lgkmcnt(0)
	s_barrier
	s_waitcnt lgkmcnt(0)
                                        ; implicit-def: $vgpr4
	s_and_saveexec_b64 s[46:47], s[2:3]
	s_cbranch_execz .LBB56_119
; %bb.32:
	global_load_dword v4, v[2:3], off
	s_or_b64 exec, exec, s[46:47]
                                        ; implicit-def: $vgpr5
	s_and_saveexec_b64 s[2:3], s[34:35]
	s_cbranch_execnz .LBB56_120
.LBB56_33:
	s_or_b64 exec, exec, s[2:3]
                                        ; implicit-def: $vgpr6
	s_and_saveexec_b64 s[2:3], s[8:9]
	s_cbranch_execz .LBB56_121
.LBB56_34:
	global_load_dword v6, v[2:3], off offset:2048
	s_or_b64 exec, exec, s[2:3]
                                        ; implicit-def: $vgpr7
	s_and_saveexec_b64 s[2:3], s[10:11]
	s_cbranch_execnz .LBB56_122
.LBB56_35:
	s_or_b64 exec, exec, s[2:3]
                                        ; implicit-def: $vgpr8
	s_and_saveexec_b64 s[2:3], s[12:13]
	s_cbranch_execz .LBB56_123
.LBB56_36:
	v_add_co_u32_e32 v8, vcc, 0x1000, v2
	v_addc_co_u32_e32 v9, vcc, 0, v3, vcc
	global_load_dword v8, v[8:9], off
	s_or_b64 exec, exec, s[2:3]
                                        ; implicit-def: $vgpr9
	s_and_saveexec_b64 s[2:3], s[14:15]
	s_cbranch_execnz .LBB56_124
.LBB56_37:
	s_or_b64 exec, exec, s[2:3]
                                        ; implicit-def: $vgpr10
	s_and_saveexec_b64 s[2:3], s[16:17]
	s_cbranch_execz .LBB56_125
.LBB56_38:
	v_add_co_u32_e32 v10, vcc, 0x1000, v2
	v_addc_co_u32_e32 v11, vcc, 0, v3, vcc
	global_load_dword v10, v[10:11], off offset:2048
	s_or_b64 exec, exec, s[2:3]
                                        ; implicit-def: $vgpr11
	s_and_saveexec_b64 s[2:3], s[18:19]
	s_cbranch_execnz .LBB56_126
.LBB56_39:
	s_or_b64 exec, exec, s[2:3]
                                        ; implicit-def: $vgpr12
	s_and_saveexec_b64 s[2:3], s[20:21]
	s_cbranch_execz .LBB56_127
.LBB56_40:
	v_add_co_u32_e32 v12, vcc, 0x2000, v2
	v_addc_co_u32_e32 v13, vcc, 0, v3, vcc
	global_load_dword v12, v[12:13], off
	s_or_b64 exec, exec, s[2:3]
                                        ; implicit-def: $vgpr13
	s_and_saveexec_b64 s[2:3], s[22:23]
	s_cbranch_execnz .LBB56_128
.LBB56_41:
	s_or_b64 exec, exec, s[2:3]
                                        ; implicit-def: $vgpr14
	s_and_saveexec_b64 s[2:3], s[24:25]
	s_cbranch_execz .LBB56_129
.LBB56_42:
	v_add_co_u32_e32 v14, vcc, 0x2000, v2
	v_addc_co_u32_e32 v15, vcc, 0, v3, vcc
	global_load_dword v14, v[14:15], off offset:2048
	s_or_b64 exec, exec, s[2:3]
                                        ; implicit-def: $vgpr15
	s_and_saveexec_b64 s[2:3], s[26:27]
	s_cbranch_execnz .LBB56_130
.LBB56_43:
	s_or_b64 exec, exec, s[2:3]
                                        ; implicit-def: $vgpr16
	s_and_saveexec_b64 s[2:3], s[28:29]
	s_cbranch_execz .LBB56_45
.LBB56_44:
	v_add_co_u32_e32 v16, vcc, 0x3000, v2
	v_addc_co_u32_e32 v17, vcc, 0, v3, vcc
	global_load_dword v16, v[16:17], off
.LBB56_45:
	s_or_b64 exec, exec, s[2:3]
	v_mul_u32_u24_e32 v46, 14, v0
                                        ; implicit-def: $vgpr17
	s_and_saveexec_b64 s[2:3], s[30:31]
	s_cbranch_execz .LBB56_47
; %bb.46:
	v_add_co_u32_e32 v2, vcc, 0x3000, v2
	v_addc_co_u32_e32 v3, vcc, 0, v3, vcc
	global_load_dword v17, v[2:3], off offset:1024
.LBB56_47:
	s_or_b64 exec, exec, s[2:3]
	s_mov_b32 s8, 0
	s_mov_b32 s9, s8
	s_waitcnt vmcnt(0)
	ds_write2st64_b32 v1, v4, v5 offset1:4
	ds_write2st64_b32 v1, v6, v7 offset0:8 offset1:12
	ds_write2st64_b32 v1, v8, v9 offset0:16 offset1:20
	;; [unrolled: 1-line block ×6, first 2 shown]
	s_mov_b32 s10, s8
	s_mov_b32 s11, s8
	;; [unrolled: 1-line block ×6, first 2 shown]
	v_pk_mov_b32 v[2:3], s[8:9], s[8:9] op_sel:[0,1]
	v_pk_mov_b32 v[8:9], s[14:15], s[14:15] op_sel:[0,1]
	;; [unrolled: 1-line block ×6, first 2 shown]
	v_cmp_gt_u32_e32 vcc, s7, v46
	s_mov_b64 s[16:17], 0
	v_pk_mov_b32 v[38:39], 0, 0
	s_mov_b64 s[22:23], 0
	v_pk_mov_b32 v[14:15], v[6:7], v[6:7] op_sel:[0,1]
	v_pk_mov_b32 v[12:13], v[4:5], v[4:5] op_sel:[0,1]
	;; [unrolled: 1-line block ×6, first 2 shown]
	s_waitcnt lgkmcnt(0)
	s_barrier
	s_waitcnt lgkmcnt(0)
                                        ; implicit-def: $sgpr20_sgpr21
                                        ; implicit-def: $vgpr43
	s_and_saveexec_b64 s[18:19], vcc
	s_cbranch_execz .LBB56_73
; %bb.48:
	v_or_b32_e32 v2, 1, v46
	ds_read_b32 v38, v42
	v_cmp_ne_u32_e32 vcc, v44, v34
	v_cndmask_b32_e64 v39, 0, 1, vcc
	v_cmp_gt_u32_e32 vcc, s7, v2
	v_pk_mov_b32 v[2:3], s[8:9], s[8:9] op_sel:[0,1]
	v_pk_mov_b32 v[8:9], s[14:15], s[14:15] op_sel:[0,1]
	;; [unrolled: 1-line block ×6, first 2 shown]
	s_mov_b64 s[2:3], 0
	v_pk_mov_b32 v[14:15], v[6:7], v[6:7] op_sel:[0,1]
	v_pk_mov_b32 v[12:13], v[4:5], v[4:5] op_sel:[0,1]
	v_pk_mov_b32 v[10:11], v[2:3], v[2:3] op_sel:[0,1]
	v_pk_mov_b32 v[22:23], v[6:7], v[6:7] op_sel:[0,1]
	v_pk_mov_b32 v[20:21], v[4:5], v[4:5] op_sel:[0,1]
	v_pk_mov_b32 v[18:19], v[2:3], v[2:3] op_sel:[0,1]
                                        ; implicit-def: $sgpr8_sgpr9
                                        ; implicit-def: $vgpr43
	s_and_saveexec_b64 s[20:21], vcc
	s_cbranch_execz .LBB56_72
; %bb.49:
	ds_read2_b32 v[44:45], v42 offset0:1 offset1:2
	s_mov_b32 s8, 0
	s_mov_b32 s14, s8
	;; [unrolled: 1-line block ×8, first 2 shown]
	v_pk_mov_b32 v[16:17], s[14:15], s[14:15] op_sel:[0,1]
	v_add_u32_e32 v2, 2, v46
	v_cmp_ne_u32_e32 vcc, v34, v35
	v_mov_b32_e32 v6, 0
	v_pk_mov_b32 v[14:15], s[12:13], s[12:13] op_sel:[0,1]
	v_pk_mov_b32 v[12:13], s[10:11], s[10:11] op_sel:[0,1]
	;; [unrolled: 1-line block ×4, first 2 shown]
	v_cndmask_b32_e64 v3, 0, 1, vcc
	v_cmp_gt_u32_e32 vcc, s7, v2
	s_waitcnt lgkmcnt(0)
	v_mov_b32_e32 v2, v44
	v_mov_b32_e32 v4, v6
	;; [unrolled: 1-line block ×6, first 2 shown]
	v_pk_mov_b32 v[22:23], v[14:15], v[14:15] op_sel:[0,1]
	v_pk_mov_b32 v[20:21], v[12:13], v[12:13] op_sel:[0,1]
	;; [unrolled: 1-line block ×3, first 2 shown]
                                        ; implicit-def: $sgpr24_sgpr25
                                        ; implicit-def: $vgpr43
	s_and_saveexec_b64 s[22:23], vcc
	s_cbranch_execz .LBB56_71
; %bb.50:
	v_pk_mov_b32 v[16:17], s[14:15], s[14:15] op_sel:[0,1]
	v_add_u32_e32 v2, 3, v46
	v_cmp_ne_u32_e32 vcc, v35, v36
	v_pk_mov_b32 v[14:15], s[12:13], s[12:13] op_sel:[0,1]
	v_pk_mov_b32 v[12:13], s[10:11], s[10:11] op_sel:[0,1]
	;; [unrolled: 1-line block ×4, first 2 shown]
	v_cndmask_b32_e64 v5, 0, 1, vcc
	v_cmp_gt_u32_e32 vcc, s7, v2
	v_mov_b32_e32 v2, v44
	v_mov_b32_e32 v4, v45
	;; [unrolled: 1-line block ×5, first 2 shown]
	v_pk_mov_b32 v[22:23], v[14:15], v[14:15] op_sel:[0,1]
	v_pk_mov_b32 v[20:21], v[12:13], v[12:13] op_sel:[0,1]
	;; [unrolled: 1-line block ×3, first 2 shown]
                                        ; implicit-def: $sgpr8_sgpr9
                                        ; implicit-def: $vgpr43
	s_and_saveexec_b64 s[24:25], vcc
	s_cbranch_execz .LBB56_70
; %bb.51:
	ds_read2_b32 v[34:35], v42 offset0:3 offset1:4
	s_mov_b32 s8, 0
	s_mov_b32 s14, s8
	;; [unrolled: 1-line block ×8, first 2 shown]
	v_pk_mov_b32 v[16:17], s[14:15], s[14:15] op_sel:[0,1]
	v_add_u32_e32 v6, 4, v46
	v_cmp_ne_u32_e32 vcc, v36, v37
	v_pk_mov_b32 v[14:15], s[12:13], s[12:13] op_sel:[0,1]
	v_pk_mov_b32 v[12:13], s[10:11], s[10:11] op_sel:[0,1]
	;; [unrolled: 1-line block ×4, first 2 shown]
	v_cndmask_b32_e64 v7, 0, 1, vcc
	v_cmp_gt_u32_e32 vcc, s7, v6
	s_waitcnt lgkmcnt(0)
	v_mov_b32_e32 v6, v34
	v_mov_b32_e32 v8, s8
	;; [unrolled: 1-line block ×3, first 2 shown]
	v_pk_mov_b32 v[22:23], v[14:15], v[14:15] op_sel:[0,1]
	v_pk_mov_b32 v[20:21], v[12:13], v[12:13] op_sel:[0,1]
	;; [unrolled: 1-line block ×3, first 2 shown]
                                        ; implicit-def: $sgpr28_sgpr29
                                        ; implicit-def: $vgpr43
	s_and_saveexec_b64 s[26:27], vcc
	s_cbranch_execz .LBB56_69
; %bb.52:
	v_pk_mov_b32 v[16:17], s[14:15], s[14:15] op_sel:[0,1]
	v_add_u32_e32 v8, 5, v46
	v_cmp_ne_u32_e32 vcc, v37, v30
	v_pk_mov_b32 v[14:15], s[12:13], s[12:13] op_sel:[0,1]
	v_pk_mov_b32 v[12:13], s[10:11], s[10:11] op_sel:[0,1]
	;; [unrolled: 1-line block ×4, first 2 shown]
	v_cndmask_b32_e64 v9, 0, 1, vcc
	v_cmp_gt_u32_e32 vcc, s7, v8
	v_mov_b32_e32 v8, v35
	v_pk_mov_b32 v[22:23], v[14:15], v[14:15] op_sel:[0,1]
	v_pk_mov_b32 v[20:21], v[12:13], v[12:13] op_sel:[0,1]
	;; [unrolled: 1-line block ×3, first 2 shown]
                                        ; implicit-def: $sgpr8_sgpr9
                                        ; implicit-def: $vgpr43
	s_and_saveexec_b64 s[28:29], vcc
	s_cbranch_execz .LBB56_68
; %bb.53:
	ds_read2_b32 v[34:35], v42 offset0:5 offset1:6
	s_mov_b32 s8, 0
	s_mov_b32 s14, s8
	;; [unrolled: 1-line block ×3, first 2 shown]
	v_add_u32_e32 v10, 6, v46
	v_cmp_ne_u32_e32 vcc, v30, v31
	v_mov_b32_e32 v14, 0
	s_mov_b32 s9, s8
	s_mov_b32 s10, s8
	;; [unrolled: 1-line block ×5, first 2 shown]
	v_pk_mov_b32 v[24:25], s[14:15], s[14:15] op_sel:[0,1]
	v_cndmask_b32_e64 v11, 0, 1, vcc
	v_cmp_gt_u32_e32 vcc, s7, v10
	s_waitcnt lgkmcnt(0)
	v_mov_b32_e32 v10, v34
	v_mov_b32_e32 v12, v14
	;; [unrolled: 1-line block ×6, first 2 shown]
	v_pk_mov_b32 v[22:23], s[12:13], s[12:13] op_sel:[0,1]
	v_pk_mov_b32 v[20:21], s[10:11], s[10:11] op_sel:[0,1]
	;; [unrolled: 1-line block ×3, first 2 shown]
                                        ; implicit-def: $sgpr34_sgpr35
                                        ; implicit-def: $vgpr43
	s_and_saveexec_b64 s[30:31], vcc
	s_cbranch_execz .LBB56_67
; %bb.54:
	v_add_u32_e32 v10, 7, v46
	v_cmp_ne_u32_e32 vcc, v31, v32
	v_pk_mov_b32 v[24:25], s[14:15], s[14:15] op_sel:[0,1]
	v_cndmask_b32_e64 v13, 0, 1, vcc
	v_cmp_gt_u32_e32 vcc, s7, v10
	v_mov_b32_e32 v10, v34
	v_mov_b32_e32 v12, v35
	;; [unrolled: 1-line block ×5, first 2 shown]
	v_pk_mov_b32 v[22:23], s[12:13], s[12:13] op_sel:[0,1]
	v_pk_mov_b32 v[20:21], s[10:11], s[10:11] op_sel:[0,1]
	;; [unrolled: 1-line block ×3, first 2 shown]
                                        ; implicit-def: $sgpr8_sgpr9
                                        ; implicit-def: $vgpr43
	s_and_saveexec_b64 s[34:35], vcc
	s_cbranch_execz .LBB56_66
; %bb.55:
	ds_read2_b32 v[30:31], v42 offset0:7 offset1:8
	s_mov_b32 s8, 0
	s_mov_b32 s14, s8
	s_mov_b32 s15, s8
	v_add_u32_e32 v14, 8, v46
	v_cmp_ne_u32_e32 vcc, v32, v33
	s_mov_b32 s9, s8
	s_mov_b32 s10, s8
	;; [unrolled: 1-line block ×5, first 2 shown]
	v_pk_mov_b32 v[24:25], s[14:15], s[14:15] op_sel:[0,1]
	v_cndmask_b32_e64 v15, 0, 1, vcc
	v_cmp_gt_u32_e32 vcc, s7, v14
	s_waitcnt lgkmcnt(0)
	v_mov_b32_e32 v14, v30
	v_mov_b32_e32 v16, s8
	;; [unrolled: 1-line block ×3, first 2 shown]
	v_pk_mov_b32 v[22:23], s[12:13], s[12:13] op_sel:[0,1]
	v_pk_mov_b32 v[20:21], s[10:11], s[10:11] op_sel:[0,1]
	;; [unrolled: 1-line block ×3, first 2 shown]
                                        ; implicit-def: $sgpr52_sgpr53
                                        ; implicit-def: $vgpr43
	s_and_saveexec_b64 s[46:47], vcc
	s_cbranch_execz .LBB56_65
; %bb.56:
	v_add_u32_e32 v16, 9, v46
	v_cmp_ne_u32_e32 vcc, v33, v26
	v_pk_mov_b32 v[24:25], s[14:15], s[14:15] op_sel:[0,1]
	v_cndmask_b32_e64 v17, 0, 1, vcc
	v_cmp_gt_u32_e32 vcc, s7, v16
	v_mov_b32_e32 v16, v31
	v_pk_mov_b32 v[22:23], s[12:13], s[12:13] op_sel:[0,1]
	v_pk_mov_b32 v[20:21], s[10:11], s[10:11] op_sel:[0,1]
	;; [unrolled: 1-line block ×3, first 2 shown]
                                        ; implicit-def: $sgpr10_sgpr11
                                        ; implicit-def: $vgpr43
	s_and_saveexec_b64 s[8:9], vcc
	s_cbranch_execz .LBB56_64
; %bb.57:
	ds_read2_b32 v[30:31], v42 offset0:9 offset1:10
	v_add_u32_e32 v18, 10, v46
	v_cmp_ne_u32_e32 vcc, v26, v27
	v_mov_b32_e32 v22, 0
	v_cndmask_b32_e64 v19, 0, 1, vcc
	v_cmp_gt_u32_e32 vcc, s7, v18
	s_waitcnt lgkmcnt(0)
	v_mov_b32_e32 v18, v30
	v_mov_b32_e32 v20, v22
	v_mov_b32_e32 v21, v22
	v_mov_b32_e32 v23, v22
	v_mov_b32_e32 v24, v22
	v_mov_b32_e32 v25, v22
                                        ; implicit-def: $sgpr12_sgpr13
                                        ; implicit-def: $vgpr43
	s_and_saveexec_b64 s[10:11], vcc
	s_cbranch_execz .LBB56_63
; %bb.58:
	v_add_u32_e32 v18, 11, v46
	v_cmp_ne_u32_e32 vcc, v27, v28
	v_cndmask_b32_e64 v21, 0, 1, vcc
	v_cmp_gt_u32_e32 vcc, s7, v18
	s_mov_b32 s43, 0
	v_mov_b32_e32 v18, v30
	v_mov_b32_e32 v20, v31
	;; [unrolled: 1-line block ×5, first 2 shown]
                                        ; implicit-def: $sgpr14_sgpr15
                                        ; implicit-def: $vgpr43
	s_and_saveexec_b64 s[12:13], vcc
	s_cbranch_execz .LBB56_62
; %bb.59:
	ds_read2_b32 v[26:27], v42 offset0:11 offset1:12
	v_add_u32_e32 v22, 12, v46
	v_cmp_ne_u32_e32 vcc, v28, v29
	v_cndmask_b32_e64 v23, 0, 1, vcc
	v_cmp_gt_u32_e32 vcc, s7, v22
	s_waitcnt lgkmcnt(0)
	v_mov_b32_e32 v22, v26
	v_mov_b32_e32 v24, s43
	v_mov_b32_e32 v25, s43
                                        ; implicit-def: $sgpr14_sgpr15
                                        ; implicit-def: $vgpr43
	s_and_saveexec_b64 s[52:53], vcc
	s_xor_b64 s[52:53], exec, s[52:53]
	s_cbranch_execz .LBB56_61
; %bb.60:
	ds_read_b32 v43, v42 offset:52
	v_add_u32_e32 v24, 13, v46
	v_cmp_ne_u32_e64 s[2:3], v29, v40
	v_cmp_ne_u32_e32 vcc, v40, v41
	v_cndmask_b32_e64 v25, 0, 1, s[2:3]
	v_cmp_gt_u32_e64 s[2:3], s7, v24
	v_mov_b32_e32 v24, v27
	s_and_b64 s[14:15], vcc, exec
	s_and_b64 s[2:3], s[2:3], exec
.LBB56_61:
	s_or_b64 exec, exec, s[52:53]
	s_and_b64 s[14:15], s[14:15], exec
	s_and_b64 s[2:3], s[2:3], exec
.LBB56_62:
	s_or_b64 exec, exec, s[12:13]
	s_and_b64 s[12:13], s[14:15], exec
	s_and_b64 s[2:3], s[2:3], exec
.LBB56_63:
	s_or_b64 exec, exec, s[10:11]
	s_and_b64 s[10:11], s[12:13], exec
	s_and_b64 s[2:3], s[2:3], exec
.LBB56_64:
	s_or_b64 exec, exec, s[8:9]
	s_and_b64 s[52:53], s[10:11], exec
	s_and_b64 s[2:3], s[2:3], exec
.LBB56_65:
	s_or_b64 exec, exec, s[46:47]
	s_and_b64 s[8:9], s[52:53], exec
	s_and_b64 s[2:3], s[2:3], exec
.LBB56_66:
	s_or_b64 exec, exec, s[34:35]
	s_and_b64 s[34:35], s[8:9], exec
	s_and_b64 s[2:3], s[2:3], exec
.LBB56_67:
	s_or_b64 exec, exec, s[30:31]
	s_and_b64 s[8:9], s[34:35], exec
	s_and_b64 s[2:3], s[2:3], exec
.LBB56_68:
	s_or_b64 exec, exec, s[28:29]
	s_and_b64 s[28:29], s[8:9], exec
	s_and_b64 s[2:3], s[2:3], exec
.LBB56_69:
	s_or_b64 exec, exec, s[26:27]
	s_and_b64 s[8:9], s[28:29], exec
	s_and_b64 s[2:3], s[2:3], exec
.LBB56_70:
	s_or_b64 exec, exec, s[24:25]
	s_and_b64 s[24:25], s[8:9], exec
	s_and_b64 s[2:3], s[2:3], exec
.LBB56_71:
	s_or_b64 exec, exec, s[22:23]
	s_and_b64 s[8:9], s[24:25], exec
	s_and_b64 s[2:3], s[2:3], exec
.LBB56_72:
	s_or_b64 exec, exec, s[20:21]
	s_and_b64 s[20:21], s[8:9], exec
	s_and_b64 s[22:23], s[2:3], exec
.LBB56_73:
	s_or_b64 exec, exec, s[18:19]
	s_and_b64 vcc, exec, s[16:17]
	v_cmp_ne_u32_e64 s[2:3], 0, v0
	s_cbranch_vccnz .LBB56_75
	s_branch .LBB56_78
.LBB56_74:
	s_mov_b64 s[22:23], 0
                                        ; implicit-def: $sgpr20_sgpr21
                                        ; implicit-def: $vgpr2_vgpr3_vgpr4_vgpr5_vgpr6_vgpr7_vgpr8_vgpr9
                                        ; implicit-def: $vgpr10_vgpr11_vgpr12_vgpr13_vgpr14_vgpr15_vgpr16_vgpr17
                                        ; implicit-def: $vgpr18_vgpr19_vgpr20_vgpr21_vgpr22_vgpr23_vgpr24_vgpr25
                                        ; implicit-def: $vgpr43
                                        ; implicit-def: $vgpr38_vgpr39
	s_and_b64 vcc, exec, s[16:17]
	v_cmp_ne_u32_e64 s[2:3], 0, v0
	s_cbranch_vccz .LBB56_78
.LBB56_75:
	v_mov_b32_e32 v2, s51
	v_add_co_u32_e32 v6, vcc, s50, v1
	v_addc_co_u32_e32 v7, vcc, 0, v2, vcc
	v_add_co_u32_e32 v2, vcc, 0x1000, v6
	v_addc_co_u32_e32 v3, vcc, 0, v7, vcc
	;; [unrolled: 2-line block ×3, first 2 shown]
	global_load_dword v9, v1, s[50:51]
	global_load_dword v10, v1, s[50:51] offset:1024
	global_load_dword v11, v1, s[50:51] offset:2048
	;; [unrolled: 1-line block ×3, first 2 shown]
	global_load_dword v13, v[2:3], off
	global_load_dword v14, v[2:3], off offset:1024
	global_load_dword v15, v[2:3], off offset:2048
	;; [unrolled: 1-line block ×3, first 2 shown]
	global_load_dword v17, v[4:5], off
	global_load_dword v18, v[4:5], off offset:1024
	global_load_dword v19, v[4:5], off offset:2048
	;; [unrolled: 1-line block ×3, first 2 shown]
	v_add_co_u32_e32 v2, vcc, 0x3000, v6
	v_addc_co_u32_e32 v3, vcc, 0, v7, vcc
	global_load_dword v4, v[2:3], off
	global_load_dword v5, v[2:3], off offset:1024
	s_sub_u32 s8, 0, s6
	s_subb_u32 s9, 0, 0
	s_cmp_eq_u64 s[8:9], s[44:45]
	s_cselect_b32 s8, 0, -4
	s_cselect_b32 s9, 0, -1
	s_add_u32 s8, s50, s8
	v_mad_u32_u24 v8, v0, 52, v1
	s_addc_u32 s9, s51, s9
	s_movk_i32 s12, 0xffcc
	s_movk_i32 s11, 0x1000
	;; [unrolled: 1-line block ×4, first 2 shown]
	v_mad_i32_i24 v22, v0, s12, v8
	s_waitcnt vmcnt(12)
	ds_write2st64_b32 v1, v9, v10 offset1:4
	s_waitcnt vmcnt(10)
	ds_write2st64_b32 v1, v11, v12 offset0:8 offset1:12
	s_waitcnt vmcnt(8)
	ds_write2st64_b32 v1, v13, v14 offset0:16 offset1:20
	;; [unrolled: 2-line block ×6, first 2 shown]
	s_waitcnt lgkmcnt(0)
	s_barrier
	ds_read2_b64 v[18:21], v8 offset0:4 offset1:5
	ds_read_b64 v[6:7], v8 offset:48
	ds_read2_b64 v[2:5], v8 offset1:1
	ds_read2_b64 v[10:13], v8 offset0:2 offset1:3
	s_load_dword s8, s[8:9], 0x0
	s_waitcnt lgkmcnt(0)
	ds_write_b32 v22, v7 offset:14336
	s_waitcnt lgkmcnt(0)
	v_mov_b32_e32 v9, s8
	s_barrier
	s_and_saveexec_b64 s[8:9], s[2:3]
	s_cbranch_execz .LBB56_77
; %bb.76:
	v_mul_i32_i24_e32 v9, 0xffffffcc, v0
	v_add_u32_e32 v9, v8, v9
	ds_read_b32 v9, v9 offset:14332
.LBB56_77:
	s_or_b64 exec, exec, s[8:9]
	v_mov_b32_e32 v14, s37
	v_add_co_u32_e32 v22, vcc, s36, v1
	v_addc_co_u32_e32 v23, vcc, 0, v14, vcc
	v_add_co_u32_e32 v14, vcc, s11, v22
	v_addc_co_u32_e32 v15, vcc, 0, v23, vcc
	;; [unrolled: 2-line block ×3, first 2 shown]
	s_waitcnt lgkmcnt(0)
	s_barrier
	global_load_dword v24, v1, s[36:37] offset:1024
	global_load_dword v26, v1, s[36:37] offset:2048
	;; [unrolled: 1-line block ×3, first 2 shown]
	global_load_dword v28, v[14:15], off offset:1024
	global_load_dword v29, v[14:15], off offset:2048
	;; [unrolled: 1-line block ×3, first 2 shown]
	global_load_dword v31, v[16:17], off offset:-4096
	global_load_dword v32, v[16:17], off
	global_load_dword v33, v[16:17], off offset:1024
	global_load_dword v34, v[16:17], off offset:2048
	global_load_dword v35, v1, s[36:37]
	global_load_dword v36, v[16:17], off offset:3072
	v_add_co_u32_e32 v14, vcc, s7, v22
	v_addc_co_u32_e32 v15, vcc, 0, v23, vcc
	global_load_dword v16, v[14:15], off
	global_load_dword v22, v[14:15], off offset:1024
	v_cmp_ne_u32_e32 vcc, v9, v2
	v_cndmask_b32_e64 v39, 0, 1, vcc
	v_cmp_ne_u32_e32 vcc, v5, v10
	v_cndmask_b32_e64 v9, 0, 1, vcc
	v_cmp_ne_u32_e32 vcc, v4, v5
	v_cmp_ne_u32_e64 s[20:21], v6, v7
	v_cndmask_b32_e64 v7, 0, 1, vcc
	v_cmp_ne_u32_e32 vcc, v3, v4
	v_cndmask_b32_e64 v5, 0, 1, vcc
	v_cmp_ne_u32_e32 vcc, v2, v3
	;; [unrolled: 2-line block ×10, first 2 shown]
	v_cndmask_b32_e64 v19, 0, 1, vcc
	s_mov_b64 s[22:23], -1
                                        ; implicit-def: $sgpr16_sgpr17
	s_waitcnt vmcnt(3)
	ds_write2st64_b32 v1, v35, v24 offset1:4
	ds_write2st64_b32 v1, v26, v27 offset0:8 offset1:12
	ds_write2st64_b32 v1, v29, v30 offset0:24 offset1:28
	;; [unrolled: 1-line block ×4, first 2 shown]
	s_waitcnt vmcnt(2)
	ds_write2st64_b32 v1, v34, v36 offset0:40 offset1:44
	s_waitcnt vmcnt(0)
	ds_write2st64_b32 v1, v16, v22 offset0:48 offset1:52
	s_waitcnt lgkmcnt(0)
	s_barrier
	ds_read2_b32 v[42:43], v8 offset1:13
	ds_read2_b32 v[26:27], v8 offset0:7 offset1:8
	ds_read2_b32 v[28:29], v8 offset0:5 offset1:6
	;; [unrolled: 1-line block ×6, first 2 shown]
	s_waitcnt lgkmcnt(6)
	v_mov_b32_e32 v38, v42
	s_waitcnt lgkmcnt(4)
	v_mov_b32_e32 v10, v28
	;; [unrolled: 2-line block ×4, first 2 shown]
	v_mov_b32_e32 v4, v33
	v_mov_b32_e32 v8, v31
	;; [unrolled: 1-line block ×5, first 2 shown]
	s_waitcnt lgkmcnt(0)
	v_mov_b32_e32 v18, v36
	v_mov_b32_e32 v20, v37
	;; [unrolled: 1-line block ×4, first 2 shown]
.LBB56_78:
	v_pk_mov_b32 v[34:35], s[16:17], s[16:17] op_sel:[0,1]
	s_and_saveexec_b64 s[2:3], s[22:23]
	s_cbranch_execz .LBB56_80
; %bb.79:
	v_cndmask_b32_e64 v35, 0, 1, s[20:21]
	s_waitcnt lgkmcnt(0)
	v_mov_b32_e32 v34, v43
.LBB56_80:
	s_or_b64 exec, exec, s[2:3]
	s_mov_b32 s28, 0
	s_cmp_lg_u32 s6, 0
	v_mbcnt_lo_u32_b32 v1, -1, 0
	s_waitcnt lgkmcnt(0)
	s_barrier
	s_cbranch_scc0 .LBB56_131
; %bb.81:
	s_mov_b32 s29, 1
	v_cmp_gt_u64_e64 s[2:3], s[28:29], v[2:3]
	v_cndmask_b32_e64 v27, 0, v38, s[2:3]
	v_add_u32_e32 v27, v27, v2
	v_cmp_gt_u64_e64 s[34:35], s[28:29], v[4:5]
	v_cndmask_b32_e64 v27, 0, v27, s[34:35]
	v_add_u32_e32 v27, v27, v4
	;; [unrolled: 3-line block ×13, first 2 shown]
	v_or3_b32 v27, v35, v25, v23
	v_or3_b32 v27, v27, v21, v19
	v_or3_b32 v27, v27, v17, v15
	v_or3_b32 v27, v27, v13, v11
	v_or3_b32 v27, v27, v9, v7
	v_or3_b32 v27, v27, v5, v3
	v_mov_b32_e32 v26, 0
	v_and_b32_e32 v27, 1, v27
	v_cmp_eq_u64_e32 vcc, 0, v[26:27]
	v_cndmask_b32_e32 v27, 1, v39, vcc
	v_and_b32_e32 v29, 0xff, v27
	v_mbcnt_hi_u32_b32 v44, -1, v1
	v_mov_b32_dpp v26, v28 row_shr:1 row_mask:0xf bank_mask:0xf
	v_mov_b32_dpp v31, v29 row_shr:1 row_mask:0xf bank_mask:0xf
	v_cmp_eq_u16_e32 vcc, 0, v29
	v_and_b32_e32 v32, 1, v27
	v_and_b32_e32 v30, 15, v44
	v_cndmask_b32_e32 v26, 0, v26, vcc
	v_and_b32_e32 v31, 1, v31
	v_cmp_eq_u32_e32 vcc, 1, v32
	v_cndmask_b32_e64 v31, v31, 1, vcc
	v_cmp_eq_u32_e32 vcc, 0, v30
	v_and_b32_e32 v32, 0xffff, v31
	v_cndmask_b32_e64 v26, v26, 0, vcc
	v_add_u32_e32 v26, v26, v28
	v_cndmask_b32_e32 v28, v32, v29, vcc
	v_cndmask_b32_e32 v27, v31, v27, vcc
	v_mov_b32_dpp v32, v26 row_shr:2 row_mask:0xf bank_mask:0xf
	v_mov_b32_dpp v33, v28 row_shr:2 row_mask:0xf bank_mask:0xf
	v_cmp_lt_u32_e32 vcc, 1, v30
	v_mov_b32_e32 v29, v28
	s_and_saveexec_b64 s[30:31], vcc
; %bb.82:
	v_and_b32_e32 v27, 1, v31
	v_and_b32_e32 v28, 1, v33
	v_cmp_eq_u32_e32 vcc, 1, v27
	v_cndmask_b32_e64 v27, v28, 1, vcc
	v_cmp_eq_u16_e32 vcc, 0, v31
	v_cndmask_b32_e32 v28, 0, v32, vcc
	v_and_b32_e32 v29, 0xffff, v27
	v_add_u32_e32 v26, v28, v26
	v_mov_b32_e32 v28, v27
; %bb.83:
	s_or_b64 exec, exec, s[30:31]
	v_mov_b32_dpp v31, v26 row_shr:4 row_mask:0xf bank_mask:0xf
	v_mov_b32_dpp v32, v29 row_shr:4 row_mask:0xf bank_mask:0xf
	v_cmp_lt_u32_e32 vcc, 3, v30
	s_and_saveexec_b64 s[30:31], vcc
; %bb.84:
	v_and_b32_e32 v27, 1, v28
	v_and_b32_e32 v29, 1, v32
	v_cmp_eq_u32_e32 vcc, 1, v27
	v_cndmask_b32_e64 v27, v29, 1, vcc
	v_cmp_eq_u16_e32 vcc, 0, v28
	v_cndmask_b32_e32 v28, 0, v31, vcc
	v_and_b32_e32 v29, 0xffff, v27
	v_add_u32_e32 v26, v28, v26
	v_mov_b32_e32 v28, v27
; %bb.85:
	s_or_b64 exec, exec, s[30:31]
	v_mov_b32_dpp v31, v26 row_shr:8 row_mask:0xf bank_mask:0xf
	v_mov_b32_dpp v32, v29 row_shr:8 row_mask:0xf bank_mask:0xf
	v_cmp_lt_u32_e32 vcc, 7, v30
	s_and_saveexec_b64 s[30:31], vcc
; %bb.86:
	v_and_b32_e32 v27, 1, v28
	v_and_b32_e32 v29, 1, v32
	v_cmp_eq_u32_e32 vcc, 1, v27
	v_cndmask_b32_e64 v27, v29, 1, vcc
	v_cmp_eq_u16_e32 vcc, 0, v28
	v_cndmask_b32_e32 v28, 0, v31, vcc
	v_and_b32_e32 v29, 0xffff, v27
	v_add_u32_e32 v26, v28, v26
	v_mov_b32_e32 v28, v27
; %bb.87:
	s_or_b64 exec, exec, s[30:31]
	v_and_b32_e32 v32, 16, v44
	v_mov_b32_dpp v30, v26 row_bcast:15 row_mask:0xf bank_mask:0xf
	v_mov_b32_dpp v31, v29 row_bcast:15 row_mask:0xf bank_mask:0xf
	v_cmp_ne_u32_e32 vcc, 0, v32
	s_and_saveexec_b64 s[30:31], vcc
; %bb.88:
	v_and_b32_e32 v27, 1, v28
	v_and_b32_e32 v29, 1, v31
	v_cmp_eq_u32_e32 vcc, 1, v27
	v_cndmask_b32_e64 v27, v29, 1, vcc
	v_cmp_eq_u16_e32 vcc, 0, v28
	v_cndmask_b32_e32 v28, 0, v30, vcc
	v_and_b32_e32 v29, 0xffff, v27
	v_add_u32_e32 v26, v28, v26
	v_mov_b32_e32 v28, v27
; %bb.89:
	s_or_b64 exec, exec, s[30:31]
	v_mov_b32_e32 v31, 0
	v_mov_b32_dpp v29, v29 row_bcast:31 row_mask:0xf bank_mask:0xf
	v_cmp_eq_u16_sdwa s[30:31], v28, v31 src0_sel:BYTE_0 src1_sel:DWORD
	v_and_b32_e32 v28, 1, v28
	v_and_b32_e32 v29, 1, v29
	v_cmp_eq_u32_e32 vcc, 1, v28
	v_cndmask_b32_e64 v28, v29, 1, vcc
	v_cmp_lt_u32_e32 vcc, 31, v44
	v_mov_b32_dpp v30, v26 row_bcast:31 row_mask:0xf bank_mask:0xf
	v_cndmask_b32_e32 v29, v27, v28, vcc
	s_and_b64 vcc, vcc, s[30:31]
	v_cndmask_b32_e32 v27, 0, v30, vcc
	v_add_u32_e32 v28, v27, v26
	v_or_b32_e32 v26, 63, v0
	v_lshrrev_b32_e32 v30, 6, v0
	v_cmp_eq_u32_e32 vcc, v26, v0
	s_and_saveexec_b64 s[30:31], vcc
	s_cbranch_execz .LBB56_91
; %bb.90:
	v_lshlrev_b32_e32 v26, 3, v30
	ds_write_b32 v26, v28
	ds_write_b8 v26, v29 offset:4
.LBB56_91:
	s_or_b64 exec, exec, s[30:31]
	v_cmp_gt_u32_e32 vcc, 4, v0
	s_waitcnt lgkmcnt(0)
	s_barrier
	s_and_saveexec_b64 s[30:31], vcc
	s_cbranch_execz .LBB56_97
; %bb.92:
	v_lshlrev_b32_e32 v31, 3, v0
	ds_read_b64 v[26:27], v31
	v_and_b32_e32 v32, 3, v44
	v_cmp_ne_u32_e32 vcc, 0, v32
	s_waitcnt lgkmcnt(0)
	v_mov_b32_dpp v36, v26 row_shr:1 row_mask:0xf bank_mask:0xf
	v_mov_b32_dpp v37, v27 row_shr:1 row_mask:0xf bank_mask:0xf
	v_mov_b32_e32 v33, v27
	s_and_saveexec_b64 s[36:37], vcc
	s_cbranch_execz .LBB56_94
; %bb.93:
	v_and_b32_e32 v33, 1, v27
	v_and_b32_e32 v37, 1, v37
	v_cmp_eq_u32_e32 vcc, 1, v33
	v_mov_b32_e32 v33, 0
	v_cndmask_b32_e64 v37, v37, 1, vcc
	v_cmp_eq_u16_sdwa vcc, v27, v33 src0_sel:BYTE_0 src1_sel:DWORD
	v_cndmask_b32_e32 v33, 0, v36, vcc
	v_add_u32_e32 v26, v33, v26
	v_and_b32_e32 v33, 0xffff, v37
	s_movk_i32 s7, 0xff00
	v_and_or_b32 v33, v27, s7, v33
	v_mov_b32_e32 v27, v37
.LBB56_94:
	s_or_b64 exec, exec, s[36:37]
	v_mov_b32_dpp v36, v26 row_shr:2 row_mask:0xf bank_mask:0xf
	v_mov_b32_dpp v37, v33 row_shr:2 row_mask:0xf bank_mask:0xf
	v_cmp_lt_u32_e32 vcc, 1, v32
	s_and_saveexec_b64 s[36:37], vcc
; %bb.95:
	v_and_b32_e32 v27, 1, v33
	v_and_b32_e32 v32, 1, v37
	v_cmp_eq_u32_e32 vcc, 1, v27
	v_cndmask_b32_e64 v27, v32, 1, vcc
	v_mov_b32_e32 v32, 0
	v_cmp_eq_u32_sdwa vcc, v33, v32 src0_sel:BYTE_0 src1_sel:DWORD
	v_cndmask_b32_e32 v32, 0, v36, vcc
	v_add_u32_e32 v26, v32, v26
; %bb.96:
	s_or_b64 exec, exec, s[36:37]
	ds_write_b32 v31, v26
	ds_write_b8 v31, v27 offset:4
.LBB56_97:
	s_or_b64 exec, exec, s[30:31]
	v_cmp_gt_u32_e32 vcc, 64, v0
	v_cmp_lt_u32_e64 s[30:31], 63, v0
	v_mov_b32_e32 v42, 0
	v_mov_b32_e32 v43, 0
	s_waitcnt lgkmcnt(0)
	s_barrier
	s_and_saveexec_b64 s[36:37], s[30:31]
	s_cbranch_execz .LBB56_99
; %bb.98:
	v_lshl_add_u32 v26, v30, 3, -8
	ds_read_b32 v42, v26
	ds_read_u8 v43, v26 offset:4
	v_mov_b32_e32 v27, 0
	v_and_b32_e32 v30, 1, v29
	v_cmp_eq_u16_sdwa s[30:31], v29, v27 src0_sel:BYTE_0 src1_sel:DWORD
	s_waitcnt lgkmcnt(1)
	v_cndmask_b32_e64 v26, 0, v42, s[30:31]
	v_cmp_eq_u32_e64 s[30:31], 1, v30
	v_add_u32_e32 v28, v26, v28
	s_waitcnt lgkmcnt(0)
	v_cndmask_b32_e64 v29, v43, 1, s[30:31]
.LBB56_99:
	s_or_b64 exec, exec, s[36:37]
	v_and_b32_e32 v26, 0xff, v29
	v_add_u32_e32 v27, -1, v44
	v_and_b32_e32 v29, 64, v44
	v_cmp_lt_i32_e64 s[30:31], v27, v29
	v_cndmask_b32_e64 v27, v27, v44, s[30:31]
	v_lshlrev_b32_e32 v27, 2, v27
	ds_bpermute_b32 v45, v27, v28
	ds_bpermute_b32 v46, v27, v26
	v_cmp_eq_u32_e64 s[30:31], 0, v44
	s_and_saveexec_b64 s[44:45], vcc
	s_cbranch_execz .LBB56_118
; %bb.100:
	v_mov_b32_e32 v29, 0
	ds_read_b64 v[26:27], v29 offset:24
	s_waitcnt lgkmcnt(0)
	v_readfirstlane_b32 s7, v27
	s_and_saveexec_b64 s[36:37], s[30:31]
	s_cbranch_execz .LBB56_102
; %bb.101:
	s_add_i32 s46, s6, 64
	s_mov_b32 s47, 0
	s_lshl_b64 s[50:51], s[46:47], 4
	s_add_u32 s50, s40, s50
	s_addc_u32 s51, s41, s51
	s_and_b32 s53, s7, 0xff000000
	s_mov_b32 s52, s47
	s_and_b32 s55, s7, 0xff0000
	s_mov_b32 s54, s47
	s_or_b64 s[52:53], s[54:55], s[52:53]
	s_and_b32 s55, s7, 0xff00
	s_or_b64 s[52:53], s[52:53], s[54:55]
	s_and_b32 s55, s7, 0xff
	s_or_b64 s[46:47], s[52:53], s[54:55]
	v_mov_b32_e32 v27, s47
	v_mov_b32_e32 v28, 1
	v_pk_mov_b32 v[30:31], s[50:51], s[50:51] op_sel:[0,1]
	;;#ASMSTART
	global_store_dwordx4 v[30:31], v[26:29] off	
s_waitcnt vmcnt(0)
	;;#ASMEND
.LBB56_102:
	s_or_b64 exec, exec, s[36:37]
	v_xad_u32 v36, v44, -1, s6
	v_add_u32_e32 v28, 64, v36
	v_lshlrev_b64 v[30:31], 4, v[28:29]
	v_mov_b32_e32 v27, s41
	v_add_co_u32_e32 v40, vcc, s40, v30
	v_addc_co_u32_e32 v41, vcc, v27, v31, vcc
	;;#ASMSTART
	global_load_dwordx4 v[30:33], v[40:41] off glc	
s_waitcnt vmcnt(0)
	;;#ASMEND
	v_cmp_eq_u16_sdwa s[46:47], v32, v29 src0_sel:BYTE_0 src1_sel:DWORD
	s_and_saveexec_b64 s[36:37], s[46:47]
	s_cbranch_execz .LBB56_106
; %bb.103:
	s_mov_b64 s[46:47], 0
	v_mov_b32_e32 v27, 0
.LBB56_104:                             ; =>This Inner Loop Header: Depth=1
	;;#ASMSTART
	global_load_dwordx4 v[30:33], v[40:41] off glc	
s_waitcnt vmcnt(0)
	;;#ASMEND
	v_cmp_ne_u16_sdwa s[50:51], v32, v27 src0_sel:BYTE_0 src1_sel:DWORD
	s_or_b64 s[46:47], s[50:51], s[46:47]
	s_andn2_b64 exec, exec, s[46:47]
	s_cbranch_execnz .LBB56_104
; %bb.105:
	s_or_b64 exec, exec, s[46:47]
.LBB56_106:
	s_or_b64 exec, exec, s[36:37]
	v_mov_b32_e32 v27, 2
	v_cmp_eq_u16_sdwa s[36:37], v32, v27 src0_sel:BYTE_0 src1_sel:DWORD
	v_lshlrev_b64 v[28:29], v44, -1
	v_and_b32_e32 v33, s37, v29
	v_or_b32_e32 v33, 0x80000000, v33
	v_and_b32_e32 v37, s36, v28
	v_ffbl_b32_e32 v33, v33
	v_and_b32_e32 v57, 63, v44
	v_add_u32_e32 v33, 32, v33
	v_ffbl_b32_e32 v37, v37
	v_cmp_ne_u32_e32 vcc, 63, v57
	v_min_u32_e32 v33, v37, v33
	v_addc_co_u32_e32 v37, vcc, 0, v44, vcc
	v_and_b32_e32 v41, 0xff, v31
	v_lshlrev_b32_e32 v47, 2, v37
	ds_bpermute_b32 v37, v47, v41
	ds_bpermute_b32 v49, v47, v30
	s_mov_b32 s46, 0
	v_and_b32_e32 v31, 1, v31
	v_mov_b32_e32 v40, v30
	s_mov_b32 s47, 1
	s_waitcnt lgkmcnt(1)
	v_and_b32_e32 v37, 1, v37
	v_cmp_eq_u32_e32 vcc, 1, v31
	v_add_u32_e32 v48, 1, v44
	v_cndmask_b32_e64 v31, v37, 1, vcc
	v_cmp_gt_u64_e32 vcc, s[46:47], v[40:41]
	v_and_b32_e32 v37, 0xffff, v31
	s_waitcnt lgkmcnt(0)
	v_cndmask_b32_e32 v40, 0, v49, vcc
	v_cmp_gt_u32_e32 vcc, v48, v33
	v_cndmask_b32_e32 v31, v31, v41, vcc
	v_cndmask_b32_e64 v40, v40, 0, vcc
	v_cndmask_b32_e32 v37, v37, v41, vcc
	v_cmp_gt_u32_e32 vcc, 62, v57
	v_cndmask_b32_e64 v41, 0, 1, vcc
	v_lshlrev_b32_e32 v41, 1, v41
	v_add_lshl_u32 v49, v41, v44, 2
	ds_bpermute_b32 v41, v49, v37
	v_add_u32_e32 v30, v40, v30
	ds_bpermute_b32 v40, v49, v30
	v_and_b32_e32 v51, 1, v31
	v_cmp_eq_u32_e32 vcc, 1, v51
	s_waitcnt lgkmcnt(1)
	v_and_b32_e32 v41, 1, v41
	v_add_u32_e32 v50, 2, v44
	v_cndmask_b32_e64 v41, v41, 1, vcc
	v_cmp_eq_u16_e32 vcc, 0, v31
	v_and_b32_e32 v51, 0xffff, v41
	s_waitcnt lgkmcnt(0)
	v_cndmask_b32_e32 v40, 0, v40, vcc
	v_cmp_gt_u32_e32 vcc, v50, v33
	v_cndmask_b32_e32 v31, v41, v31, vcc
	v_cndmask_b32_e64 v40, v40, 0, vcc
	v_cndmask_b32_e32 v37, v51, v37, vcc
	v_cmp_gt_u32_e32 vcc, 60, v57
	v_cndmask_b32_e64 v41, 0, 1, vcc
	v_lshlrev_b32_e32 v41, 2, v41
	v_add_lshl_u32 v51, v41, v44, 2
	ds_bpermute_b32 v41, v51, v37
	v_add_u32_e32 v30, v40, v30
	ds_bpermute_b32 v40, v51, v30
	v_and_b32_e32 v53, 1, v31
	v_cmp_eq_u32_e32 vcc, 1, v53
	s_waitcnt lgkmcnt(1)
	v_and_b32_e32 v41, 1, v41
	v_add_u32_e32 v52, 4, v44
	v_cndmask_b32_e64 v41, v41, 1, vcc
	v_cmp_eq_u16_e32 vcc, 0, v31
	;; [unrolled: 21-line block ×3, first 2 shown]
	v_and_b32_e32 v55, 0xffff, v41
	s_waitcnt lgkmcnt(0)
	v_cndmask_b32_e32 v40, 0, v40, vcc
	v_cmp_gt_u32_e32 vcc, v54, v33
	v_cndmask_b32_e32 v31, v41, v31, vcc
	v_cndmask_b32_e64 v40, v40, 0, vcc
	v_cndmask_b32_e32 v41, v55, v37, vcc
	v_cmp_gt_u32_e32 vcc, 48, v57
	v_cndmask_b32_e64 v37, 0, 1, vcc
	v_lshlrev_b32_e32 v37, 4, v37
	v_add_lshl_u32 v55, v37, v44, 2
	ds_bpermute_b32 v37, v55, v41
	v_add_u32_e32 v30, v40, v30
	ds_bpermute_b32 v40, v55, v30
	v_and_b32_e32 v58, 1, v31
	v_cmp_eq_u32_e32 vcc, 1, v58
	s_waitcnt lgkmcnt(1)
	v_and_b32_e32 v37, 1, v37
	v_cndmask_b32_e64 v58, v37, 1, vcc
	v_mov_b32_e32 v37, 0
	v_add_u32_e32 v56, 16, v44
	v_cmp_eq_u16_sdwa vcc, v31, v37 src0_sel:BYTE_0 src1_sel:DWORD
	s_waitcnt lgkmcnt(0)
	v_cndmask_b32_e32 v40, 0, v40, vcc
	v_cmp_gt_u32_e32 vcc, v56, v33
	v_cndmask_b32_e64 v40, v40, 0, vcc
	v_cmp_gt_u32_e64 s[36:37], 32, v57
	v_add_u32_e32 v30, v40, v30
	v_cndmask_b32_e64 v40, 0, 1, s[36:37]
	v_and_b32_e32 v59, 0xffff, v58
	v_lshlrev_b32_e32 v40, 5, v40
	v_cndmask_b32_e32 v31, v58, v31, vcc
	v_add_lshl_u32 v58, v40, v44, 2
	v_cndmask_b32_e32 v41, v59, v41, vcc
	ds_bpermute_b32 v40, v58, v30
	ds_bpermute_b32 v41, v58, v41
	v_add_u32_e32 v59, 32, v44
	v_cmp_eq_u16_sdwa vcc, v31, v37 src0_sel:BYTE_0 src1_sel:DWORD
	v_and_b32_e32 v44, 1, v31
	s_waitcnt lgkmcnt(1)
	v_cndmask_b32_e32 v40, 0, v40, vcc
	s_waitcnt lgkmcnt(0)
	v_and_b32_e32 v41, 1, v41
	v_cmp_eq_u32_e32 vcc, 1, v44
	v_cndmask_b32_e64 v41, v41, 1, vcc
	v_cmp_gt_u32_e32 vcc, v59, v33
	v_cndmask_b32_e64 v33, v40, 0, vcc
	v_cndmask_b32_e32 v31, v41, v31, vcc
	v_add_u32_e32 v30, v33, v30
	s_branch .LBB56_108
.LBB56_107:                             ;   in Loop: Header=BB56_108 Depth=1
	s_or_b64 exec, exec, s[36:37]
	v_cmp_eq_u16_sdwa s[36:37], v32, v27 src0_sel:BYTE_0 src1_sel:DWORD
	v_and_b32_e32 v33, s37, v29
	v_and_b32_e32 v41, 0xff, v31
	v_or_b32_e32 v33, 0x80000000, v33
	v_and_b32_e32 v60, s36, v28
	v_ffbl_b32_e32 v33, v33
	ds_bpermute_b32 v61, v47, v41
	v_add_u32_e32 v33, 32, v33
	v_ffbl_b32_e32 v60, v60
	v_min_u32_e32 v33, v60, v33
	ds_bpermute_b32 v60, v47, v30
	v_and_b32_e32 v31, 1, v31
	v_mov_b32_e32 v40, v30
	s_waitcnt lgkmcnt(1)
	v_and_b32_e32 v61, 1, v61
	v_cmp_eq_u32_e32 vcc, 1, v31
	v_cndmask_b32_e64 v31, v61, 1, vcc
	v_cmp_gt_u64_e32 vcc, s[46:47], v[40:41]
	v_and_b32_e32 v61, 0xffff, v31
	s_waitcnt lgkmcnt(0)
	v_cndmask_b32_e32 v40, 0, v60, vcc
	v_cmp_gt_u32_e32 vcc, v48, v33
	v_cndmask_b32_e32 v31, v31, v41, vcc
	v_cndmask_b32_e32 v41, v61, v41, vcc
	ds_bpermute_b32 v60, v49, v41
	v_cndmask_b32_e64 v40, v40, 0, vcc
	v_add_u32_e32 v30, v40, v30
	ds_bpermute_b32 v40, v49, v30
	v_and_b32_e32 v61, 1, v31
	s_waitcnt lgkmcnt(1)
	v_and_b32_e32 v60, 1, v60
	v_cmp_eq_u32_e32 vcc, 1, v61
	v_cndmask_b32_e64 v60, v60, 1, vcc
	v_cmp_eq_u16_e32 vcc, 0, v31
	v_and_b32_e32 v61, 0xffff, v60
	s_waitcnt lgkmcnt(0)
	v_cndmask_b32_e32 v40, 0, v40, vcc
	v_cmp_gt_u32_e32 vcc, v50, v33
	v_cndmask_b32_e32 v41, v61, v41, vcc
	v_cndmask_b32_e32 v31, v60, v31, vcc
	ds_bpermute_b32 v60, v51, v41
	v_cndmask_b32_e64 v40, v40, 0, vcc
	v_add_u32_e32 v30, v40, v30
	ds_bpermute_b32 v40, v51, v30
	v_and_b32_e32 v61, 1, v31
	s_waitcnt lgkmcnt(1)
	v_and_b32_e32 v60, 1, v60
	v_cmp_eq_u32_e32 vcc, 1, v61
	v_cndmask_b32_e64 v60, v60, 1, vcc
	v_cmp_eq_u16_e32 vcc, 0, v31
	;; [unrolled: 16-line block ×3, first 2 shown]
	v_and_b32_e32 v61, 0xffff, v60
	s_waitcnt lgkmcnt(0)
	v_cndmask_b32_e32 v40, 0, v40, vcc
	v_cmp_gt_u32_e32 vcc, v54, v33
	v_cndmask_b32_e32 v41, v61, v41, vcc
	v_cndmask_b32_e32 v31, v60, v31, vcc
	ds_bpermute_b32 v60, v55, v41
	v_cndmask_b32_e64 v40, v40, 0, vcc
	v_add_u32_e32 v30, v40, v30
	ds_bpermute_b32 v40, v55, v30
	v_and_b32_e32 v61, 1, v31
	s_waitcnt lgkmcnt(1)
	v_and_b32_e32 v60, 1, v60
	v_cmp_eq_u32_e32 vcc, 1, v61
	v_cndmask_b32_e64 v60, v60, 1, vcc
	v_cmp_eq_u16_sdwa vcc, v31, v37 src0_sel:BYTE_0 src1_sel:DWORD
	s_waitcnt lgkmcnt(0)
	v_cndmask_b32_e32 v40, 0, v40, vcc
	v_cmp_gt_u32_e32 vcc, v56, v33
	v_cndmask_b32_e64 v40, v40, 0, vcc
	v_cndmask_b32_e32 v31, v60, v31, vcc
	v_add_u32_e32 v30, v40, v30
	v_and_b32_e32 v60, 0xffff, v60
	ds_bpermute_b32 v40, v58, v30
	v_cndmask_b32_e32 v41, v60, v41, vcc
	ds_bpermute_b32 v41, v58, v41
	v_cmp_eq_u16_sdwa vcc, v31, v37 src0_sel:BYTE_0 src1_sel:DWORD
	v_and_b32_e32 v60, 1, v31
	s_waitcnt lgkmcnt(1)
	v_cndmask_b32_e32 v40, 0, v40, vcc
	v_cmp_eq_u32_e32 vcc, 1, v60
	s_waitcnt lgkmcnt(0)
	v_cndmask_b32_e64 v41, v41, 1, vcc
	v_cmp_gt_u32_e32 vcc, v59, v33
	v_cndmask_b32_e64 v33, v40, 0, vcc
	v_cndmask_b32_e32 v31, v41, v31, vcc
	v_add_u32_e32 v30, v33, v30
	v_cmp_eq_u16_sdwa vcc, v44, v37 src0_sel:BYTE_0 src1_sel:DWORD
	v_and_b32_e32 v33, 1, v44
	v_cndmask_b32_e32 v30, 0, v30, vcc
	v_and_b32_e32 v31, 1, v31
	v_cmp_eq_u32_e32 vcc, 1, v33
	v_subrev_u32_e32 v36, 64, v36
	v_add_u32_e32 v30, v30, v57
	v_cndmask_b32_e64 v31, v31, 1, vcc
.LBB56_108:                             ; =>This Loop Header: Depth=1
                                        ;     Child Loop BB56_111 Depth 2
	v_cmp_ne_u16_sdwa s[36:37], v32, v27 src0_sel:BYTE_0 src1_sel:DWORD
	v_mov_b32_e32 v44, v31
	v_cndmask_b32_e64 v31, 0, 1, s[36:37]
	;;#ASMSTART
	;;#ASMEND
	v_cmp_ne_u32_e32 vcc, 0, v31
	s_cmp_lg_u64 vcc, exec
	v_mov_b32_e32 v57, v30
	s_cbranch_scc1 .LBB56_113
; %bb.109:                              ;   in Loop: Header=BB56_108 Depth=1
	v_lshlrev_b64 v[30:31], 4, v[36:37]
	v_mov_b32_e32 v32, s41
	v_add_co_u32_e32 v40, vcc, s40, v30
	v_addc_co_u32_e32 v41, vcc, v32, v31, vcc
	;;#ASMSTART
	global_load_dwordx4 v[30:33], v[40:41] off glc	
s_waitcnt vmcnt(0)
	;;#ASMEND
	v_cmp_eq_u16_sdwa s[50:51], v32, v37 src0_sel:BYTE_0 src1_sel:DWORD
	s_and_saveexec_b64 s[36:37], s[50:51]
	s_cbranch_execz .LBB56_107
; %bb.110:                              ;   in Loop: Header=BB56_108 Depth=1
	s_mov_b64 s[50:51], 0
.LBB56_111:                             ;   Parent Loop BB56_108 Depth=1
                                        ; =>  This Inner Loop Header: Depth=2
	;;#ASMSTART
	global_load_dwordx4 v[30:33], v[40:41] off glc	
s_waitcnt vmcnt(0)
	;;#ASMEND
	v_cmp_ne_u16_sdwa s[52:53], v32, v37 src0_sel:BYTE_0 src1_sel:DWORD
	s_or_b64 s[50:51], s[52:53], s[50:51]
	s_andn2_b64 exec, exec, s[50:51]
	s_cbranch_execnz .LBB56_111
; %bb.112:                              ;   in Loop: Header=BB56_108 Depth=1
	s_or_b64 exec, exec, s[50:51]
	s_branch .LBB56_107
.LBB56_113:                             ;   in Loop: Header=BB56_108 Depth=1
                                        ; implicit-def: $vgpr31
                                        ; implicit-def: $vgpr30
                                        ; implicit-def: $vgpr32
	s_cbranch_execz .LBB56_108
; %bb.114:
	s_and_saveexec_b64 s[36:37], s[30:31]
	s_cbranch_execz .LBB56_116
; %bb.115:
	s_and_b32 s43, s7, 0xff
	s_cmp_eq_u32 s43, 0
	s_cselect_b64 vcc, -1, 0
	s_bitcmp1_b32 s7, 0
	s_mov_b32 s47, 0
	s_cselect_b64 s[50:51], -1, 0
	s_add_i32 s46, s6, 64
	s_lshl_b64 s[6:7], s[46:47], 4
	v_cndmask_b32_e32 v27, 0, v57, vcc
	s_add_u32 s6, s40, s6
	v_add_u32_e32 v26, v27, v26
	v_and_b32_e32 v27, 1, v44
	s_addc_u32 s7, s41, s7
	v_mov_b32_e32 v29, 0
	v_cndmask_b32_e64 v27, v27, 1, s[50:51]
	v_mov_b32_e32 v28, 2
	v_pk_mov_b32 v[30:31], s[6:7], s[6:7] op_sel:[0,1]
	;;#ASMSTART
	global_store_dwordx4 v[30:31], v[26:29] off	
s_waitcnt vmcnt(0)
	;;#ASMEND
.LBB56_116:
	s_or_b64 exec, exec, s[36:37]
	v_cmp_eq_u32_e32 vcc, 0, v0
	s_and_b64 exec, exec, vcc
	s_cbranch_execz .LBB56_118
; %bb.117:
	v_mov_b32_e32 v26, 0
	ds_write_b32 v26, v57 offset:24
	ds_write_b8 v26, v44 offset:28
.LBB56_118:
	s_or_b64 exec, exec, s[44:45]
	s_mov_b32 s6, 0
	v_mov_b32_e32 v28, 0
	s_mov_b32 s7, 1
	s_waitcnt lgkmcnt(0)
	v_cndmask_b32_e64 v26, v46, v43, s[30:31]
	v_cndmask_b32_e64 v27, v45, v42, s[30:31]
	s_barrier
	ds_read_b32 v29, v28 offset:24
	v_cmp_gt_u64_e32 vcc, s[6:7], v[38:39]
	v_and_b32_e32 v30, 1, v39
	v_cndmask_b32_e32 v27, 0, v27, vcc
	v_and_b32_e32 v26, 1, v26
	v_cmp_eq_u32_e32 vcc, 1, v30
	v_cndmask_b32_e64 v26, v26, 1, vcc
	v_cmp_eq_u32_e32 vcc, 0, v0
	v_cndmask_b32_e32 v26, v26, v39, vcc
	v_cndmask_b32_e64 v27, v27, 0, vcc
	v_cmp_eq_u16_sdwa vcc, v26, v28 src0_sel:BYTE_0 src1_sel:DWORD
	s_waitcnt lgkmcnt(0)
	v_cndmask_b32_e32 v26, 0, v29, vcc
	v_add3_u32 v42, v27, v38, v26
	v_cndmask_b32_e64 v26, 0, v42, s[2:3]
	v_add_u32_e32 v26, v26, v2
	v_cndmask_b32_e64 v27, 0, v26, s[34:35]
	v_add_u32_e32 v27, v27, v4
	;; [unrolled: 2-line block ×13, first 2 shown]
	s_branch .LBB56_157
.LBB56_119:
	s_or_b64 exec, exec, s[46:47]
                                        ; implicit-def: $vgpr5
	s_and_saveexec_b64 s[2:3], s[34:35]
	s_cbranch_execz .LBB56_33
.LBB56_120:
	global_load_dword v5, v[2:3], off offset:1024
	s_or_b64 exec, exec, s[2:3]
                                        ; implicit-def: $vgpr6
	s_and_saveexec_b64 s[2:3], s[8:9]
	s_cbranch_execnz .LBB56_34
.LBB56_121:
	s_or_b64 exec, exec, s[2:3]
                                        ; implicit-def: $vgpr7
	s_and_saveexec_b64 s[2:3], s[10:11]
	s_cbranch_execz .LBB56_35
.LBB56_122:
	global_load_dword v7, v[2:3], off offset:3072
	s_or_b64 exec, exec, s[2:3]
                                        ; implicit-def: $vgpr8
	s_and_saveexec_b64 s[2:3], s[12:13]
	s_cbranch_execnz .LBB56_36
.LBB56_123:
	s_or_b64 exec, exec, s[2:3]
                                        ; implicit-def: $vgpr9
	s_and_saveexec_b64 s[2:3], s[14:15]
	s_cbranch_execz .LBB56_37
.LBB56_124:
	v_add_co_u32_e32 v10, vcc, 0x1000, v2
	v_addc_co_u32_e32 v11, vcc, 0, v3, vcc
	global_load_dword v9, v[10:11], off offset:1024
	s_or_b64 exec, exec, s[2:3]
                                        ; implicit-def: $vgpr10
	s_and_saveexec_b64 s[2:3], s[16:17]
	s_cbranch_execnz .LBB56_38
.LBB56_125:
	s_or_b64 exec, exec, s[2:3]
                                        ; implicit-def: $vgpr11
	s_and_saveexec_b64 s[2:3], s[18:19]
	s_cbranch_execz .LBB56_39
.LBB56_126:
	v_add_co_u32_e32 v12, vcc, 0x1000, v2
	v_addc_co_u32_e32 v13, vcc, 0, v3, vcc
	global_load_dword v11, v[12:13], off offset:3072
	s_or_b64 exec, exec, s[2:3]
                                        ; implicit-def: $vgpr12
	s_and_saveexec_b64 s[2:3], s[20:21]
	s_cbranch_execnz .LBB56_40
.LBB56_127:
	s_or_b64 exec, exec, s[2:3]
                                        ; implicit-def: $vgpr13
	s_and_saveexec_b64 s[2:3], s[22:23]
	s_cbranch_execz .LBB56_41
.LBB56_128:
	v_add_co_u32_e32 v14, vcc, 0x2000, v2
	v_addc_co_u32_e32 v15, vcc, 0, v3, vcc
	global_load_dword v13, v[14:15], off offset:1024
	s_or_b64 exec, exec, s[2:3]
                                        ; implicit-def: $vgpr14
	s_and_saveexec_b64 s[2:3], s[24:25]
	s_cbranch_execnz .LBB56_42
.LBB56_129:
	s_or_b64 exec, exec, s[2:3]
                                        ; implicit-def: $vgpr15
	s_and_saveexec_b64 s[2:3], s[26:27]
	s_cbranch_execz .LBB56_43
.LBB56_130:
	v_add_co_u32_e32 v16, vcc, 0x2000, v2
	v_addc_co_u32_e32 v17, vcc, 0, v3, vcc
	global_load_dword v15, v[16:17], off offset:3072
	s_or_b64 exec, exec, s[2:3]
                                        ; implicit-def: $vgpr16
	s_and_saveexec_b64 s[2:3], s[28:29]
	s_cbranch_execz .LBB56_45
	s_branch .LBB56_44
.LBB56_131:
                                        ; implicit-def: $vgpr42_vgpr43
                                        ; implicit-def: $vgpr44
                                        ; implicit-def: $vgpr40_vgpr41
                                        ; implicit-def: $vgpr36_vgpr37
                                        ; implicit-def: $vgpr32_vgpr33
                                        ; implicit-def: $vgpr30_vgpr31
                                        ; implicit-def: $vgpr28_vgpr29
                                        ; implicit-def: $vgpr26_vgpr27
	s_cbranch_execz .LBB56_157
; %bb.132:
	s_cmp_lg_u64 s[48:49], 0
	s_cselect_b64 s[6:7], -1, 0
	v_cmp_eq_u32_e32 vcc, 0, v0
	s_mov_b32 s30, 0
	v_cmp_ne_u32_e64 s[2:3], 0, v0
	s_and_b64 s[6:7], vcc, s[6:7]
	s_and_saveexec_b64 s[8:9], s[6:7]
	s_cbranch_execz .LBB56_134
; %bb.133:
	v_mov_b32_e32 v26, 0
	global_load_ubyte v28, v26, s[48:49] offset:4
	s_load_dword s6, s[48:49], 0x0
	s_mov_b32 s31, 1
	v_and_b32_e32 v27, 1, v39
	s_waitcnt lgkmcnt(0)
	v_mov_b32_e32 v29, s6
	v_cmp_gt_u64_e64 s[6:7], s[30:31], v[38:39]
	v_cndmask_b32_e64 v29, 0, v29, s[6:7]
	v_cmp_eq_u64_e64 s[6:7], 0, v[26:27]
	v_add_u32_e32 v38, v29, v38
	s_waitcnt vmcnt(0)
	v_and_b32_e32 v28, 1, v28
	v_cndmask_b32_e64 v39, 1, v28, s[6:7]
.LBB56_134:
	s_or_b64 exec, exec, s[8:9]
	s_mov_b32 s31, 1
	v_cmp_gt_u64_e64 s[6:7], s[30:31], v[2:3]
	v_cndmask_b32_e64 v26, 0, v38, s[6:7]
	v_add_u32_e32 v26, v26, v2
	v_cmp_gt_u64_e64 s[8:9], s[30:31], v[4:5]
	v_cndmask_b32_e64 v27, 0, v26, s[8:9]
	v_add_u32_e32 v27, v27, v4
	;; [unrolled: 3-line block ×11, first 2 shown]
	v_cmp_gt_u64_e64 s[28:29], s[30:31], v[24:25]
	v_mov_b32_e32 v42, 0
	v_cndmask_b32_e64 v41, 0, v40, s[28:29]
	v_or3_b32 v7, v23, v15, v7
	v_add_u32_e32 v41, v41, v24
	v_cmp_gt_u64_e64 s[30:31], s[30:31], v[34:35]
	v_or3_b32 v9, v25, v17, v9
	v_and_b32_e32 v51, 1, v7
	v_mov_b32_e32 v50, v42
	v_cndmask_b32_e64 v43, 0, v41, s[30:31]
	v_or3_b32 v3, v19, v11, v3
	v_and_b32_e32 v49, 1, v9
	v_mov_b32_e32 v48, v42
	v_cmp_ne_u64_e64 s[36:37], 0, v[50:51]
	v_add_u32_e32 v44, v43, v34
	v_or3_b32 v5, v21, v13, v5
	v_and_b32_e32 v43, 1, v3
	v_cndmask_b32_e64 v3, 0, 1, s[36:37]
	v_cmp_ne_u64_e64 s[36:37], 0, v[48:49]
	v_and_b32_e32 v47, 1, v5
	v_mov_b32_e32 v46, v42
	v_cndmask_b32_e64 v5, 0, 1, s[36:37]
	v_lshlrev_b16_e32 v3, 2, v3
	v_lshlrev_b16_e32 v5, 3, v5
	v_cmp_ne_u64_e64 s[36:37], 0, v[46:47]
	v_or_b32_e32 v3, v5, v3
	v_cndmask_b32_e64 v5, 0, 1, s[36:37]
	v_cmp_ne_u64_e64 s[36:37], 0, v[42:43]
	v_lshlrev_b16_e32 v5, 1, v5
	v_cndmask_b32_e64 v7, 0, 1, s[36:37]
	v_or_b32_e32 v5, v7, v5
	v_and_b32_e32 v5, 3, v5
	v_or_b32_e32 v3, v5, v3
	v_and_b32_e32 v35, 1, v35
	v_and_b32_e32 v3, 15, v3
	v_cmp_eq_u32_e64 s[34:35], 1, v35
	v_cmp_ne_u16_e64 s[36:37], 0, v3
	s_or_b64 s[34:35], s[34:35], s[36:37]
	v_cndmask_b32_e64 v5, v39, 1, s[34:35]
	v_and_b32_e32 v7, 0xff, v5
	v_mbcnt_hi_u32_b32 v1, -1, v1
	v_mov_b32_dpp v3, v44 row_shr:1 row_mask:0xf bank_mask:0xf
	v_mov_b32_dpp v9, v7 row_shr:1 row_mask:0xf bank_mask:0xf
	v_cmp_eq_u16_e64 s[34:35], 0, v7
	v_and_b32_e32 v13, 1, v5
	v_and_b32_e32 v11, 15, v1
	v_cndmask_b32_e64 v3, 0, v3, s[34:35]
	v_and_b32_e32 v9, 1, v9
	v_cmp_eq_u32_e64 s[34:35], 1, v13
	v_cndmask_b32_e64 v13, v9, 1, s[34:35]
	v_cmp_eq_u32_e64 s[34:35], 0, v11
	v_and_b32_e32 v9, 0xffff, v13
	v_cndmask_b32_e64 v3, v3, 0, s[34:35]
	v_add_u32_e32 v3, v44, v3
	v_cndmask_b32_e64 v7, v9, v7, s[34:35]
	v_cndmask_b32_e64 v5, v13, v5, s[34:35]
	v_mov_b32_dpp v15, v3 row_shr:2 row_mask:0xf bank_mask:0xf
	v_mov_b32_dpp v17, v7 row_shr:2 row_mask:0xf bank_mask:0xf
	v_cmp_lt_u32_e64 s[34:35], 1, v11
	v_mov_b32_e32 v9, v7
	s_and_saveexec_b64 s[36:37], s[34:35]
; %bb.135:
	v_and_b32_e32 v5, 1, v13
	v_and_b32_e32 v7, 1, v17
	v_cmp_eq_u32_e64 s[34:35], 1, v5
	v_cndmask_b32_e64 v5, v7, 1, s[34:35]
	v_cmp_eq_u16_e64 s[34:35], 0, v13
	v_cndmask_b32_e64 v7, 0, v15, s[34:35]
	v_and_b32_e32 v9, 0xffff, v5
	v_add_u32_e32 v3, v3, v7
	v_mov_b32_e32 v7, v5
; %bb.136:
	s_or_b64 exec, exec, s[36:37]
	v_mov_b32_dpp v13, v3 row_shr:4 row_mask:0xf bank_mask:0xf
	v_mov_b32_dpp v15, v9 row_shr:4 row_mask:0xf bank_mask:0xf
	v_cmp_lt_u32_e64 s[34:35], 3, v11
	s_and_saveexec_b64 s[36:37], s[34:35]
; %bb.137:
	v_and_b32_e32 v5, 1, v7
	v_and_b32_e32 v9, 1, v15
	v_cmp_eq_u32_e64 s[34:35], 1, v5
	v_cndmask_b32_e64 v5, v9, 1, s[34:35]
	v_cmp_eq_u16_e64 s[34:35], 0, v7
	v_cndmask_b32_e64 v7, 0, v13, s[34:35]
	v_and_b32_e32 v9, 0xffff, v5
	v_add_u32_e32 v3, v7, v3
	v_mov_b32_e32 v7, v5
; %bb.138:
	s_or_b64 exec, exec, s[36:37]
	v_mov_b32_dpp v13, v3 row_shr:8 row_mask:0xf bank_mask:0xf
	v_mov_b32_dpp v15, v9 row_shr:8 row_mask:0xf bank_mask:0xf
	v_cmp_lt_u32_e64 s[34:35], 7, v11
	s_and_saveexec_b64 s[36:37], s[34:35]
; %bb.139:
	v_and_b32_e32 v5, 1, v7
	v_and_b32_e32 v9, 1, v15
	v_cmp_eq_u32_e64 s[34:35], 1, v5
	v_cndmask_b32_e64 v5, v9, 1, s[34:35]
	v_cmp_eq_u16_e64 s[34:35], 0, v7
	v_cndmask_b32_e64 v7, 0, v13, s[34:35]
	v_and_b32_e32 v9, 0xffff, v5
	v_add_u32_e32 v3, v7, v3
	v_mov_b32_e32 v7, v5
; %bb.140:
	s_or_b64 exec, exec, s[36:37]
	v_and_b32_e32 v15, 16, v1
	v_mov_b32_dpp v11, v3 row_bcast:15 row_mask:0xf bank_mask:0xf
	v_mov_b32_dpp v13, v9 row_bcast:15 row_mask:0xf bank_mask:0xf
	v_cmp_ne_u32_e64 s[34:35], 0, v15
	s_and_saveexec_b64 s[36:37], s[34:35]
; %bb.141:
	v_and_b32_e32 v5, 1, v7
	v_and_b32_e32 v9, 1, v13
	v_cmp_eq_u32_e64 s[34:35], 1, v5
	v_cndmask_b32_e64 v5, v9, 1, s[34:35]
	v_cmp_eq_u16_e64 s[34:35], 0, v7
	v_cndmask_b32_e64 v7, 0, v11, s[34:35]
	v_and_b32_e32 v9, 0xffff, v5
	v_add_u32_e32 v3, v7, v3
	v_mov_b32_e32 v7, v5
; %bb.142:
	s_or_b64 exec, exec, s[36:37]
	v_mov_b32_e32 v13, 0
	v_mov_b32_dpp v9, v9 row_bcast:31 row_mask:0xf bank_mask:0xf
	v_cmp_eq_u16_sdwa s[36:37], v7, v13 src0_sel:BYTE_0 src1_sel:DWORD
	v_and_b32_e32 v7, 1, v7
	v_and_b32_e32 v9, 1, v9
	v_cmp_eq_u32_e64 s[34:35], 1, v7
	v_cndmask_b32_e64 v7, v9, 1, s[34:35]
	v_cmp_lt_u32_e64 s[34:35], 31, v1
	v_mov_b32_dpp v11, v3 row_bcast:31 row_mask:0xf bank_mask:0xf
	v_cndmask_b32_e64 v5, v5, v7, s[34:35]
	s_and_b64 s[34:35], s[34:35], s[36:37]
	v_cndmask_b32_e64 v7, 0, v11, s[34:35]
	v_or_b32_e32 v9, 63, v0
	v_add_u32_e32 v3, v7, v3
	v_lshrrev_b32_e32 v7, 6, v0
	v_cmp_eq_u32_e64 s[34:35], v9, v0
	s_and_saveexec_b64 s[36:37], s[34:35]
	s_cbranch_execz .LBB56_144
; %bb.143:
	v_lshlrev_b32_e32 v9, 3, v7
	ds_write_b32 v9, v3
	ds_write_b8 v9, v5 offset:4
.LBB56_144:
	s_or_b64 exec, exec, s[36:37]
	v_cmp_gt_u32_e64 s[34:35], 4, v0
	s_waitcnt lgkmcnt(0)
	s_barrier
	s_and_saveexec_b64 s[36:37], s[34:35]
	s_cbranch_execz .LBB56_150
; %bb.145:
	v_lshlrev_b32_e32 v9, 3, v0
	ds_read_b64 v[42:43], v9
	v_and_b32_e32 v11, 3, v1
	v_cmp_ne_u32_e64 s[34:35], 0, v11
	s_waitcnt lgkmcnt(0)
	v_mov_b32_dpp v15, v42 row_shr:1 row_mask:0xf bank_mask:0xf
	v_mov_b32_dpp v17, v43 row_shr:1 row_mask:0xf bank_mask:0xf
	v_mov_b32_e32 v13, v43
	s_and_saveexec_b64 s[44:45], s[34:35]
	s_cbranch_execz .LBB56_147
; %bb.146:
	v_and_b32_e32 v13, 1, v43
	v_and_b32_e32 v17, 1, v17
	v_cmp_eq_u32_e64 s[34:35], 1, v13
	v_mov_b32_e32 v13, 0
	v_cndmask_b32_e64 v17, v17, 1, s[34:35]
	v_cmp_eq_u16_sdwa s[34:35], v43, v13 src0_sel:BYTE_0 src1_sel:DWORD
	v_cndmask_b32_e64 v13, 0, v15, s[34:35]
	v_add_u32_e32 v42, v13, v42
	v_and_b32_e32 v13, 0xffff, v17
	s_movk_i32 s34, 0xff00
	v_and_or_b32 v13, v43, s34, v13
	v_mov_b32_e32 v43, v17
.LBB56_147:
	s_or_b64 exec, exec, s[44:45]
	v_mov_b32_dpp v15, v42 row_shr:2 row_mask:0xf bank_mask:0xf
	v_mov_b32_dpp v17, v13 row_shr:2 row_mask:0xf bank_mask:0xf
	v_cmp_lt_u32_e64 s[34:35], 1, v11
	s_and_saveexec_b64 s[44:45], s[34:35]
; %bb.148:
	v_and_b32_e32 v11, 1, v13
	v_and_b32_e32 v17, 1, v17
	v_cmp_eq_u32_e64 s[34:35], 1, v11
	v_mov_b32_e32 v11, 0
	v_cndmask_b32_e64 v43, v17, 1, s[34:35]
	v_cmp_eq_u32_sdwa s[34:35], v13, v11 src0_sel:BYTE_0 src1_sel:DWORD
	v_cndmask_b32_e64 v11, 0, v15, s[34:35]
	v_add_u32_e32 v42, v11, v42
; %bb.149:
	s_or_b64 exec, exec, s[44:45]
	ds_write_b32 v9, v42
	ds_write_b8 v9, v43 offset:4
.LBB56_150:
	s_or_b64 exec, exec, s[36:37]
	v_cmp_lt_u32_e64 s[34:35], 63, v0
	v_mov_b32_e32 v9, 0
	s_waitcnt lgkmcnt(0)
	s_barrier
	s_and_saveexec_b64 s[36:37], s[34:35]
	s_cbranch_execz .LBB56_152
; %bb.151:
	v_lshl_add_u32 v7, v7, 3, -8
	ds_read_b32 v9, v7
	v_mov_b32_e32 v7, 0
	v_cmp_eq_u16_sdwa s[34:35], v5, v7 src0_sel:BYTE_0 src1_sel:DWORD
	s_waitcnt lgkmcnt(0)
	v_cndmask_b32_e64 v5, 0, v9, s[34:35]
	v_add_u32_e32 v3, v5, v3
.LBB56_152:
	s_or_b64 exec, exec, s[36:37]
	v_add_u32_e32 v5, -1, v1
	v_and_b32_e32 v7, 64, v1
	v_cmp_lt_i32_e64 s[34:35], v5, v7
	v_cndmask_b32_e64 v5, v5, v1, s[34:35]
	v_lshlrev_b32_e32 v5, 2, v5
	ds_bpermute_b32 v3, v5, v3
	s_and_saveexec_b64 s[34:35], s[2:3]
	s_cbranch_execz .LBB56_154
; %bb.153:
	s_mov_b32 s36, 0
	s_mov_b32 s37, 1
	v_cmp_eq_u32_e64 s[2:3], 0, v1
	s_waitcnt lgkmcnt(0)
	v_cndmask_b32_e64 v1, v3, v9, s[2:3]
	v_cmp_gt_u64_e64 s[2:3], s[36:37], v[38:39]
	v_cndmask_b32_e64 v1, 0, v1, s[2:3]
	v_add_u32_e32 v38, v1, v38
	v_cndmask_b32_e64 v1, 0, v38, s[6:7]
	v_add_u32_e32 v26, v1, v2
	v_cndmask_b32_e64 v1, 0, v26, s[8:9]
	v_add_u32_e32 v27, v1, v4
	v_cndmask_b32_e64 v1, 0, v27, s[10:11]
	v_add_u32_e32 v28, v1, v6
	v_cndmask_b32_e64 v1, 0, v28, s[12:13]
	v_add_u32_e32 v29, v1, v8
	v_cndmask_b32_e64 v1, 0, v29, s[14:15]
	v_add_u32_e32 v30, v1, v10
	v_cndmask_b32_e64 v1, 0, v30, s[16:17]
	v_add_u32_e32 v31, v1, v12
	v_cndmask_b32_e64 v1, 0, v31, s[18:19]
	v_add_u32_e32 v32, v1, v14
	v_cndmask_b32_e64 v1, 0, v32, s[20:21]
	v_add_u32_e32 v33, v1, v16
	v_cndmask_b32_e64 v1, 0, v33, s[22:23]
	v_add_u32_e32 v36, v1, v18
	v_cndmask_b32_e64 v1, 0, v36, s[24:25]
	v_add_u32_e32 v37, v1, v20
	v_cndmask_b32_e64 v1, 0, v37, s[26:27]
	v_add_u32_e32 v40, v1, v22
	v_cndmask_b32_e64 v1, 0, v40, s[28:29]
	v_add_u32_e32 v41, v1, v24
	v_cndmask_b32_e64 v1, 0, v41, s[30:31]
	v_add_u32_e32 v44, v1, v34
.LBB56_154:
	s_or_b64 exec, exec, s[34:35]
	s_and_saveexec_b64 s[2:3], vcc
	s_cbranch_execz .LBB56_156
; %bb.155:
	v_mov_b32_e32 v5, 0
	ds_read_b32 v2, v5 offset:24
	s_waitcnt lgkmcnt(1)
	ds_read_u8 v3, v5 offset:28
	s_add_u32 s6, s40, 0x400
	s_addc_u32 s7, s41, 0
	v_mov_b32_e32 v4, 2
	v_pk_mov_b32 v[6:7], s[6:7], s[6:7] op_sel:[0,1]
	s_waitcnt lgkmcnt(0)
	;;#ASMSTART
	global_store_dwordx4 v[6:7], v[2:5] off	
s_waitcnt vmcnt(0)
	;;#ASMEND
.LBB56_156:
	s_or_b64 exec, exec, s[2:3]
	v_pk_mov_b32 v[42:43], v[38:39], v[38:39] op_sel:[0,1]
.LBB56_157:
	s_load_dwordx2 s[2:3], s[4:5], 0x18
	s_lshl_b64 s[4:5], s[38:39], 3
	v_mul_u32_u24_e32 v2, 14, v0
	v_lshlrev_b32_e32 v18, 3, v0
	s_waitcnt lgkmcnt(0)
	s_add_u32 s2, s2, s4
	s_addc_u32 s3, s3, s5
	s_and_b64 vcc, exec, s[0:1]
	s_cbranch_vccz .LBB56_185
; %bb.158:
	v_lshlrev_b32_e32 v19, 2, v2
	s_movk_i32 s0, 0xffcc
	v_mad_i32_i24 v3, v0, s0, v19
	s_barrier
	ds_write2_b32 v19, v26, v27 offset0:1 offset1:2
	ds_write2_b32 v19, v28, v29 offset0:3 offset1:4
	;; [unrolled: 1-line block ×6, first 2 shown]
	ds_write2_b32 v19, v42, v44 offset1:13
	s_waitcnt lgkmcnt(0)
	s_barrier
	ds_read2st64_b32 v[16:17], v3 offset0:4 offset1:8
	ds_read2st64_b32 v[14:15], v3 offset0:12 offset1:16
	;; [unrolled: 1-line block ×6, first 2 shown]
	ds_read_b32 v3, v3 offset:13312
	v_mov_b32_e32 v5, s3
	v_add_co_u32_e32 v4, vcc, s2, v18
	s_add_i32 s33, s33, s42
	v_addc_co_u32_e32 v5, vcc, 0, v5, vcc
	v_mov_b32_e32 v1, 0
	v_cmp_gt_u32_e32 vcc, s33, v0
	s_and_saveexec_b64 s[0:1], vcc
	s_cbranch_execz .LBB56_160
; %bb.159:
	v_mul_i32_i24_e32 v20, 0xffffffcc, v0
	v_add_u32_e32 v19, v19, v20
	ds_read_b32 v19, v19
	s_waitcnt lgkmcnt(0)
	v_cvt_f64_i32_e32 v[20:21], v19
	global_store_dwordx2 v[4:5], v[20:21], off
.LBB56_160:
	s_or_b64 exec, exec, s[0:1]
	v_or_b32_e32 v19, 0x100, v0
	v_cmp_gt_u32_e32 vcc, s33, v19
	s_and_saveexec_b64 s[0:1], vcc
	s_cbranch_execz .LBB56_162
; %bb.161:
	s_waitcnt lgkmcnt(6)
	v_cvt_f64_i32_e32 v[20:21], v16
	global_store_dwordx2 v[4:5], v[20:21], off offset:2048
.LBB56_162:
	s_or_b64 exec, exec, s[0:1]
	s_waitcnt lgkmcnt(6)
	v_or_b32_e32 v16, 0x200, v0
	v_cmp_gt_u32_e32 vcc, s33, v16
	s_and_saveexec_b64 s[0:1], vcc
	s_cbranch_execz .LBB56_164
; %bb.163:
	v_add_co_u32_e32 v20, vcc, 0x1000, v4
	v_cvt_f64_i32_e32 v[16:17], v17
	v_addc_co_u32_e32 v21, vcc, 0, v5, vcc
	global_store_dwordx2 v[20:21], v[16:17], off
.LBB56_164:
	s_or_b64 exec, exec, s[0:1]
	v_or_b32_e32 v16, 0x300, v0
	v_cmp_gt_u32_e32 vcc, s33, v16
	s_and_saveexec_b64 s[0:1], vcc
	s_cbranch_execz .LBB56_166
; %bb.165:
	v_add_co_u32_e32 v20, vcc, 0x1000, v4
	s_waitcnt lgkmcnt(5)
	v_cvt_f64_i32_e32 v[16:17], v14
	v_addc_co_u32_e32 v21, vcc, 0, v5, vcc
	global_store_dwordx2 v[20:21], v[16:17], off offset:2048
.LBB56_166:
	s_or_b64 exec, exec, s[0:1]
	s_waitcnt lgkmcnt(5)
	v_or_b32_e32 v14, 0x400, v0
	v_cmp_gt_u32_e32 vcc, s33, v14
	s_and_saveexec_b64 s[0:1], vcc
	s_cbranch_execz .LBB56_168
; %bb.167:
	v_add_co_u32_e32 v16, vcc, 0x2000, v4
	v_cvt_f64_i32_e32 v[14:15], v15
	v_addc_co_u32_e32 v17, vcc, 0, v5, vcc
	global_store_dwordx2 v[16:17], v[14:15], off
.LBB56_168:
	s_or_b64 exec, exec, s[0:1]
	v_or_b32_e32 v14, 0x500, v0
	v_cmp_gt_u32_e32 vcc, s33, v14
	s_and_saveexec_b64 s[0:1], vcc
	s_cbranch_execz .LBB56_170
; %bb.169:
	v_add_co_u32_e32 v16, vcc, 0x2000, v4
	s_waitcnt lgkmcnt(4)
	v_cvt_f64_i32_e32 v[14:15], v12
	v_addc_co_u32_e32 v17, vcc, 0, v5, vcc
	global_store_dwordx2 v[16:17], v[14:15], off offset:2048
.LBB56_170:
	;; [unrolled: 24-line block ×5, first 2 shown]
	s_or_b64 exec, exec, s[0:1]
	s_waitcnt lgkmcnt(1)
	v_or_b32_e32 v6, 0xc00, v0
	v_cmp_gt_u32_e32 vcc, s33, v6
	s_and_saveexec_b64 s[0:1], vcc
	s_cbranch_execz .LBB56_184
; %bb.183:
	v_add_co_u32_e32 v4, vcc, 0x6000, v4
	v_cvt_f64_i32_e32 v[6:7], v7
	v_addc_co_u32_e32 v5, vcc, 0, v5, vcc
	global_store_dwordx2 v[4:5], v[6:7], off
.LBB56_184:
	s_or_b64 exec, exec, s[0:1]
	v_or_b32_e32 v4, 0xd00, v0
	v_cmp_gt_u32_e64 s[0:1], s33, v4
	s_branch .LBB56_187
.LBB56_185:
	s_mov_b64 s[0:1], 0
                                        ; implicit-def: $vgpr3
	s_cbranch_execz .LBB56_187
; %bb.186:
	v_lshlrev_b32_e32 v2, 2, v2
	s_movk_i32 s4, 0xffcc
	s_waitcnt lgkmcnt(0)
	s_barrier
	ds_write2_b32 v2, v26, v27 offset0:1 offset1:2
	ds_write2_b32 v2, v28, v29 offset0:3 offset1:4
	;; [unrolled: 1-line block ×6, first 2 shown]
	ds_write2_b32 v2, v42, v44 offset1:13
	v_mad_i32_i24 v2, v0, s4, v2
	v_mov_b32_e32 v16, s3
	v_add_co_u32_e32 v20, vcc, s2, v18
	s_waitcnt lgkmcnt(0)
	s_barrier
	ds_read2st64_b32 v[4:5], v2 offset1:4
	ds_read2st64_b32 v[6:7], v2 offset0:8 offset1:12
	ds_read2st64_b32 v[8:9], v2 offset0:16 offset1:20
	;; [unrolled: 1-line block ×6, first 2 shown]
	v_addc_co_u32_e32 v21, vcc, 0, v16, vcc
	s_waitcnt lgkmcnt(6)
	v_cvt_f64_i32_e32 v[16:17], v4
	s_movk_i32 s4, 0x1000
	global_store_dwordx2 v18, v[16:17], s[2:3]
	v_add_co_u32_e32 v16, vcc, s4, v20
	v_cvt_f64_i32_e32 v[4:5], v5
	v_addc_co_u32_e32 v17, vcc, 0, v21, vcc
	s_movk_i32 s4, 0x2000
	global_store_dwordx2 v18, v[4:5], s[2:3] offset:2048
	v_add_co_u32_e32 v18, vcc, s4, v20
	s_waitcnt lgkmcnt(5)
	v_cvt_f64_i32_e32 v[4:5], v6
	v_addc_co_u32_e32 v19, vcc, 0, v21, vcc
	s_movk_i32 s4, 0x3000
	global_store_dwordx2 v[18:19], v[4:5], off offset:-4096
	v_cvt_f64_i32_e32 v[4:5], v7
	v_add_co_u32_e32 v6, vcc, s4, v20
	global_store_dwordx2 v[16:17], v[4:5], off offset:2048
	s_waitcnt lgkmcnt(4)
	v_cvt_f64_i32_e32 v[4:5], v8
	v_addc_co_u32_e32 v7, vcc, 0, v21, vcc
	s_movk_i32 s4, 0x4000
	global_store_dwordx2 v[18:19], v[4:5], off
	v_cvt_f64_i32_e32 v[4:5], v9
	v_add_co_u32_e32 v8, vcc, s4, v20
	global_store_dwordx2 v[18:19], v[4:5], off offset:2048
	s_waitcnt lgkmcnt(3)
	v_cvt_f64_i32_e32 v[4:5], v10
	v_addc_co_u32_e32 v9, vcc, 0, v21, vcc
	global_store_dwordx2 v[8:9], v[4:5], off offset:-4096
	v_cvt_f64_i32_e32 v[4:5], v11
	global_store_dwordx2 v[6:7], v[4:5], off offset:2048
	s_waitcnt lgkmcnt(2)
	v_cvt_f64_i32_e32 v[4:5], v12
	global_store_dwordx2 v[8:9], v[4:5], off
	v_cvt_f64_i32_e32 v[4:5], v13
	v_add_co_u32_e32 v6, vcc, 0x5000, v20
	global_store_dwordx2 v[8:9], v[4:5], off offset:2048
	s_waitcnt lgkmcnt(1)
	v_cvt_f64_i32_e32 v[4:5], v14
	v_addc_co_u32_e32 v7, vcc, 0, v21, vcc
	global_store_dwordx2 v[6:7], v[4:5], off
	v_cvt_f64_i32_e32 v[4:5], v15
	global_store_dwordx2 v[6:7], v[4:5], off offset:2048
	v_add_co_u32_e32 v6, vcc, 0x6000, v20
	v_mov_b32_e32 v1, 0
	s_waitcnt lgkmcnt(0)
	v_cvt_f64_i32_e32 v[4:5], v2
	v_addc_co_u32_e32 v7, vcc, 0, v21, vcc
	s_or_b64 s[0:1], s[0:1], exec
	global_store_dwordx2 v[6:7], v[4:5], off
.LBB56_187:
	s_and_saveexec_b64 s[4:5], s[0:1]
	s_cbranch_execz .LBB56_189
; %bb.188:
	v_lshlrev_b64 v[0:1], 3, v[0:1]
	v_mov_b32_e32 v2, s3
	v_add_co_u32_e32 v4, vcc, s2, v0
	v_addc_co_u32_e32 v5, vcc, v2, v1, vcc
	v_add_co_u32_e32 v2, vcc, 0x6000, v4
	s_waitcnt lgkmcnt(0)
	v_cvt_f64_i32_e32 v[0:1], v3
	v_addc_co_u32_e32 v3, vcc, 0, v5, vcc
	global_store_dwordx2 v[2:3], v[0:1], off offset:2048
	s_endpgm
.LBB56_189:
	s_endpgm
	.section	.rodata,"a",@progbits
	.p2align	6, 0x0
	.amdhsa_kernel _ZN7rocprim6detail25device_scan_by_key_kernelILNS0_25lookback_scan_determinismE0ELb0ENS0_26wrapped_scan_by_key_configINS_14default_configEiiEEPiN6hipcub22TransformInputIteratorIiNS7_6CastOpIiEES6_lEEPdiNS7_8EqualityENS7_3SumENS0_19lookback_scan_stateINS_5tupleIJibEEELb0ELb1EEEiEEvT2_T3_T4_T5_T6_T7_T8_mmmPKNSG_IJT9_bEEE
		.amdhsa_group_segment_fixed_size 16384
		.amdhsa_private_segment_fixed_size 0
		.amdhsa_kernarg_size 80
		.amdhsa_user_sgpr_count 6
		.amdhsa_user_sgpr_private_segment_buffer 1
		.amdhsa_user_sgpr_dispatch_ptr 0
		.amdhsa_user_sgpr_queue_ptr 0
		.amdhsa_user_sgpr_kernarg_segment_ptr 1
		.amdhsa_user_sgpr_dispatch_id 0
		.amdhsa_user_sgpr_flat_scratch_init 0
		.amdhsa_user_sgpr_kernarg_preload_length 0
		.amdhsa_user_sgpr_kernarg_preload_offset 0
		.amdhsa_user_sgpr_private_segment_size 0
		.amdhsa_uses_dynamic_stack 0
		.amdhsa_system_sgpr_private_segment_wavefront_offset 0
		.amdhsa_system_sgpr_workgroup_id_x 1
		.amdhsa_system_sgpr_workgroup_id_y 0
		.amdhsa_system_sgpr_workgroup_id_z 0
		.amdhsa_system_sgpr_workgroup_info 0
		.amdhsa_system_vgpr_workitem_id 0
		.amdhsa_next_free_vgpr 62
		.amdhsa_next_free_sgpr 56
		.amdhsa_accum_offset 64
		.amdhsa_reserve_vcc 1
		.amdhsa_reserve_flat_scratch 0
		.amdhsa_float_round_mode_32 0
		.amdhsa_float_round_mode_16_64 0
		.amdhsa_float_denorm_mode_32 3
		.amdhsa_float_denorm_mode_16_64 3
		.amdhsa_dx10_clamp 1
		.amdhsa_ieee_mode 1
		.amdhsa_fp16_overflow 0
		.amdhsa_tg_split 0
		.amdhsa_exception_fp_ieee_invalid_op 0
		.amdhsa_exception_fp_denorm_src 0
		.amdhsa_exception_fp_ieee_div_zero 0
		.amdhsa_exception_fp_ieee_overflow 0
		.amdhsa_exception_fp_ieee_underflow 0
		.amdhsa_exception_fp_ieee_inexact 0
		.amdhsa_exception_int_div_zero 0
	.end_amdhsa_kernel
	.section	.text._ZN7rocprim6detail25device_scan_by_key_kernelILNS0_25lookback_scan_determinismE0ELb0ENS0_26wrapped_scan_by_key_configINS_14default_configEiiEEPiN6hipcub22TransformInputIteratorIiNS7_6CastOpIiEES6_lEEPdiNS7_8EqualityENS7_3SumENS0_19lookback_scan_stateINS_5tupleIJibEEELb0ELb1EEEiEEvT2_T3_T4_T5_T6_T7_T8_mmmPKNSG_IJT9_bEEE,"axG",@progbits,_ZN7rocprim6detail25device_scan_by_key_kernelILNS0_25lookback_scan_determinismE0ELb0ENS0_26wrapped_scan_by_key_configINS_14default_configEiiEEPiN6hipcub22TransformInputIteratorIiNS7_6CastOpIiEES6_lEEPdiNS7_8EqualityENS7_3SumENS0_19lookback_scan_stateINS_5tupleIJibEEELb0ELb1EEEiEEvT2_T3_T4_T5_T6_T7_T8_mmmPKNSG_IJT9_bEEE,comdat
.Lfunc_end56:
	.size	_ZN7rocprim6detail25device_scan_by_key_kernelILNS0_25lookback_scan_determinismE0ELb0ENS0_26wrapped_scan_by_key_configINS_14default_configEiiEEPiN6hipcub22TransformInputIteratorIiNS7_6CastOpIiEES6_lEEPdiNS7_8EqualityENS7_3SumENS0_19lookback_scan_stateINS_5tupleIJibEEELb0ELb1EEEiEEvT2_T3_T4_T5_T6_T7_T8_mmmPKNSG_IJT9_bEEE, .Lfunc_end56-_ZN7rocprim6detail25device_scan_by_key_kernelILNS0_25lookback_scan_determinismE0ELb0ENS0_26wrapped_scan_by_key_configINS_14default_configEiiEEPiN6hipcub22TransformInputIteratorIiNS7_6CastOpIiEES6_lEEPdiNS7_8EqualityENS7_3SumENS0_19lookback_scan_stateINS_5tupleIJibEEELb0ELb1EEEiEEvT2_T3_T4_T5_T6_T7_T8_mmmPKNSG_IJT9_bEEE
                                        ; -- End function
	.section	.AMDGPU.csdata,"",@progbits
; Kernel info:
; codeLenInByte = 10928
; NumSgprs: 60
; NumVgprs: 62
; NumAgprs: 0
; TotalNumVgprs: 62
; ScratchSize: 0
; MemoryBound: 0
; FloatMode: 240
; IeeeMode: 1
; LDSByteSize: 16384 bytes/workgroup (compile time only)
; SGPRBlocks: 7
; VGPRBlocks: 7
; NumSGPRsForWavesPerEU: 60
; NumVGPRsForWavesPerEU: 62
; AccumOffset: 64
; Occupancy: 4
; WaveLimiterHint : 1
; COMPUTE_PGM_RSRC2:SCRATCH_EN: 0
; COMPUTE_PGM_RSRC2:USER_SGPR: 6
; COMPUTE_PGM_RSRC2:TRAP_HANDLER: 0
; COMPUTE_PGM_RSRC2:TGID_X_EN: 1
; COMPUTE_PGM_RSRC2:TGID_Y_EN: 0
; COMPUTE_PGM_RSRC2:TGID_Z_EN: 0
; COMPUTE_PGM_RSRC2:TIDIG_COMP_CNT: 0
; COMPUTE_PGM_RSRC3_GFX90A:ACCUM_OFFSET: 15
; COMPUTE_PGM_RSRC3_GFX90A:TG_SPLIT: 0
	.section	.text._ZN7rocprim6detail25device_scan_by_key_kernelILNS0_25lookback_scan_determinismE0ELb0ENS0_26wrapped_scan_by_key_configINS_14default_configEiiEEPiN6hipcub22TransformInputIteratorIsNS7_6CastOpIsEEPslEEPfsNS7_8EqualityENS7_3SumENS0_19lookback_scan_stateINS_5tupleIJibEEELb1ELb1EEEiEEvT2_T3_T4_T5_T6_T7_T8_mmmPKNSH_IJT9_bEEE,"axG",@progbits,_ZN7rocprim6detail25device_scan_by_key_kernelILNS0_25lookback_scan_determinismE0ELb0ENS0_26wrapped_scan_by_key_configINS_14default_configEiiEEPiN6hipcub22TransformInputIteratorIsNS7_6CastOpIsEEPslEEPfsNS7_8EqualityENS7_3SumENS0_19lookback_scan_stateINS_5tupleIJibEEELb1ELb1EEEiEEvT2_T3_T4_T5_T6_T7_T8_mmmPKNSH_IJT9_bEEE,comdat
	.protected	_ZN7rocprim6detail25device_scan_by_key_kernelILNS0_25lookback_scan_determinismE0ELb0ENS0_26wrapped_scan_by_key_configINS_14default_configEiiEEPiN6hipcub22TransformInputIteratorIsNS7_6CastOpIsEEPslEEPfsNS7_8EqualityENS7_3SumENS0_19lookback_scan_stateINS_5tupleIJibEEELb1ELb1EEEiEEvT2_T3_T4_T5_T6_T7_T8_mmmPKNSH_IJT9_bEEE ; -- Begin function _ZN7rocprim6detail25device_scan_by_key_kernelILNS0_25lookback_scan_determinismE0ELb0ENS0_26wrapped_scan_by_key_configINS_14default_configEiiEEPiN6hipcub22TransformInputIteratorIsNS7_6CastOpIsEEPslEEPfsNS7_8EqualityENS7_3SumENS0_19lookback_scan_stateINS_5tupleIJibEEELb1ELb1EEEiEEvT2_T3_T4_T5_T6_T7_T8_mmmPKNSH_IJT9_bEEE
	.globl	_ZN7rocprim6detail25device_scan_by_key_kernelILNS0_25lookback_scan_determinismE0ELb0ENS0_26wrapped_scan_by_key_configINS_14default_configEiiEEPiN6hipcub22TransformInputIteratorIsNS7_6CastOpIsEEPslEEPfsNS7_8EqualityENS7_3SumENS0_19lookback_scan_stateINS_5tupleIJibEEELb1ELb1EEEiEEvT2_T3_T4_T5_T6_T7_T8_mmmPKNSH_IJT9_bEEE
	.p2align	8
	.type	_ZN7rocprim6detail25device_scan_by_key_kernelILNS0_25lookback_scan_determinismE0ELb0ENS0_26wrapped_scan_by_key_configINS_14default_configEiiEEPiN6hipcub22TransformInputIteratorIsNS7_6CastOpIsEEPslEEPfsNS7_8EqualityENS7_3SumENS0_19lookback_scan_stateINS_5tupleIJibEEELb1ELb1EEEiEEvT2_T3_T4_T5_T6_T7_T8_mmmPKNSH_IJT9_bEEE,@function
_ZN7rocprim6detail25device_scan_by_key_kernelILNS0_25lookback_scan_determinismE0ELb0ENS0_26wrapped_scan_by_key_configINS_14default_configEiiEEPiN6hipcub22TransformInputIteratorIsNS7_6CastOpIsEEPslEEPfsNS7_8EqualityENS7_3SumENS0_19lookback_scan_stateINS_5tupleIJibEEELb1ELb1EEEiEEvT2_T3_T4_T5_T6_T7_T8_mmmPKNSH_IJT9_bEEE: ; @_ZN7rocprim6detail25device_scan_by_key_kernelILNS0_25lookback_scan_determinismE0ELb0ENS0_26wrapped_scan_by_key_configINS_14default_configEiiEEPiN6hipcub22TransformInputIteratorIsNS7_6CastOpIsEEPslEEPfsNS7_8EqualityENS7_3SumENS0_19lookback_scan_stateINS_5tupleIJibEEELb1ELb1EEEiEEvT2_T3_T4_T5_T6_T7_T8_mmmPKNSH_IJT9_bEEE
; %bb.0:
	s_endpgm
	.section	.rodata,"a",@progbits
	.p2align	6, 0x0
	.amdhsa_kernel _ZN7rocprim6detail25device_scan_by_key_kernelILNS0_25lookback_scan_determinismE0ELb0ENS0_26wrapped_scan_by_key_configINS_14default_configEiiEEPiN6hipcub22TransformInputIteratorIsNS7_6CastOpIsEEPslEEPfsNS7_8EqualityENS7_3SumENS0_19lookback_scan_stateINS_5tupleIJibEEELb1ELb1EEEiEEvT2_T3_T4_T5_T6_T7_T8_mmmPKNSH_IJT9_bEEE
		.amdhsa_group_segment_fixed_size 0
		.amdhsa_private_segment_fixed_size 0
		.amdhsa_kernarg_size 80
		.amdhsa_user_sgpr_count 6
		.amdhsa_user_sgpr_private_segment_buffer 1
		.amdhsa_user_sgpr_dispatch_ptr 0
		.amdhsa_user_sgpr_queue_ptr 0
		.amdhsa_user_sgpr_kernarg_segment_ptr 1
		.amdhsa_user_sgpr_dispatch_id 0
		.amdhsa_user_sgpr_flat_scratch_init 0
		.amdhsa_user_sgpr_kernarg_preload_length 0
		.amdhsa_user_sgpr_kernarg_preload_offset 0
		.amdhsa_user_sgpr_private_segment_size 0
		.amdhsa_uses_dynamic_stack 0
		.amdhsa_system_sgpr_private_segment_wavefront_offset 0
		.amdhsa_system_sgpr_workgroup_id_x 1
		.amdhsa_system_sgpr_workgroup_id_y 0
		.amdhsa_system_sgpr_workgroup_id_z 0
		.amdhsa_system_sgpr_workgroup_info 0
		.amdhsa_system_vgpr_workitem_id 0
		.amdhsa_next_free_vgpr 1
		.amdhsa_next_free_sgpr 0
		.amdhsa_accum_offset 4
		.amdhsa_reserve_vcc 0
		.amdhsa_reserve_flat_scratch 0
		.amdhsa_float_round_mode_32 0
		.amdhsa_float_round_mode_16_64 0
		.amdhsa_float_denorm_mode_32 3
		.amdhsa_float_denorm_mode_16_64 3
		.amdhsa_dx10_clamp 1
		.amdhsa_ieee_mode 1
		.amdhsa_fp16_overflow 0
		.amdhsa_tg_split 0
		.amdhsa_exception_fp_ieee_invalid_op 0
		.amdhsa_exception_fp_denorm_src 0
		.amdhsa_exception_fp_ieee_div_zero 0
		.amdhsa_exception_fp_ieee_overflow 0
		.amdhsa_exception_fp_ieee_underflow 0
		.amdhsa_exception_fp_ieee_inexact 0
		.amdhsa_exception_int_div_zero 0
	.end_amdhsa_kernel
	.section	.text._ZN7rocprim6detail25device_scan_by_key_kernelILNS0_25lookback_scan_determinismE0ELb0ENS0_26wrapped_scan_by_key_configINS_14default_configEiiEEPiN6hipcub22TransformInputIteratorIsNS7_6CastOpIsEEPslEEPfsNS7_8EqualityENS7_3SumENS0_19lookback_scan_stateINS_5tupleIJibEEELb1ELb1EEEiEEvT2_T3_T4_T5_T6_T7_T8_mmmPKNSH_IJT9_bEEE,"axG",@progbits,_ZN7rocprim6detail25device_scan_by_key_kernelILNS0_25lookback_scan_determinismE0ELb0ENS0_26wrapped_scan_by_key_configINS_14default_configEiiEEPiN6hipcub22TransformInputIteratorIsNS7_6CastOpIsEEPslEEPfsNS7_8EqualityENS7_3SumENS0_19lookback_scan_stateINS_5tupleIJibEEELb1ELb1EEEiEEvT2_T3_T4_T5_T6_T7_T8_mmmPKNSH_IJT9_bEEE,comdat
.Lfunc_end57:
	.size	_ZN7rocprim6detail25device_scan_by_key_kernelILNS0_25lookback_scan_determinismE0ELb0ENS0_26wrapped_scan_by_key_configINS_14default_configEiiEEPiN6hipcub22TransformInputIteratorIsNS7_6CastOpIsEEPslEEPfsNS7_8EqualityENS7_3SumENS0_19lookback_scan_stateINS_5tupleIJibEEELb1ELb1EEEiEEvT2_T3_T4_T5_T6_T7_T8_mmmPKNSH_IJT9_bEEE, .Lfunc_end57-_ZN7rocprim6detail25device_scan_by_key_kernelILNS0_25lookback_scan_determinismE0ELb0ENS0_26wrapped_scan_by_key_configINS_14default_configEiiEEPiN6hipcub22TransformInputIteratorIsNS7_6CastOpIsEEPslEEPfsNS7_8EqualityENS7_3SumENS0_19lookback_scan_stateINS_5tupleIJibEEELb1ELb1EEEiEEvT2_T3_T4_T5_T6_T7_T8_mmmPKNSH_IJT9_bEEE
                                        ; -- End function
	.section	.AMDGPU.csdata,"",@progbits
; Kernel info:
; codeLenInByte = 4
; NumSgprs: 4
; NumVgprs: 0
; NumAgprs: 0
; TotalNumVgprs: 0
; ScratchSize: 0
; MemoryBound: 0
; FloatMode: 240
; IeeeMode: 1
; LDSByteSize: 0 bytes/workgroup (compile time only)
; SGPRBlocks: 0
; VGPRBlocks: 0
; NumSGPRsForWavesPerEU: 4
; NumVGPRsForWavesPerEU: 1
; AccumOffset: 4
; Occupancy: 8
; WaveLimiterHint : 0
; COMPUTE_PGM_RSRC2:SCRATCH_EN: 0
; COMPUTE_PGM_RSRC2:USER_SGPR: 6
; COMPUTE_PGM_RSRC2:TRAP_HANDLER: 0
; COMPUTE_PGM_RSRC2:TGID_X_EN: 1
; COMPUTE_PGM_RSRC2:TGID_Y_EN: 0
; COMPUTE_PGM_RSRC2:TGID_Z_EN: 0
; COMPUTE_PGM_RSRC2:TIDIG_COMP_CNT: 0
; COMPUTE_PGM_RSRC3_GFX90A:ACCUM_OFFSET: 0
; COMPUTE_PGM_RSRC3_GFX90A:TG_SPLIT: 0
	.section	.text._ZN7rocprim6detail25device_scan_by_key_kernelILNS0_25lookback_scan_determinismE0ELb0ENS0_26wrapped_scan_by_key_configINS_14default_configEiiEEPiN6hipcub22TransformInputIteratorIsNS7_6CastOpIsEEPslEEPfsNS7_8EqualityENS7_3SumENS0_19lookback_scan_stateINS_5tupleIJibEEELb0ELb1EEEiEEvT2_T3_T4_T5_T6_T7_T8_mmmPKNSH_IJT9_bEEE,"axG",@progbits,_ZN7rocprim6detail25device_scan_by_key_kernelILNS0_25lookback_scan_determinismE0ELb0ENS0_26wrapped_scan_by_key_configINS_14default_configEiiEEPiN6hipcub22TransformInputIteratorIsNS7_6CastOpIsEEPslEEPfsNS7_8EqualityENS7_3SumENS0_19lookback_scan_stateINS_5tupleIJibEEELb0ELb1EEEiEEvT2_T3_T4_T5_T6_T7_T8_mmmPKNSH_IJT9_bEEE,comdat
	.protected	_ZN7rocprim6detail25device_scan_by_key_kernelILNS0_25lookback_scan_determinismE0ELb0ENS0_26wrapped_scan_by_key_configINS_14default_configEiiEEPiN6hipcub22TransformInputIteratorIsNS7_6CastOpIsEEPslEEPfsNS7_8EqualityENS7_3SumENS0_19lookback_scan_stateINS_5tupleIJibEEELb0ELb1EEEiEEvT2_T3_T4_T5_T6_T7_T8_mmmPKNSH_IJT9_bEEE ; -- Begin function _ZN7rocprim6detail25device_scan_by_key_kernelILNS0_25lookback_scan_determinismE0ELb0ENS0_26wrapped_scan_by_key_configINS_14default_configEiiEEPiN6hipcub22TransformInputIteratorIsNS7_6CastOpIsEEPslEEPfsNS7_8EqualityENS7_3SumENS0_19lookback_scan_stateINS_5tupleIJibEEELb0ELb1EEEiEEvT2_T3_T4_T5_T6_T7_T8_mmmPKNSH_IJT9_bEEE
	.globl	_ZN7rocprim6detail25device_scan_by_key_kernelILNS0_25lookback_scan_determinismE0ELb0ENS0_26wrapped_scan_by_key_configINS_14default_configEiiEEPiN6hipcub22TransformInputIteratorIsNS7_6CastOpIsEEPslEEPfsNS7_8EqualityENS7_3SumENS0_19lookback_scan_stateINS_5tupleIJibEEELb0ELb1EEEiEEvT2_T3_T4_T5_T6_T7_T8_mmmPKNSH_IJT9_bEEE
	.p2align	8
	.type	_ZN7rocprim6detail25device_scan_by_key_kernelILNS0_25lookback_scan_determinismE0ELb0ENS0_26wrapped_scan_by_key_configINS_14default_configEiiEEPiN6hipcub22TransformInputIteratorIsNS7_6CastOpIsEEPslEEPfsNS7_8EqualityENS7_3SumENS0_19lookback_scan_stateINS_5tupleIJibEEELb0ELb1EEEiEEvT2_T3_T4_T5_T6_T7_T8_mmmPKNSH_IJT9_bEEE,@function
_ZN7rocprim6detail25device_scan_by_key_kernelILNS0_25lookback_scan_determinismE0ELb0ENS0_26wrapped_scan_by_key_configINS_14default_configEiiEEPiN6hipcub22TransformInputIteratorIsNS7_6CastOpIsEEPslEEPfsNS7_8EqualityENS7_3SumENS0_19lookback_scan_stateINS_5tupleIJibEEELb0ELb1EEEiEEvT2_T3_T4_T5_T6_T7_T8_mmmPKNSH_IJT9_bEEE: ; @_ZN7rocprim6detail25device_scan_by_key_kernelILNS0_25lookback_scan_determinismE0ELb0ENS0_26wrapped_scan_by_key_configINS_14default_configEiiEEPiN6hipcub22TransformInputIteratorIsNS7_6CastOpIsEEPslEEPfsNS7_8EqualityENS7_3SumENS0_19lookback_scan_stateINS_5tupleIJibEEELb0ELb1EEEiEEvT2_T3_T4_T5_T6_T7_T8_mmmPKNSH_IJT9_bEEE
; %bb.0:
	s_load_dwordx4 s[0:3], s[4:5], 0x0
	s_load_dwordx8 s[40:47], s[4:5], 0x28
	s_load_dwordx2 s[48:49], s[4:5], 0x48
	s_mul_i32 s8, s6, 0xe00
	s_mov_b32 s9, 0
	s_lshl_b64 s[38:39], s[8:9], 2
	s_waitcnt lgkmcnt(0)
	s_add_u32 s50, s0, s38
	s_addc_u32 s51, s1, s39
	s_lshl_b64 s[0:1], s[8:9], 1
	s_add_u32 s36, s2, s0
	s_addc_u32 s37, s3, s1
	s_add_u32 s0, s6, s44
	s_addc_u32 s1, 0, s45
	s_add_u32 s2, s46, -1
	s_addc_u32 s3, s47, -1
	v_pk_mov_b32 v[2:3], s[2:3], s[2:3] op_sel:[0,1]
	v_cmp_ge_u64_e64 s[0:1], s[0:1], v[2:3]
	s_mov_b64 s[16:17], -1
	s_and_b64 vcc, exec, s[0:1]
	s_mul_i32 s33, s2, 0xfffff200
	v_lshlrev_b32_e32 v46, 2, v0
	s_cbranch_vccz .LBB58_74
; %bb.1:
	s_load_dword s43, s[50:51], 0x0
	s_add_i32 s7, s33, s42
	v_mov_b32_e32 v1, s51
	v_add_co_u32_e32 v2, vcc, s50, v46
	v_addc_co_u32_e32 v3, vcc, 0, v1, vcc
	v_cmp_gt_u32_e64 s[2:3], s7, v0
	s_waitcnt lgkmcnt(0)
	v_mov_b32_e32 v1, s43
	s_and_saveexec_b64 s[8:9], s[2:3]
	s_cbranch_execz .LBB58_3
; %bb.2:
	global_load_dword v1, v[2:3], off
.LBB58_3:
	s_or_b64 exec, exec, s[8:9]
	v_or_b32_e32 v4, 0x100, v0
	v_cmp_gt_u32_e64 s[34:35], s7, v4
	v_mov_b32_e32 v4, s43
	s_and_saveexec_b64 s[8:9], s[34:35]
	s_cbranch_execz .LBB58_5
; %bb.4:
	global_load_dword v4, v[2:3], off offset:1024
.LBB58_5:
	s_or_b64 exec, exec, s[8:9]
	v_or_b32_e32 v5, 0x200, v0
	v_cmp_gt_u32_e64 s[8:9], s7, v5
	v_mov_b32_e32 v5, s43
	s_and_saveexec_b64 s[10:11], s[8:9]
	s_cbranch_execz .LBB58_7
; %bb.6:
	global_load_dword v5, v[2:3], off offset:2048
.LBB58_7:
	;; [unrolled: 9-line block ×3, first 2 shown]
	s_or_b64 exec, exec, s[12:13]
	v_or_b32_e32 v7, 0x400, v0
	v_cmp_gt_u32_e64 s[12:13], s7, v7
	v_mov_b32_e32 v7, s43
	s_and_saveexec_b64 s[14:15], s[12:13]
	s_cbranch_execz .LBB58_11
; %bb.10:
	v_add_co_u32_e32 v8, vcc, 0x1000, v2
	v_addc_co_u32_e32 v9, vcc, 0, v3, vcc
	global_load_dword v7, v[8:9], off
.LBB58_11:
	s_or_b64 exec, exec, s[14:15]
	v_or_b32_e32 v8, 0x500, v0
	v_cmp_gt_u32_e64 s[14:15], s7, v8
	v_mov_b32_e32 v8, s43
	s_and_saveexec_b64 s[16:17], s[14:15]
	s_cbranch_execz .LBB58_13
; %bb.12:
	v_add_co_u32_e32 v8, vcc, 0x1000, v2
	v_addc_co_u32_e32 v9, vcc, 0, v3, vcc
	global_load_dword v8, v[8:9], off offset:1024
.LBB58_13:
	s_or_b64 exec, exec, s[16:17]
	v_or_b32_e32 v9, 0x600, v0
	v_cmp_gt_u32_e64 s[16:17], s7, v9
	v_mov_b32_e32 v9, s43
	s_and_saveexec_b64 s[18:19], s[16:17]
	s_cbranch_execz .LBB58_15
; %bb.14:
	v_add_co_u32_e32 v10, vcc, 0x1000, v2
	v_addc_co_u32_e32 v11, vcc, 0, v3, vcc
	global_load_dword v9, v[10:11], off offset:2048
.LBB58_15:
	;; [unrolled: 11-line block ×3, first 2 shown]
	s_or_b64 exec, exec, s[20:21]
	v_or_b32_e32 v11, 0x800, v0
	v_cmp_gt_u32_e64 s[20:21], s7, v11
	v_mov_b32_e32 v11, s43
	s_and_saveexec_b64 s[22:23], s[20:21]
	s_cbranch_execz .LBB58_19
; %bb.18:
	v_add_co_u32_e32 v12, vcc, 0x2000, v2
	v_addc_co_u32_e32 v13, vcc, 0, v3, vcc
	global_load_dword v11, v[12:13], off
.LBB58_19:
	s_or_b64 exec, exec, s[22:23]
	v_or_b32_e32 v12, 0x900, v0
	v_cmp_gt_u32_e64 s[22:23], s7, v12
	v_mov_b32_e32 v12, s43
	s_and_saveexec_b64 s[24:25], s[22:23]
	s_cbranch_execz .LBB58_21
; %bb.20:
	v_add_co_u32_e32 v12, vcc, 0x2000, v2
	v_addc_co_u32_e32 v13, vcc, 0, v3, vcc
	global_load_dword v12, v[12:13], off offset:1024
.LBB58_21:
	s_or_b64 exec, exec, s[24:25]
	v_or_b32_e32 v13, 0xa00, v0
	v_cmp_gt_u32_e64 s[24:25], s7, v13
	v_mov_b32_e32 v13, s43
	s_and_saveexec_b64 s[26:27], s[24:25]
	s_cbranch_execz .LBB58_23
; %bb.22:
	v_add_co_u32_e32 v14, vcc, 0x2000, v2
	v_addc_co_u32_e32 v15, vcc, 0, v3, vcc
	global_load_dword v13, v[14:15], off offset:2048
.LBB58_23:
	;; [unrolled: 11-line block ×3, first 2 shown]
	s_or_b64 exec, exec, s[28:29]
	v_or_b32_e32 v15, 0xc00, v0
	v_cmp_gt_u32_e64 s[28:29], s7, v15
	v_mov_b32_e32 v15, s43
	s_and_saveexec_b64 s[30:31], s[28:29]
	s_cbranch_execz .LBB58_27
; %bb.26:
	v_add_co_u32_e32 v16, vcc, 0x3000, v2
	v_addc_co_u32_e32 v17, vcc, 0, v3, vcc
	global_load_dword v15, v[16:17], off
.LBB58_27:
	s_or_b64 exec, exec, s[30:31]
	v_or_b32_e32 v16, 0xd00, v0
	v_cmp_gt_u32_e64 s[30:31], s7, v16
	v_mov_b32_e32 v16, s43
	s_and_saveexec_b64 s[46:47], s[30:31]
	s_cbranch_execz .LBB58_29
; %bb.28:
	v_add_co_u32_e32 v2, vcc, 0x3000, v2
	v_addc_co_u32_e32 v3, vcc, 0, v3, vcc
	global_load_dword v16, v[2:3], off offset:1024
.LBB58_29:
	s_or_b64 exec, exec, s[46:47]
	s_sub_u32 s46, 0, s6
	s_subb_u32 s47, 0, 0
	s_cmp_eq_u64 s[46:47], s[44:45]
	s_cselect_b32 s46, 0, -4
	s_cselect_b32 s43, 0, -1
	s_add_u32 s46, s50, s46
	s_waitcnt vmcnt(0)
	ds_write2st64_b32 v46, v1, v4 offset1:4
	ds_write2st64_b32 v46, v5, v6 offset0:8 offset1:12
	ds_write2st64_b32 v46, v7, v8 offset0:16 offset1:20
	;; [unrolled: 1-line block ×6, first 2 shown]
	v_mad_u32_u24 v1, v0, 52, v46
	s_addc_u32 s47, s51, s43
	s_waitcnt lgkmcnt(0)
	s_barrier
	ds_read2_b64 v[34:37], v1 offset1:1
	ds_read2_b64 v[30:33], v1 offset0:2 offset1:3
	ds_read2_b64 v[26:29], v1 offset0:4 offset1:5
	ds_read_b64 v[40:41], v1 offset:48
	s_load_dword s43, s[46:47], 0x0
	s_movk_i32 s46, 0xffcc
	v_mad_i32_i24 v2, v0, s46, v1
	v_cmp_ne_u32_e32 vcc, 0, v0
	s_waitcnt lgkmcnt(0)
	ds_write_b32 v2, v41 offset:14336
	v_mov_b32_e32 v44, s43
	s_waitcnt lgkmcnt(0)
	s_barrier
	s_and_saveexec_b64 s[46:47], vcc
	s_cbranch_execz .LBB58_31
; %bb.30:
	v_mul_i32_i24_e32 v2, 0xffffffcc, v0
	v_add_u32_e32 v2, v1, v2
	ds_read_b32 v44, v2 offset:14332
.LBB58_31:
	s_or_b64 exec, exec, s[46:47]
	v_lshlrev_b32_e32 v2, 1, v0
	v_mov_b32_e32 v3, s37
	v_add_co_u32_e32 v2, vcc, s36, v2
	v_addc_co_u32_e32 v3, vcc, 0, v3, vcc
	s_waitcnt lgkmcnt(0)
	s_barrier
	s_waitcnt lgkmcnt(0)
                                        ; implicit-def: $vgpr4
	s_and_saveexec_b64 s[46:47], s[2:3]
	s_cbranch_execz .LBB58_119
; %bb.32:
	global_load_sshort v4, v[2:3], off
	s_or_b64 exec, exec, s[46:47]
                                        ; implicit-def: $vgpr5
	s_and_saveexec_b64 s[2:3], s[34:35]
	s_cbranch_execnz .LBB58_120
.LBB58_33:
	s_or_b64 exec, exec, s[2:3]
                                        ; implicit-def: $vgpr6
	s_and_saveexec_b64 s[2:3], s[8:9]
	s_cbranch_execz .LBB58_121
.LBB58_34:
	global_load_sshort v6, v[2:3], off offset:1024
	s_or_b64 exec, exec, s[2:3]
                                        ; implicit-def: $vgpr7
	s_and_saveexec_b64 s[2:3], s[10:11]
	s_cbranch_execnz .LBB58_122
.LBB58_35:
	s_or_b64 exec, exec, s[2:3]
                                        ; implicit-def: $vgpr8
	s_and_saveexec_b64 s[2:3], s[12:13]
	s_cbranch_execz .LBB58_123
.LBB58_36:
	global_load_sshort v8, v[2:3], off offset:2048
	s_or_b64 exec, exec, s[2:3]
                                        ; implicit-def: $vgpr9
	s_and_saveexec_b64 s[2:3], s[14:15]
	s_cbranch_execnz .LBB58_124
.LBB58_37:
	s_or_b64 exec, exec, s[2:3]
                                        ; implicit-def: $vgpr10
	s_and_saveexec_b64 s[2:3], s[16:17]
	s_cbranch_execz .LBB58_125
.LBB58_38:
	global_load_sshort v10, v[2:3], off offset:3072
	s_or_b64 exec, exec, s[2:3]
                                        ; implicit-def: $vgpr11
	s_and_saveexec_b64 s[2:3], s[18:19]
	s_cbranch_execnz .LBB58_126
.LBB58_39:
	s_or_b64 exec, exec, s[2:3]
                                        ; implicit-def: $vgpr12
	s_and_saveexec_b64 s[2:3], s[20:21]
	s_cbranch_execz .LBB58_127
.LBB58_40:
	v_add_co_u32_e32 v12, vcc, 0x1000, v2
	v_addc_co_u32_e32 v13, vcc, 0, v3, vcc
	global_load_sshort v12, v[12:13], off
	s_or_b64 exec, exec, s[2:3]
                                        ; implicit-def: $vgpr13
	s_and_saveexec_b64 s[2:3], s[22:23]
	s_cbranch_execnz .LBB58_128
.LBB58_41:
	s_or_b64 exec, exec, s[2:3]
                                        ; implicit-def: $vgpr14
	s_and_saveexec_b64 s[2:3], s[24:25]
	s_cbranch_execz .LBB58_129
.LBB58_42:
	v_add_co_u32_e32 v14, vcc, 0x1000, v2
	v_addc_co_u32_e32 v15, vcc, 0, v3, vcc
	global_load_sshort v14, v[14:15], off offset:1024
	s_or_b64 exec, exec, s[2:3]
                                        ; implicit-def: $vgpr15
	s_and_saveexec_b64 s[2:3], s[26:27]
	s_cbranch_execnz .LBB58_130
.LBB58_43:
	s_or_b64 exec, exec, s[2:3]
                                        ; implicit-def: $vgpr16
	s_and_saveexec_b64 s[2:3], s[28:29]
	s_cbranch_execz .LBB58_45
.LBB58_44:
	v_add_co_u32_e32 v16, vcc, 0x1000, v2
	v_addc_co_u32_e32 v17, vcc, 0, v3, vcc
	global_load_sshort v16, v[16:17], off offset:2048
.LBB58_45:
	s_or_b64 exec, exec, s[2:3]
	v_mul_u32_u24_e32 v42, 14, v0
                                        ; implicit-def: $vgpr17
	s_and_saveexec_b64 s[2:3], s[30:31]
	s_cbranch_execz .LBB58_47
; %bb.46:
	v_add_co_u32_e32 v2, vcc, 0x1000, v2
	v_addc_co_u32_e32 v3, vcc, 0, v3, vcc
	global_load_sshort v17, v[2:3], off offset:2560
.LBB58_47:
	s_or_b64 exec, exec, s[2:3]
	s_mov_b32 s8, 0
	s_mov_b32 s9, s8
	s_waitcnt vmcnt(0)
	ds_write2st64_b32 v46, v4, v5 offset1:4
	ds_write2st64_b32 v46, v6, v7 offset0:8 offset1:12
	ds_write2st64_b32 v46, v8, v9 offset0:16 offset1:20
	;; [unrolled: 1-line block ×6, first 2 shown]
	s_mov_b32 s10, s8
	s_mov_b32 s11, s8
	;; [unrolled: 1-line block ×6, first 2 shown]
	v_pk_mov_b32 v[2:3], s[8:9], s[8:9] op_sel:[0,1]
	v_pk_mov_b32 v[8:9], s[14:15], s[14:15] op_sel:[0,1]
	;; [unrolled: 1-line block ×6, first 2 shown]
	v_cmp_gt_u32_e32 vcc, s7, v42
	s_mov_b64 s[16:17], 0
	v_pk_mov_b32 v[38:39], 0, 0
	s_mov_b64 s[22:23], 0
	v_pk_mov_b32 v[14:15], v[6:7], v[6:7] op_sel:[0,1]
	v_pk_mov_b32 v[12:13], v[4:5], v[4:5] op_sel:[0,1]
	;; [unrolled: 1-line block ×6, first 2 shown]
	s_waitcnt lgkmcnt(0)
	s_barrier
	s_waitcnt lgkmcnt(0)
                                        ; implicit-def: $sgpr20_sgpr21
                                        ; implicit-def: $vgpr43
	s_and_saveexec_b64 s[18:19], vcc
	s_cbranch_execz .LBB58_73
; %bb.48:
	v_or_b32_e32 v2, 1, v42
	ds_read_b32 v38, v1
	v_cmp_ne_u32_e32 vcc, v44, v34
	v_cndmask_b32_e64 v39, 0, 1, vcc
	v_cmp_gt_u32_e32 vcc, s7, v2
	v_pk_mov_b32 v[2:3], s[8:9], s[8:9] op_sel:[0,1]
	v_pk_mov_b32 v[8:9], s[14:15], s[14:15] op_sel:[0,1]
	;; [unrolled: 1-line block ×6, first 2 shown]
	s_mov_b64 s[2:3], 0
	v_pk_mov_b32 v[14:15], v[6:7], v[6:7] op_sel:[0,1]
	v_pk_mov_b32 v[12:13], v[4:5], v[4:5] op_sel:[0,1]
	;; [unrolled: 1-line block ×6, first 2 shown]
                                        ; implicit-def: $sgpr8_sgpr9
                                        ; implicit-def: $vgpr43
	s_and_saveexec_b64 s[20:21], vcc
	s_cbranch_execz .LBB58_72
; %bb.49:
	ds_read2_b32 v[44:45], v1 offset0:1 offset1:2
	s_mov_b32 s8, 0
	s_mov_b32 s14, s8
	;; [unrolled: 1-line block ×8, first 2 shown]
	v_pk_mov_b32 v[16:17], s[14:15], s[14:15] op_sel:[0,1]
	v_add_u32_e32 v2, 2, v42
	v_cmp_ne_u32_e32 vcc, v34, v35
	v_mov_b32_e32 v6, 0
	v_pk_mov_b32 v[14:15], s[12:13], s[12:13] op_sel:[0,1]
	v_pk_mov_b32 v[12:13], s[10:11], s[10:11] op_sel:[0,1]
	;; [unrolled: 1-line block ×4, first 2 shown]
	v_cndmask_b32_e64 v3, 0, 1, vcc
	v_cmp_gt_u32_e32 vcc, s7, v2
	s_waitcnt lgkmcnt(0)
	v_mov_b32_e32 v2, v44
	v_mov_b32_e32 v4, v6
	;; [unrolled: 1-line block ×6, first 2 shown]
	v_pk_mov_b32 v[22:23], v[14:15], v[14:15] op_sel:[0,1]
	v_pk_mov_b32 v[20:21], v[12:13], v[12:13] op_sel:[0,1]
	;; [unrolled: 1-line block ×3, first 2 shown]
                                        ; implicit-def: $sgpr24_sgpr25
                                        ; implicit-def: $vgpr43
	s_and_saveexec_b64 s[22:23], vcc
	s_cbranch_execz .LBB58_71
; %bb.50:
	v_pk_mov_b32 v[16:17], s[14:15], s[14:15] op_sel:[0,1]
	v_add_u32_e32 v2, 3, v42
	v_cmp_ne_u32_e32 vcc, v35, v36
	v_pk_mov_b32 v[14:15], s[12:13], s[12:13] op_sel:[0,1]
	v_pk_mov_b32 v[12:13], s[10:11], s[10:11] op_sel:[0,1]
	;; [unrolled: 1-line block ×4, first 2 shown]
	v_cndmask_b32_e64 v5, 0, 1, vcc
	v_cmp_gt_u32_e32 vcc, s7, v2
	v_mov_b32_e32 v2, v44
	v_mov_b32_e32 v4, v45
	;; [unrolled: 1-line block ×5, first 2 shown]
	v_pk_mov_b32 v[22:23], v[14:15], v[14:15] op_sel:[0,1]
	v_pk_mov_b32 v[20:21], v[12:13], v[12:13] op_sel:[0,1]
	;; [unrolled: 1-line block ×3, first 2 shown]
                                        ; implicit-def: $sgpr8_sgpr9
                                        ; implicit-def: $vgpr43
	s_and_saveexec_b64 s[24:25], vcc
	s_cbranch_execz .LBB58_70
; %bb.51:
	ds_read2_b32 v[34:35], v1 offset0:3 offset1:4
	s_mov_b32 s8, 0
	s_mov_b32 s14, s8
	;; [unrolled: 1-line block ×8, first 2 shown]
	v_pk_mov_b32 v[16:17], s[14:15], s[14:15] op_sel:[0,1]
	v_add_u32_e32 v6, 4, v42
	v_cmp_ne_u32_e32 vcc, v36, v37
	v_pk_mov_b32 v[14:15], s[12:13], s[12:13] op_sel:[0,1]
	v_pk_mov_b32 v[12:13], s[10:11], s[10:11] op_sel:[0,1]
	;; [unrolled: 1-line block ×4, first 2 shown]
	v_cndmask_b32_e64 v7, 0, 1, vcc
	v_cmp_gt_u32_e32 vcc, s7, v6
	s_waitcnt lgkmcnt(0)
	v_mov_b32_e32 v6, v34
	v_mov_b32_e32 v8, s8
	;; [unrolled: 1-line block ×3, first 2 shown]
	v_pk_mov_b32 v[22:23], v[14:15], v[14:15] op_sel:[0,1]
	v_pk_mov_b32 v[20:21], v[12:13], v[12:13] op_sel:[0,1]
	;; [unrolled: 1-line block ×3, first 2 shown]
                                        ; implicit-def: $sgpr28_sgpr29
                                        ; implicit-def: $vgpr43
	s_and_saveexec_b64 s[26:27], vcc
	s_cbranch_execz .LBB58_69
; %bb.52:
	v_pk_mov_b32 v[16:17], s[14:15], s[14:15] op_sel:[0,1]
	v_add_u32_e32 v8, 5, v42
	v_cmp_ne_u32_e32 vcc, v37, v30
	v_pk_mov_b32 v[14:15], s[12:13], s[12:13] op_sel:[0,1]
	v_pk_mov_b32 v[12:13], s[10:11], s[10:11] op_sel:[0,1]
	;; [unrolled: 1-line block ×4, first 2 shown]
	v_cndmask_b32_e64 v9, 0, 1, vcc
	v_cmp_gt_u32_e32 vcc, s7, v8
	v_mov_b32_e32 v8, v35
	v_pk_mov_b32 v[22:23], v[14:15], v[14:15] op_sel:[0,1]
	v_pk_mov_b32 v[20:21], v[12:13], v[12:13] op_sel:[0,1]
	;; [unrolled: 1-line block ×3, first 2 shown]
                                        ; implicit-def: $sgpr8_sgpr9
                                        ; implicit-def: $vgpr43
	s_and_saveexec_b64 s[28:29], vcc
	s_cbranch_execz .LBB58_68
; %bb.53:
	ds_read2_b32 v[34:35], v1 offset0:5 offset1:6
	s_mov_b32 s8, 0
	s_mov_b32 s14, s8
	;; [unrolled: 1-line block ×3, first 2 shown]
	v_add_u32_e32 v10, 6, v42
	v_cmp_ne_u32_e32 vcc, v30, v31
	v_mov_b32_e32 v14, 0
	s_mov_b32 s9, s8
	s_mov_b32 s10, s8
	;; [unrolled: 1-line block ×5, first 2 shown]
	v_pk_mov_b32 v[24:25], s[14:15], s[14:15] op_sel:[0,1]
	v_cndmask_b32_e64 v11, 0, 1, vcc
	v_cmp_gt_u32_e32 vcc, s7, v10
	s_waitcnt lgkmcnt(0)
	v_mov_b32_e32 v10, v34
	v_mov_b32_e32 v12, v14
	;; [unrolled: 1-line block ×6, first 2 shown]
	v_pk_mov_b32 v[22:23], s[12:13], s[12:13] op_sel:[0,1]
	v_pk_mov_b32 v[20:21], s[10:11], s[10:11] op_sel:[0,1]
	;; [unrolled: 1-line block ×3, first 2 shown]
                                        ; implicit-def: $sgpr34_sgpr35
                                        ; implicit-def: $vgpr43
	s_and_saveexec_b64 s[30:31], vcc
	s_cbranch_execz .LBB58_67
; %bb.54:
	v_add_u32_e32 v10, 7, v42
	v_cmp_ne_u32_e32 vcc, v31, v32
	v_pk_mov_b32 v[24:25], s[14:15], s[14:15] op_sel:[0,1]
	v_cndmask_b32_e64 v13, 0, 1, vcc
	v_cmp_gt_u32_e32 vcc, s7, v10
	v_mov_b32_e32 v10, v34
	v_mov_b32_e32 v12, v35
	;; [unrolled: 1-line block ×5, first 2 shown]
	v_pk_mov_b32 v[22:23], s[12:13], s[12:13] op_sel:[0,1]
	v_pk_mov_b32 v[20:21], s[10:11], s[10:11] op_sel:[0,1]
	;; [unrolled: 1-line block ×3, first 2 shown]
                                        ; implicit-def: $sgpr8_sgpr9
                                        ; implicit-def: $vgpr43
	s_and_saveexec_b64 s[34:35], vcc
	s_cbranch_execz .LBB58_66
; %bb.55:
	ds_read2_b32 v[30:31], v1 offset0:7 offset1:8
	s_mov_b32 s8, 0
	s_mov_b32 s14, s8
	;; [unrolled: 1-line block ×3, first 2 shown]
	v_add_u32_e32 v14, 8, v42
	v_cmp_ne_u32_e32 vcc, v32, v33
	s_mov_b32 s9, s8
	s_mov_b32 s10, s8
	;; [unrolled: 1-line block ×5, first 2 shown]
	v_pk_mov_b32 v[24:25], s[14:15], s[14:15] op_sel:[0,1]
	v_cndmask_b32_e64 v15, 0, 1, vcc
	v_cmp_gt_u32_e32 vcc, s7, v14
	s_waitcnt lgkmcnt(0)
	v_mov_b32_e32 v14, v30
	v_mov_b32_e32 v16, s8
	;; [unrolled: 1-line block ×3, first 2 shown]
	v_pk_mov_b32 v[22:23], s[12:13], s[12:13] op_sel:[0,1]
	v_pk_mov_b32 v[20:21], s[10:11], s[10:11] op_sel:[0,1]
	;; [unrolled: 1-line block ×3, first 2 shown]
                                        ; implicit-def: $sgpr52_sgpr53
                                        ; implicit-def: $vgpr43
	s_and_saveexec_b64 s[46:47], vcc
	s_cbranch_execz .LBB58_65
; %bb.56:
	v_add_u32_e32 v16, 9, v42
	v_cmp_ne_u32_e32 vcc, v33, v26
	v_pk_mov_b32 v[24:25], s[14:15], s[14:15] op_sel:[0,1]
	v_cndmask_b32_e64 v17, 0, 1, vcc
	v_cmp_gt_u32_e32 vcc, s7, v16
	v_mov_b32_e32 v16, v31
	v_pk_mov_b32 v[22:23], s[12:13], s[12:13] op_sel:[0,1]
	v_pk_mov_b32 v[20:21], s[10:11], s[10:11] op_sel:[0,1]
	;; [unrolled: 1-line block ×3, first 2 shown]
                                        ; implicit-def: $sgpr10_sgpr11
                                        ; implicit-def: $vgpr43
	s_and_saveexec_b64 s[8:9], vcc
	s_cbranch_execz .LBB58_64
; %bb.57:
	ds_read2_b32 v[30:31], v1 offset0:9 offset1:10
	v_add_u32_e32 v18, 10, v42
	v_cmp_ne_u32_e32 vcc, v26, v27
	v_mov_b32_e32 v22, 0
	v_cndmask_b32_e64 v19, 0, 1, vcc
	v_cmp_gt_u32_e32 vcc, s7, v18
	s_waitcnt lgkmcnt(0)
	v_mov_b32_e32 v18, v30
	v_mov_b32_e32 v20, v22
	;; [unrolled: 1-line block ×6, first 2 shown]
                                        ; implicit-def: $sgpr12_sgpr13
                                        ; implicit-def: $vgpr43
	s_and_saveexec_b64 s[10:11], vcc
	s_cbranch_execz .LBB58_63
; %bb.58:
	v_add_u32_e32 v18, 11, v42
	v_cmp_ne_u32_e32 vcc, v27, v28
	v_cndmask_b32_e64 v21, 0, 1, vcc
	v_cmp_gt_u32_e32 vcc, s7, v18
	s_mov_b32 s43, 0
	v_mov_b32_e32 v18, v30
	v_mov_b32_e32 v20, v31
	;; [unrolled: 1-line block ×5, first 2 shown]
                                        ; implicit-def: $sgpr14_sgpr15
                                        ; implicit-def: $vgpr43
	s_and_saveexec_b64 s[12:13], vcc
	s_cbranch_execz .LBB58_62
; %bb.59:
	ds_read2_b32 v[26:27], v1 offset0:11 offset1:12
	v_add_u32_e32 v22, 12, v42
	v_cmp_ne_u32_e32 vcc, v28, v29
	v_cndmask_b32_e64 v23, 0, 1, vcc
	v_cmp_gt_u32_e32 vcc, s7, v22
	s_waitcnt lgkmcnt(0)
	v_mov_b32_e32 v22, v26
	v_mov_b32_e32 v24, s43
	;; [unrolled: 1-line block ×3, first 2 shown]
                                        ; implicit-def: $sgpr14_sgpr15
                                        ; implicit-def: $vgpr43
	s_and_saveexec_b64 s[52:53], vcc
	s_xor_b64 s[52:53], exec, s[52:53]
	s_cbranch_execz .LBB58_61
; %bb.60:
	ds_read_b32 v43, v1 offset:52
	v_add_u32_e32 v1, 13, v42
	v_cmp_ne_u32_e64 s[2:3], v29, v40
	v_cmp_ne_u32_e32 vcc, v40, v41
	v_cndmask_b32_e64 v25, 0, 1, s[2:3]
	v_cmp_gt_u32_e64 s[2:3], s7, v1
	v_mov_b32_e32 v24, v27
	s_and_b64 s[14:15], vcc, exec
	s_and_b64 s[2:3], s[2:3], exec
.LBB58_61:
	s_or_b64 exec, exec, s[52:53]
	s_and_b64 s[14:15], s[14:15], exec
	s_and_b64 s[2:3], s[2:3], exec
.LBB58_62:
	s_or_b64 exec, exec, s[12:13]
	s_and_b64 s[12:13], s[14:15], exec
	s_and_b64 s[2:3], s[2:3], exec
.LBB58_63:
	s_or_b64 exec, exec, s[10:11]
	s_and_b64 s[10:11], s[12:13], exec
	s_and_b64 s[2:3], s[2:3], exec
.LBB58_64:
	s_or_b64 exec, exec, s[8:9]
	s_and_b64 s[52:53], s[10:11], exec
	s_and_b64 s[2:3], s[2:3], exec
.LBB58_65:
	s_or_b64 exec, exec, s[46:47]
	s_and_b64 s[8:9], s[52:53], exec
	s_and_b64 s[2:3], s[2:3], exec
.LBB58_66:
	s_or_b64 exec, exec, s[34:35]
	s_and_b64 s[34:35], s[8:9], exec
	s_and_b64 s[2:3], s[2:3], exec
.LBB58_67:
	s_or_b64 exec, exec, s[30:31]
	s_and_b64 s[8:9], s[34:35], exec
	s_and_b64 s[2:3], s[2:3], exec
.LBB58_68:
	s_or_b64 exec, exec, s[28:29]
	s_and_b64 s[28:29], s[8:9], exec
	s_and_b64 s[2:3], s[2:3], exec
.LBB58_69:
	s_or_b64 exec, exec, s[26:27]
	s_and_b64 s[8:9], s[28:29], exec
	s_and_b64 s[2:3], s[2:3], exec
.LBB58_70:
	s_or_b64 exec, exec, s[24:25]
	s_and_b64 s[24:25], s[8:9], exec
	s_and_b64 s[2:3], s[2:3], exec
.LBB58_71:
	s_or_b64 exec, exec, s[22:23]
	s_and_b64 s[8:9], s[24:25], exec
	s_and_b64 s[2:3], s[2:3], exec
.LBB58_72:
	s_or_b64 exec, exec, s[20:21]
	s_and_b64 s[20:21], s[8:9], exec
	s_and_b64 s[22:23], s[2:3], exec
.LBB58_73:
	s_or_b64 exec, exec, s[18:19]
	s_and_b64 vcc, exec, s[16:17]
	v_cmp_ne_u32_e64 s[2:3], 0, v0
	s_cbranch_vccnz .LBB58_75
	s_branch .LBB58_78
.LBB58_74:
	s_mov_b64 s[22:23], 0
                                        ; implicit-def: $sgpr20_sgpr21
                                        ; implicit-def: $vgpr2_vgpr3_vgpr4_vgpr5_vgpr6_vgpr7_vgpr8_vgpr9
                                        ; implicit-def: $vgpr10_vgpr11_vgpr12_vgpr13_vgpr14_vgpr15_vgpr16_vgpr17
                                        ; implicit-def: $vgpr18_vgpr19_vgpr20_vgpr21_vgpr22_vgpr23_vgpr24_vgpr25
                                        ; implicit-def: $vgpr43
                                        ; implicit-def: $vgpr38_vgpr39
	s_and_b64 vcc, exec, s[16:17]
	v_cmp_ne_u32_e64 s[2:3], 0, v0
	s_cbranch_vccz .LBB58_78
.LBB58_75:
	v_mov_b32_e32 v1, s51
	v_add_co_u32_e32 v6, vcc, s50, v46
	v_addc_co_u32_e32 v1, vcc, 0, v1, vcc
	v_add_co_u32_e32 v2, vcc, 0x1000, v6
	v_addc_co_u32_e32 v3, vcc, 0, v1, vcc
	;; [unrolled: 2-line block ×3, first 2 shown]
	global_load_dword v7, v46, s[50:51]
	global_load_dword v8, v46, s[50:51] offset:1024
	global_load_dword v9, v46, s[50:51] offset:2048
	;; [unrolled: 1-line block ×3, first 2 shown]
	global_load_dword v11, v[2:3], off
	global_load_dword v12, v[2:3], off offset:1024
	global_load_dword v13, v[2:3], off offset:2048
	;; [unrolled: 1-line block ×3, first 2 shown]
	global_load_dword v15, v[4:5], off
	global_load_dword v16, v[4:5], off offset:1024
	global_load_dword v17, v[4:5], off offset:2048
	;; [unrolled: 1-line block ×3, first 2 shown]
	v_add_co_u32_e32 v2, vcc, 0x3000, v6
	v_addc_co_u32_e32 v3, vcc, 0, v1, vcc
	global_load_dword v4, v[2:3], off
	global_load_dword v5, v[2:3], off offset:1024
	s_sub_u32 s8, 0, s6
	s_subb_u32 s9, 0, 0
	s_cmp_eq_u64 s[8:9], s[44:45]
	s_cselect_b32 s8, 0, -4
	s_cselect_b32 s9, 0, -1
	s_add_u32 s8, s50, s8
	v_mad_u32_u24 v1, v0, 52, v46
	s_addc_u32 s9, s51, s9
	s_movk_i32 s10, 0xffcc
	s_movk_i32 s7, 0x1000
	v_mad_i32_i24 v22, v0, s10, v1
	s_waitcnt vmcnt(12)
	ds_write2st64_b32 v46, v7, v8 offset1:4
	s_waitcnt vmcnt(10)
	ds_write2st64_b32 v46, v9, v10 offset0:8 offset1:12
	s_waitcnt vmcnt(8)
	ds_write2st64_b32 v46, v11, v12 offset0:16 offset1:20
	;; [unrolled: 2-line block ×6, first 2 shown]
	s_waitcnt lgkmcnt(0)
	s_barrier
	ds_read2_b64 v[18:21], v1 offset0:4 offset1:5
	ds_read_b64 v[6:7], v1 offset:48
	ds_read2_b64 v[2:5], v1 offset1:1
	ds_read2_b64 v[10:13], v1 offset0:2 offset1:3
	s_load_dword s8, s[8:9], 0x0
	s_waitcnt lgkmcnt(0)
	ds_write_b32 v22, v7 offset:14336
	s_waitcnt lgkmcnt(0)
	v_mov_b32_e32 v8, s8
	s_barrier
	s_and_saveexec_b64 s[8:9], s[2:3]
	s_cbranch_execz .LBB58_77
; %bb.76:
	v_mul_i32_i24_e32 v8, 0xffffffcc, v0
	v_add_u32_e32 v8, v1, v8
	ds_read_b32 v8, v8 offset:14332
.LBB58_77:
	s_or_b64 exec, exec, s[8:9]
	v_lshlrev_b32_e32 v9, 1, v0
	v_mov_b32_e32 v14, s37
	v_add_co_u32_e32 v15, vcc, s36, v9
	v_addc_co_u32_e32 v16, vcc, 0, v14, vcc
	v_add_co_u32_e32 v14, vcc, s7, v15
	v_addc_co_u32_e32 v15, vcc, 0, v16, vcc
	s_waitcnt lgkmcnt(0)
	s_barrier
	global_load_sshort v22, v9, s[36:37]
	global_load_sshort v24, v9, s[36:37] offset:512
	global_load_sshort v26, v9, s[36:37] offset:1024
	;; [unrolled: 1-line block ×7, first 2 shown]
	global_load_sshort v16, v[14:15], off
	global_load_sshort v32, v[14:15], off offset:512
	global_load_sshort v33, v[14:15], off offset:1024
	;; [unrolled: 1-line block ×5, first 2 shown]
	v_cmp_ne_u32_e32 vcc, v8, v2
	v_cndmask_b32_e64 v39, 0, 1, vcc
	v_cmp_ne_u32_e32 vcc, v5, v10
	v_cndmask_b32_e64 v9, 0, 1, vcc
	v_cmp_ne_u32_e32 vcc, v4, v5
	v_cmp_ne_u32_e64 s[20:21], v6, v7
	v_cndmask_b32_e64 v7, 0, 1, vcc
	v_cmp_ne_u32_e32 vcc, v3, v4
	v_cndmask_b32_e64 v5, 0, 1, vcc
	v_cmp_ne_u32_e32 vcc, v2, v3
	;; [unrolled: 2-line block ×10, first 2 shown]
	v_cndmask_b32_e64 v19, 0, 1, vcc
	s_mov_b64 s[22:23], -1
                                        ; implicit-def: $sgpr16_sgpr17
	s_waitcnt vmcnt(12)
	ds_write2st64_b32 v46, v22, v24 offset1:4
	s_waitcnt vmcnt(10)
	ds_write2st64_b32 v46, v26, v27 offset0:8 offset1:12
	s_waitcnt vmcnt(8)
	ds_write2st64_b32 v46, v28, v29 offset0:16 offset1:20
	s_waitcnt vmcnt(6)
	ds_write2st64_b32 v46, v30, v31 offset0:24 offset1:28
	s_waitcnt vmcnt(4)
	ds_write2st64_b32 v46, v16, v32 offset0:32 offset1:36
	s_waitcnt vmcnt(2)
	ds_write2st64_b32 v46, v33, v34 offset0:40 offset1:44
	s_waitcnt vmcnt(0)
	ds_write2st64_b32 v46, v35, v36 offset0:48 offset1:52
	s_waitcnt lgkmcnt(0)
	s_barrier
	ds_read2_b32 v[42:43], v1 offset1:13
	ds_read2_b32 v[26:27], v1 offset0:7 offset1:8
	ds_read2_b32 v[28:29], v1 offset0:5 offset1:6
	;; [unrolled: 1-line block ×6, first 2 shown]
	s_waitcnt lgkmcnt(6)
	v_mov_b32_e32 v38, v42
	s_waitcnt lgkmcnt(4)
	v_mov_b32_e32 v10, v28
	;; [unrolled: 2-line block ×4, first 2 shown]
	v_mov_b32_e32 v4, v33
	v_mov_b32_e32 v8, v31
	;; [unrolled: 1-line block ×5, first 2 shown]
	s_waitcnt lgkmcnt(0)
	v_mov_b32_e32 v18, v36
	v_mov_b32_e32 v20, v37
	;; [unrolled: 1-line block ×4, first 2 shown]
.LBB58_78:
	v_pk_mov_b32 v[34:35], s[16:17], s[16:17] op_sel:[0,1]
	s_and_saveexec_b64 s[2:3], s[22:23]
	s_cbranch_execz .LBB58_80
; %bb.79:
	v_cndmask_b32_e64 v35, 0, 1, s[20:21]
	s_waitcnt lgkmcnt(0)
	v_mov_b32_e32 v34, v43
.LBB58_80:
	s_or_b64 exec, exec, s[2:3]
	s_mov_b32 s28, 0
	s_cmp_lg_u32 s6, 0
	v_mbcnt_lo_u32_b32 v1, -1, 0
	s_waitcnt lgkmcnt(0)
	s_barrier
	s_cbranch_scc0 .LBB58_131
; %bb.81:
	s_mov_b32 s29, 1
	v_cmp_gt_u64_e64 s[2:3], s[28:29], v[2:3]
	v_cndmask_b32_e64 v27, 0, v38, s[2:3]
	v_add_u32_e32 v27, v27, v2
	v_cmp_gt_u64_e64 s[34:35], s[28:29], v[4:5]
	v_cndmask_b32_e64 v27, 0, v27, s[34:35]
	v_add_u32_e32 v27, v27, v4
	;; [unrolled: 3-line block ×13, first 2 shown]
	v_or3_b32 v27, v35, v25, v23
	v_or3_b32 v27, v27, v21, v19
	;; [unrolled: 1-line block ×6, first 2 shown]
	v_mov_b32_e32 v26, 0
	v_and_b32_e32 v27, 1, v27
	v_cmp_eq_u64_e32 vcc, 0, v[26:27]
	v_cndmask_b32_e32 v27, 1, v39, vcc
	v_and_b32_e32 v29, 0xff, v27
	v_mbcnt_hi_u32_b32 v44, -1, v1
	v_mov_b32_dpp v26, v28 row_shr:1 row_mask:0xf bank_mask:0xf
	v_mov_b32_dpp v31, v29 row_shr:1 row_mask:0xf bank_mask:0xf
	v_cmp_eq_u16_e32 vcc, 0, v29
	v_and_b32_e32 v32, 1, v27
	v_and_b32_e32 v30, 15, v44
	v_cndmask_b32_e32 v26, 0, v26, vcc
	v_and_b32_e32 v31, 1, v31
	v_cmp_eq_u32_e32 vcc, 1, v32
	v_cndmask_b32_e64 v31, v31, 1, vcc
	v_cmp_eq_u32_e32 vcc, 0, v30
	v_and_b32_e32 v32, 0xffff, v31
	v_cndmask_b32_e64 v26, v26, 0, vcc
	v_add_u32_e32 v26, v26, v28
	v_cndmask_b32_e32 v28, v32, v29, vcc
	v_cndmask_b32_e32 v27, v31, v27, vcc
	v_mov_b32_dpp v32, v26 row_shr:2 row_mask:0xf bank_mask:0xf
	v_mov_b32_dpp v33, v28 row_shr:2 row_mask:0xf bank_mask:0xf
	v_cmp_lt_u32_e32 vcc, 1, v30
	v_mov_b32_e32 v29, v28
	s_and_saveexec_b64 s[30:31], vcc
; %bb.82:
	v_and_b32_e32 v27, 1, v31
	v_and_b32_e32 v28, 1, v33
	v_cmp_eq_u32_e32 vcc, 1, v27
	v_cndmask_b32_e64 v27, v28, 1, vcc
	v_cmp_eq_u16_e32 vcc, 0, v31
	v_cndmask_b32_e32 v28, 0, v32, vcc
	v_and_b32_e32 v29, 0xffff, v27
	v_add_u32_e32 v26, v28, v26
	v_mov_b32_e32 v28, v27
; %bb.83:
	s_or_b64 exec, exec, s[30:31]
	v_mov_b32_dpp v31, v26 row_shr:4 row_mask:0xf bank_mask:0xf
	v_mov_b32_dpp v32, v29 row_shr:4 row_mask:0xf bank_mask:0xf
	v_cmp_lt_u32_e32 vcc, 3, v30
	s_and_saveexec_b64 s[30:31], vcc
; %bb.84:
	v_and_b32_e32 v27, 1, v28
	v_and_b32_e32 v29, 1, v32
	v_cmp_eq_u32_e32 vcc, 1, v27
	v_cndmask_b32_e64 v27, v29, 1, vcc
	v_cmp_eq_u16_e32 vcc, 0, v28
	v_cndmask_b32_e32 v28, 0, v31, vcc
	v_and_b32_e32 v29, 0xffff, v27
	v_add_u32_e32 v26, v28, v26
	v_mov_b32_e32 v28, v27
; %bb.85:
	s_or_b64 exec, exec, s[30:31]
	v_mov_b32_dpp v31, v26 row_shr:8 row_mask:0xf bank_mask:0xf
	v_mov_b32_dpp v32, v29 row_shr:8 row_mask:0xf bank_mask:0xf
	v_cmp_lt_u32_e32 vcc, 7, v30
	s_and_saveexec_b64 s[30:31], vcc
; %bb.86:
	v_and_b32_e32 v27, 1, v28
	v_and_b32_e32 v29, 1, v32
	v_cmp_eq_u32_e32 vcc, 1, v27
	v_cndmask_b32_e64 v27, v29, 1, vcc
	v_cmp_eq_u16_e32 vcc, 0, v28
	v_cndmask_b32_e32 v28, 0, v31, vcc
	v_and_b32_e32 v29, 0xffff, v27
	v_add_u32_e32 v26, v28, v26
	v_mov_b32_e32 v28, v27
; %bb.87:
	s_or_b64 exec, exec, s[30:31]
	v_and_b32_e32 v32, 16, v44
	v_mov_b32_dpp v30, v26 row_bcast:15 row_mask:0xf bank_mask:0xf
	v_mov_b32_dpp v31, v29 row_bcast:15 row_mask:0xf bank_mask:0xf
	v_cmp_ne_u32_e32 vcc, 0, v32
	s_and_saveexec_b64 s[30:31], vcc
; %bb.88:
	v_and_b32_e32 v27, 1, v28
	v_and_b32_e32 v29, 1, v31
	v_cmp_eq_u32_e32 vcc, 1, v27
	v_cndmask_b32_e64 v27, v29, 1, vcc
	v_cmp_eq_u16_e32 vcc, 0, v28
	v_cndmask_b32_e32 v28, 0, v30, vcc
	v_and_b32_e32 v29, 0xffff, v27
	v_add_u32_e32 v26, v28, v26
	v_mov_b32_e32 v28, v27
; %bb.89:
	s_or_b64 exec, exec, s[30:31]
	v_mov_b32_e32 v31, 0
	v_mov_b32_dpp v29, v29 row_bcast:31 row_mask:0xf bank_mask:0xf
	v_cmp_eq_u16_sdwa s[30:31], v28, v31 src0_sel:BYTE_0 src1_sel:DWORD
	v_and_b32_e32 v28, 1, v28
	v_and_b32_e32 v29, 1, v29
	v_cmp_eq_u32_e32 vcc, 1, v28
	v_cndmask_b32_e64 v28, v29, 1, vcc
	v_cmp_lt_u32_e32 vcc, 31, v44
	v_mov_b32_dpp v30, v26 row_bcast:31 row_mask:0xf bank_mask:0xf
	v_cndmask_b32_e32 v29, v27, v28, vcc
	s_and_b64 vcc, vcc, s[30:31]
	v_cndmask_b32_e32 v27, 0, v30, vcc
	v_add_u32_e32 v28, v27, v26
	v_or_b32_e32 v26, 63, v0
	v_lshrrev_b32_e32 v30, 6, v0
	v_cmp_eq_u32_e32 vcc, v26, v0
	s_and_saveexec_b64 s[30:31], vcc
	s_cbranch_execz .LBB58_91
; %bb.90:
	v_lshlrev_b32_e32 v26, 3, v30
	ds_write_b32 v26, v28
	ds_write_b8 v26, v29 offset:4
.LBB58_91:
	s_or_b64 exec, exec, s[30:31]
	v_cmp_gt_u32_e32 vcc, 4, v0
	s_waitcnt lgkmcnt(0)
	s_barrier
	s_and_saveexec_b64 s[30:31], vcc
	s_cbranch_execz .LBB58_97
; %bb.92:
	v_lshlrev_b32_e32 v31, 3, v0
	ds_read_b64 v[26:27], v31
	v_and_b32_e32 v32, 3, v44
	v_cmp_ne_u32_e32 vcc, 0, v32
	s_waitcnt lgkmcnt(0)
	v_mov_b32_dpp v36, v26 row_shr:1 row_mask:0xf bank_mask:0xf
	v_mov_b32_dpp v37, v27 row_shr:1 row_mask:0xf bank_mask:0xf
	v_mov_b32_e32 v33, v27
	s_and_saveexec_b64 s[36:37], vcc
	s_cbranch_execz .LBB58_94
; %bb.93:
	v_and_b32_e32 v33, 1, v27
	v_and_b32_e32 v37, 1, v37
	v_cmp_eq_u32_e32 vcc, 1, v33
	v_mov_b32_e32 v33, 0
	v_cndmask_b32_e64 v37, v37, 1, vcc
	v_cmp_eq_u16_sdwa vcc, v27, v33 src0_sel:BYTE_0 src1_sel:DWORD
	v_cndmask_b32_e32 v33, 0, v36, vcc
	v_add_u32_e32 v26, v33, v26
	v_and_b32_e32 v33, 0xffff, v37
	s_movk_i32 s7, 0xff00
	v_and_or_b32 v33, v27, s7, v33
	v_mov_b32_e32 v27, v37
.LBB58_94:
	s_or_b64 exec, exec, s[36:37]
	v_mov_b32_dpp v36, v26 row_shr:2 row_mask:0xf bank_mask:0xf
	v_mov_b32_dpp v37, v33 row_shr:2 row_mask:0xf bank_mask:0xf
	v_cmp_lt_u32_e32 vcc, 1, v32
	s_and_saveexec_b64 s[36:37], vcc
; %bb.95:
	v_and_b32_e32 v27, 1, v33
	v_and_b32_e32 v32, 1, v37
	v_cmp_eq_u32_e32 vcc, 1, v27
	v_cndmask_b32_e64 v27, v32, 1, vcc
	v_mov_b32_e32 v32, 0
	v_cmp_eq_u32_sdwa vcc, v33, v32 src0_sel:BYTE_0 src1_sel:DWORD
	v_cndmask_b32_e32 v32, 0, v36, vcc
	v_add_u32_e32 v26, v32, v26
; %bb.96:
	s_or_b64 exec, exec, s[36:37]
	ds_write_b32 v31, v26
	ds_write_b8 v31, v27 offset:4
.LBB58_97:
	s_or_b64 exec, exec, s[30:31]
	v_cmp_gt_u32_e32 vcc, 64, v0
	v_cmp_lt_u32_e64 s[30:31], 63, v0
	v_mov_b32_e32 v42, 0
	v_mov_b32_e32 v43, 0
	s_waitcnt lgkmcnt(0)
	s_barrier
	s_and_saveexec_b64 s[36:37], s[30:31]
	s_cbranch_execz .LBB58_99
; %bb.98:
	v_lshl_add_u32 v26, v30, 3, -8
	ds_read_b32 v42, v26
	ds_read_u8 v43, v26 offset:4
	v_mov_b32_e32 v27, 0
	v_and_b32_e32 v30, 1, v29
	v_cmp_eq_u16_sdwa s[30:31], v29, v27 src0_sel:BYTE_0 src1_sel:DWORD
	s_waitcnt lgkmcnt(1)
	v_cndmask_b32_e64 v26, 0, v42, s[30:31]
	v_cmp_eq_u32_e64 s[30:31], 1, v30
	v_add_u32_e32 v28, v26, v28
	s_waitcnt lgkmcnt(0)
	v_cndmask_b32_e64 v29, v43, 1, s[30:31]
.LBB58_99:
	s_or_b64 exec, exec, s[36:37]
	v_and_b32_e32 v26, 0xff, v29
	v_add_u32_e32 v27, -1, v44
	v_and_b32_e32 v29, 64, v44
	v_cmp_lt_i32_e64 s[30:31], v27, v29
	v_cndmask_b32_e64 v27, v27, v44, s[30:31]
	v_lshlrev_b32_e32 v27, 2, v27
	ds_bpermute_b32 v45, v27, v28
	ds_bpermute_b32 v47, v27, v26
	v_cmp_eq_u32_e64 s[30:31], 0, v44
	s_and_saveexec_b64 s[44:45], vcc
	s_cbranch_execz .LBB58_118
; %bb.100:
	v_mov_b32_e32 v29, 0
	ds_read_b64 v[26:27], v29 offset:24
	s_waitcnt lgkmcnt(0)
	v_readfirstlane_b32 s7, v27
	s_and_saveexec_b64 s[36:37], s[30:31]
	s_cbranch_execz .LBB58_102
; %bb.101:
	s_add_i32 s46, s6, 64
	s_mov_b32 s47, 0
	s_lshl_b64 s[50:51], s[46:47], 4
	s_add_u32 s50, s40, s50
	s_addc_u32 s51, s41, s51
	s_and_b32 s53, s7, 0xff000000
	s_mov_b32 s52, s47
	s_and_b32 s55, s7, 0xff0000
	s_mov_b32 s54, s47
	s_or_b64 s[52:53], s[54:55], s[52:53]
	s_and_b32 s55, s7, 0xff00
	s_or_b64 s[52:53], s[52:53], s[54:55]
	s_and_b32 s55, s7, 0xff
	s_or_b64 s[46:47], s[52:53], s[54:55]
	v_mov_b32_e32 v27, s47
	v_mov_b32_e32 v28, 1
	v_pk_mov_b32 v[30:31], s[50:51], s[50:51] op_sel:[0,1]
	;;#ASMSTART
	global_store_dwordx4 v[30:31], v[26:29] off	
s_waitcnt vmcnt(0)
	;;#ASMEND
.LBB58_102:
	s_or_b64 exec, exec, s[36:37]
	v_xad_u32 v36, v44, -1, s6
	v_add_u32_e32 v28, 64, v36
	v_lshlrev_b64 v[30:31], 4, v[28:29]
	v_mov_b32_e32 v27, s41
	v_add_co_u32_e32 v40, vcc, s40, v30
	v_addc_co_u32_e32 v41, vcc, v27, v31, vcc
	;;#ASMSTART
	global_load_dwordx4 v[30:33], v[40:41] off glc	
s_waitcnt vmcnt(0)
	;;#ASMEND
	v_cmp_eq_u16_sdwa s[46:47], v32, v29 src0_sel:BYTE_0 src1_sel:DWORD
	s_and_saveexec_b64 s[36:37], s[46:47]
	s_cbranch_execz .LBB58_106
; %bb.103:
	s_mov_b64 s[46:47], 0
	v_mov_b32_e32 v27, 0
.LBB58_104:                             ; =>This Inner Loop Header: Depth=1
	;;#ASMSTART
	global_load_dwordx4 v[30:33], v[40:41] off glc	
s_waitcnt vmcnt(0)
	;;#ASMEND
	v_cmp_ne_u16_sdwa s[50:51], v32, v27 src0_sel:BYTE_0 src1_sel:DWORD
	s_or_b64 s[46:47], s[50:51], s[46:47]
	s_andn2_b64 exec, exec, s[46:47]
	s_cbranch_execnz .LBB58_104
; %bb.105:
	s_or_b64 exec, exec, s[46:47]
.LBB58_106:
	s_or_b64 exec, exec, s[36:37]
	v_mov_b32_e32 v27, 2
	v_cmp_eq_u16_sdwa s[36:37], v32, v27 src0_sel:BYTE_0 src1_sel:DWORD
	v_lshlrev_b64 v[28:29], v44, -1
	v_and_b32_e32 v33, s37, v29
	v_or_b32_e32 v33, 0x80000000, v33
	v_and_b32_e32 v37, s36, v28
	v_ffbl_b32_e32 v33, v33
	v_and_b32_e32 v58, 63, v44
	v_add_u32_e32 v33, 32, v33
	v_ffbl_b32_e32 v37, v37
	v_cmp_ne_u32_e32 vcc, 63, v58
	v_min_u32_e32 v33, v37, v33
	v_addc_co_u32_e32 v37, vcc, 0, v44, vcc
	v_and_b32_e32 v41, 0xff, v31
	v_lshlrev_b32_e32 v48, 2, v37
	ds_bpermute_b32 v37, v48, v41
	ds_bpermute_b32 v50, v48, v30
	s_mov_b32 s46, 0
	v_and_b32_e32 v31, 1, v31
	v_mov_b32_e32 v40, v30
	s_mov_b32 s47, 1
	s_waitcnt lgkmcnt(1)
	v_and_b32_e32 v37, 1, v37
	v_cmp_eq_u32_e32 vcc, 1, v31
	v_add_u32_e32 v49, 1, v44
	v_cndmask_b32_e64 v31, v37, 1, vcc
	v_cmp_gt_u64_e32 vcc, s[46:47], v[40:41]
	v_and_b32_e32 v37, 0xffff, v31
	s_waitcnt lgkmcnt(0)
	v_cndmask_b32_e32 v40, 0, v50, vcc
	v_cmp_gt_u32_e32 vcc, v49, v33
	v_cndmask_b32_e32 v31, v31, v41, vcc
	v_cndmask_b32_e64 v40, v40, 0, vcc
	v_cndmask_b32_e32 v37, v37, v41, vcc
	v_cmp_gt_u32_e32 vcc, 62, v58
	v_cndmask_b32_e64 v41, 0, 1, vcc
	v_lshlrev_b32_e32 v41, 1, v41
	v_add_lshl_u32 v50, v41, v44, 2
	ds_bpermute_b32 v41, v50, v37
	v_add_u32_e32 v30, v40, v30
	ds_bpermute_b32 v40, v50, v30
	v_and_b32_e32 v52, 1, v31
	v_cmp_eq_u32_e32 vcc, 1, v52
	s_waitcnt lgkmcnt(1)
	v_and_b32_e32 v41, 1, v41
	v_add_u32_e32 v51, 2, v44
	v_cndmask_b32_e64 v41, v41, 1, vcc
	v_cmp_eq_u16_e32 vcc, 0, v31
	v_and_b32_e32 v52, 0xffff, v41
	s_waitcnt lgkmcnt(0)
	v_cndmask_b32_e32 v40, 0, v40, vcc
	v_cmp_gt_u32_e32 vcc, v51, v33
	v_cndmask_b32_e32 v31, v41, v31, vcc
	v_cndmask_b32_e64 v40, v40, 0, vcc
	v_cndmask_b32_e32 v37, v52, v37, vcc
	v_cmp_gt_u32_e32 vcc, 60, v58
	v_cndmask_b32_e64 v41, 0, 1, vcc
	v_lshlrev_b32_e32 v41, 2, v41
	v_add_lshl_u32 v52, v41, v44, 2
	ds_bpermute_b32 v41, v52, v37
	v_add_u32_e32 v30, v40, v30
	ds_bpermute_b32 v40, v52, v30
	v_and_b32_e32 v54, 1, v31
	v_cmp_eq_u32_e32 vcc, 1, v54
	s_waitcnt lgkmcnt(1)
	v_and_b32_e32 v41, 1, v41
	v_add_u32_e32 v53, 4, v44
	v_cndmask_b32_e64 v41, v41, 1, vcc
	v_cmp_eq_u16_e32 vcc, 0, v31
	;; [unrolled: 21-line block ×3, first 2 shown]
	v_and_b32_e32 v56, 0xffff, v41
	s_waitcnt lgkmcnt(0)
	v_cndmask_b32_e32 v40, 0, v40, vcc
	v_cmp_gt_u32_e32 vcc, v55, v33
	v_cndmask_b32_e32 v31, v41, v31, vcc
	v_cndmask_b32_e64 v40, v40, 0, vcc
	v_cndmask_b32_e32 v41, v56, v37, vcc
	v_cmp_gt_u32_e32 vcc, 48, v58
	v_cndmask_b32_e64 v37, 0, 1, vcc
	v_lshlrev_b32_e32 v37, 4, v37
	v_add_lshl_u32 v56, v37, v44, 2
	ds_bpermute_b32 v37, v56, v41
	v_add_u32_e32 v30, v40, v30
	ds_bpermute_b32 v40, v56, v30
	v_and_b32_e32 v59, 1, v31
	v_cmp_eq_u32_e32 vcc, 1, v59
	s_waitcnt lgkmcnt(1)
	v_and_b32_e32 v37, 1, v37
	v_cndmask_b32_e64 v59, v37, 1, vcc
	v_mov_b32_e32 v37, 0
	v_add_u32_e32 v57, 16, v44
	v_cmp_eq_u16_sdwa vcc, v31, v37 src0_sel:BYTE_0 src1_sel:DWORD
	s_waitcnt lgkmcnt(0)
	v_cndmask_b32_e32 v40, 0, v40, vcc
	v_cmp_gt_u32_e32 vcc, v57, v33
	v_cndmask_b32_e64 v40, v40, 0, vcc
	v_cmp_gt_u32_e64 s[36:37], 32, v58
	v_add_u32_e32 v30, v40, v30
	v_cndmask_b32_e64 v40, 0, 1, s[36:37]
	v_and_b32_e32 v60, 0xffff, v59
	v_lshlrev_b32_e32 v40, 5, v40
	v_cndmask_b32_e32 v31, v59, v31, vcc
	v_add_lshl_u32 v59, v40, v44, 2
	v_cndmask_b32_e32 v41, v60, v41, vcc
	ds_bpermute_b32 v40, v59, v30
	ds_bpermute_b32 v41, v59, v41
	v_add_u32_e32 v60, 32, v44
	v_cmp_eq_u16_sdwa vcc, v31, v37 src0_sel:BYTE_0 src1_sel:DWORD
	v_and_b32_e32 v44, 1, v31
	s_waitcnt lgkmcnt(1)
	v_cndmask_b32_e32 v40, 0, v40, vcc
	s_waitcnt lgkmcnt(0)
	v_and_b32_e32 v41, 1, v41
	v_cmp_eq_u32_e32 vcc, 1, v44
	v_cndmask_b32_e64 v41, v41, 1, vcc
	v_cmp_gt_u32_e32 vcc, v60, v33
	v_cndmask_b32_e64 v33, v40, 0, vcc
	v_cndmask_b32_e32 v31, v41, v31, vcc
	v_add_u32_e32 v30, v33, v30
	s_branch .LBB58_108
.LBB58_107:                             ;   in Loop: Header=BB58_108 Depth=1
	s_or_b64 exec, exec, s[36:37]
	v_cmp_eq_u16_sdwa s[36:37], v32, v27 src0_sel:BYTE_0 src1_sel:DWORD
	v_and_b32_e32 v33, s37, v29
	v_and_b32_e32 v41, 0xff, v31
	v_or_b32_e32 v33, 0x80000000, v33
	v_and_b32_e32 v61, s36, v28
	v_ffbl_b32_e32 v33, v33
	ds_bpermute_b32 v62, v48, v41
	v_add_u32_e32 v33, 32, v33
	v_ffbl_b32_e32 v61, v61
	v_min_u32_e32 v33, v61, v33
	ds_bpermute_b32 v61, v48, v30
	v_and_b32_e32 v31, 1, v31
	v_mov_b32_e32 v40, v30
	s_waitcnt lgkmcnt(1)
	v_and_b32_e32 v62, 1, v62
	v_cmp_eq_u32_e32 vcc, 1, v31
	v_cndmask_b32_e64 v31, v62, 1, vcc
	v_cmp_gt_u64_e32 vcc, s[46:47], v[40:41]
	v_and_b32_e32 v62, 0xffff, v31
	s_waitcnt lgkmcnt(0)
	v_cndmask_b32_e32 v40, 0, v61, vcc
	v_cmp_gt_u32_e32 vcc, v49, v33
	v_cndmask_b32_e32 v31, v31, v41, vcc
	v_cndmask_b32_e32 v41, v62, v41, vcc
	ds_bpermute_b32 v61, v50, v41
	v_cndmask_b32_e64 v40, v40, 0, vcc
	v_add_u32_e32 v30, v40, v30
	ds_bpermute_b32 v40, v50, v30
	v_and_b32_e32 v62, 1, v31
	s_waitcnt lgkmcnt(1)
	v_and_b32_e32 v61, 1, v61
	v_cmp_eq_u32_e32 vcc, 1, v62
	v_cndmask_b32_e64 v61, v61, 1, vcc
	v_cmp_eq_u16_e32 vcc, 0, v31
	v_and_b32_e32 v62, 0xffff, v61
	s_waitcnt lgkmcnt(0)
	v_cndmask_b32_e32 v40, 0, v40, vcc
	v_cmp_gt_u32_e32 vcc, v51, v33
	v_cndmask_b32_e32 v41, v62, v41, vcc
	v_cndmask_b32_e32 v31, v61, v31, vcc
	ds_bpermute_b32 v61, v52, v41
	v_cndmask_b32_e64 v40, v40, 0, vcc
	v_add_u32_e32 v30, v40, v30
	ds_bpermute_b32 v40, v52, v30
	v_and_b32_e32 v62, 1, v31
	s_waitcnt lgkmcnt(1)
	v_and_b32_e32 v61, 1, v61
	v_cmp_eq_u32_e32 vcc, 1, v62
	v_cndmask_b32_e64 v61, v61, 1, vcc
	v_cmp_eq_u16_e32 vcc, 0, v31
	;; [unrolled: 16-line block ×3, first 2 shown]
	v_and_b32_e32 v62, 0xffff, v61
	s_waitcnt lgkmcnt(0)
	v_cndmask_b32_e32 v40, 0, v40, vcc
	v_cmp_gt_u32_e32 vcc, v55, v33
	v_cndmask_b32_e32 v41, v62, v41, vcc
	v_cndmask_b32_e32 v31, v61, v31, vcc
	ds_bpermute_b32 v61, v56, v41
	v_cndmask_b32_e64 v40, v40, 0, vcc
	v_add_u32_e32 v30, v40, v30
	ds_bpermute_b32 v40, v56, v30
	v_and_b32_e32 v62, 1, v31
	s_waitcnt lgkmcnt(1)
	v_and_b32_e32 v61, 1, v61
	v_cmp_eq_u32_e32 vcc, 1, v62
	v_cndmask_b32_e64 v61, v61, 1, vcc
	v_cmp_eq_u16_sdwa vcc, v31, v37 src0_sel:BYTE_0 src1_sel:DWORD
	s_waitcnt lgkmcnt(0)
	v_cndmask_b32_e32 v40, 0, v40, vcc
	v_cmp_gt_u32_e32 vcc, v57, v33
	v_cndmask_b32_e64 v40, v40, 0, vcc
	v_cndmask_b32_e32 v31, v61, v31, vcc
	v_add_u32_e32 v30, v40, v30
	v_and_b32_e32 v61, 0xffff, v61
	ds_bpermute_b32 v40, v59, v30
	v_cndmask_b32_e32 v41, v61, v41, vcc
	ds_bpermute_b32 v41, v59, v41
	v_cmp_eq_u16_sdwa vcc, v31, v37 src0_sel:BYTE_0 src1_sel:DWORD
	v_and_b32_e32 v61, 1, v31
	s_waitcnt lgkmcnt(1)
	v_cndmask_b32_e32 v40, 0, v40, vcc
	v_cmp_eq_u32_e32 vcc, 1, v61
	s_waitcnt lgkmcnt(0)
	v_cndmask_b32_e64 v41, v41, 1, vcc
	v_cmp_gt_u32_e32 vcc, v60, v33
	v_cndmask_b32_e64 v33, v40, 0, vcc
	v_cndmask_b32_e32 v31, v41, v31, vcc
	v_add_u32_e32 v30, v33, v30
	v_cmp_eq_u16_sdwa vcc, v44, v37 src0_sel:BYTE_0 src1_sel:DWORD
	v_and_b32_e32 v33, 1, v44
	v_cndmask_b32_e32 v30, 0, v30, vcc
	v_and_b32_e32 v31, 1, v31
	v_cmp_eq_u32_e32 vcc, 1, v33
	v_subrev_u32_e32 v36, 64, v36
	v_add_u32_e32 v30, v30, v58
	v_cndmask_b32_e64 v31, v31, 1, vcc
.LBB58_108:                             ; =>This Loop Header: Depth=1
                                        ;     Child Loop BB58_111 Depth 2
	v_cmp_ne_u16_sdwa s[36:37], v32, v27 src0_sel:BYTE_0 src1_sel:DWORD
	v_mov_b32_e32 v44, v31
	v_cndmask_b32_e64 v31, 0, 1, s[36:37]
	;;#ASMSTART
	;;#ASMEND
	v_cmp_ne_u32_e32 vcc, 0, v31
	s_cmp_lg_u64 vcc, exec
	v_mov_b32_e32 v58, v30
	s_cbranch_scc1 .LBB58_113
; %bb.109:                              ;   in Loop: Header=BB58_108 Depth=1
	v_lshlrev_b64 v[30:31], 4, v[36:37]
	v_mov_b32_e32 v32, s41
	v_add_co_u32_e32 v40, vcc, s40, v30
	v_addc_co_u32_e32 v41, vcc, v32, v31, vcc
	;;#ASMSTART
	global_load_dwordx4 v[30:33], v[40:41] off glc	
s_waitcnt vmcnt(0)
	;;#ASMEND
	v_cmp_eq_u16_sdwa s[50:51], v32, v37 src0_sel:BYTE_0 src1_sel:DWORD
	s_and_saveexec_b64 s[36:37], s[50:51]
	s_cbranch_execz .LBB58_107
; %bb.110:                              ;   in Loop: Header=BB58_108 Depth=1
	s_mov_b64 s[50:51], 0
.LBB58_111:                             ;   Parent Loop BB58_108 Depth=1
                                        ; =>  This Inner Loop Header: Depth=2
	;;#ASMSTART
	global_load_dwordx4 v[30:33], v[40:41] off glc	
s_waitcnt vmcnt(0)
	;;#ASMEND
	v_cmp_ne_u16_sdwa s[52:53], v32, v37 src0_sel:BYTE_0 src1_sel:DWORD
	s_or_b64 s[50:51], s[52:53], s[50:51]
	s_andn2_b64 exec, exec, s[50:51]
	s_cbranch_execnz .LBB58_111
; %bb.112:                              ;   in Loop: Header=BB58_108 Depth=1
	s_or_b64 exec, exec, s[50:51]
	s_branch .LBB58_107
.LBB58_113:                             ;   in Loop: Header=BB58_108 Depth=1
                                        ; implicit-def: $vgpr31
                                        ; implicit-def: $vgpr30
                                        ; implicit-def: $vgpr32
	s_cbranch_execz .LBB58_108
; %bb.114:
	s_and_saveexec_b64 s[36:37], s[30:31]
	s_cbranch_execz .LBB58_116
; %bb.115:
	s_and_b32 s43, s7, 0xff
	s_cmp_eq_u32 s43, 0
	s_cselect_b64 vcc, -1, 0
	s_bitcmp1_b32 s7, 0
	s_mov_b32 s47, 0
	s_cselect_b64 s[50:51], -1, 0
	s_add_i32 s46, s6, 64
	s_lshl_b64 s[6:7], s[46:47], 4
	v_cndmask_b32_e32 v27, 0, v58, vcc
	s_add_u32 s6, s40, s6
	v_add_u32_e32 v26, v27, v26
	v_and_b32_e32 v27, 1, v44
	s_addc_u32 s7, s41, s7
	v_mov_b32_e32 v29, 0
	v_cndmask_b32_e64 v27, v27, 1, s[50:51]
	v_mov_b32_e32 v28, 2
	v_pk_mov_b32 v[30:31], s[6:7], s[6:7] op_sel:[0,1]
	;;#ASMSTART
	global_store_dwordx4 v[30:31], v[26:29] off	
s_waitcnt vmcnt(0)
	;;#ASMEND
.LBB58_116:
	s_or_b64 exec, exec, s[36:37]
	v_cmp_eq_u32_e32 vcc, 0, v0
	s_and_b64 exec, exec, vcc
	s_cbranch_execz .LBB58_118
; %bb.117:
	v_mov_b32_e32 v26, 0
	ds_write_b32 v26, v58 offset:24
	ds_write_b8 v26, v44 offset:28
.LBB58_118:
	s_or_b64 exec, exec, s[44:45]
	s_mov_b32 s6, 0
	v_mov_b32_e32 v28, 0
	s_mov_b32 s7, 1
	s_waitcnt lgkmcnt(0)
	v_cndmask_b32_e64 v26, v47, v43, s[30:31]
	v_cndmask_b32_e64 v27, v45, v42, s[30:31]
	s_barrier
	ds_read_b32 v29, v28 offset:24
	v_cmp_gt_u64_e32 vcc, s[6:7], v[38:39]
	v_and_b32_e32 v30, 1, v39
	v_cndmask_b32_e32 v27, 0, v27, vcc
	v_and_b32_e32 v26, 1, v26
	v_cmp_eq_u32_e32 vcc, 1, v30
	v_cndmask_b32_e64 v26, v26, 1, vcc
	v_cmp_eq_u32_e32 vcc, 0, v0
	v_cndmask_b32_e32 v26, v26, v39, vcc
	v_cndmask_b32_e64 v27, v27, 0, vcc
	v_cmp_eq_u16_sdwa vcc, v26, v28 src0_sel:BYTE_0 src1_sel:DWORD
	s_waitcnt lgkmcnt(0)
	v_cndmask_b32_e32 v26, 0, v29, vcc
	v_add3_u32 v42, v27, v38, v26
	v_cndmask_b32_e64 v26, 0, v42, s[2:3]
	v_add_u32_e32 v26, v26, v2
	v_cndmask_b32_e64 v27, 0, v26, s[34:35]
	v_add_u32_e32 v27, v27, v4
	;; [unrolled: 2-line block ×13, first 2 shown]
	s_branch .LBB58_157
.LBB58_119:
	s_or_b64 exec, exec, s[46:47]
                                        ; implicit-def: $vgpr5
	s_and_saveexec_b64 s[2:3], s[34:35]
	s_cbranch_execz .LBB58_33
.LBB58_120:
	global_load_sshort v5, v[2:3], off offset:512
	s_or_b64 exec, exec, s[2:3]
                                        ; implicit-def: $vgpr6
	s_and_saveexec_b64 s[2:3], s[8:9]
	s_cbranch_execnz .LBB58_34
.LBB58_121:
	s_or_b64 exec, exec, s[2:3]
                                        ; implicit-def: $vgpr7
	s_and_saveexec_b64 s[2:3], s[10:11]
	s_cbranch_execz .LBB58_35
.LBB58_122:
	global_load_sshort v7, v[2:3], off offset:1536
	s_or_b64 exec, exec, s[2:3]
                                        ; implicit-def: $vgpr8
	s_and_saveexec_b64 s[2:3], s[12:13]
	s_cbranch_execnz .LBB58_36
.LBB58_123:
	s_or_b64 exec, exec, s[2:3]
                                        ; implicit-def: $vgpr9
	s_and_saveexec_b64 s[2:3], s[14:15]
	s_cbranch_execz .LBB58_37
.LBB58_124:
	global_load_sshort v9, v[2:3], off offset:2560
	s_or_b64 exec, exec, s[2:3]
                                        ; implicit-def: $vgpr10
	s_and_saveexec_b64 s[2:3], s[16:17]
	s_cbranch_execnz .LBB58_38
.LBB58_125:
	s_or_b64 exec, exec, s[2:3]
                                        ; implicit-def: $vgpr11
	s_and_saveexec_b64 s[2:3], s[18:19]
	s_cbranch_execz .LBB58_39
.LBB58_126:
	global_load_sshort v11, v[2:3], off offset:3584
	s_or_b64 exec, exec, s[2:3]
                                        ; implicit-def: $vgpr12
	s_and_saveexec_b64 s[2:3], s[20:21]
	s_cbranch_execnz .LBB58_40
.LBB58_127:
	s_or_b64 exec, exec, s[2:3]
                                        ; implicit-def: $vgpr13
	s_and_saveexec_b64 s[2:3], s[22:23]
	s_cbranch_execz .LBB58_41
.LBB58_128:
	v_add_co_u32_e32 v14, vcc, 0x1000, v2
	v_addc_co_u32_e32 v15, vcc, 0, v3, vcc
	global_load_sshort v13, v[14:15], off offset:512
	s_or_b64 exec, exec, s[2:3]
                                        ; implicit-def: $vgpr14
	s_and_saveexec_b64 s[2:3], s[24:25]
	s_cbranch_execnz .LBB58_42
.LBB58_129:
	s_or_b64 exec, exec, s[2:3]
                                        ; implicit-def: $vgpr15
	s_and_saveexec_b64 s[2:3], s[26:27]
	s_cbranch_execz .LBB58_43
.LBB58_130:
	v_add_co_u32_e32 v16, vcc, 0x1000, v2
	v_addc_co_u32_e32 v17, vcc, 0, v3, vcc
	global_load_sshort v15, v[16:17], off offset:1536
	s_or_b64 exec, exec, s[2:3]
                                        ; implicit-def: $vgpr16
	s_and_saveexec_b64 s[2:3], s[28:29]
	s_cbranch_execz .LBB58_45
	s_branch .LBB58_44
.LBB58_131:
                                        ; implicit-def: $vgpr42_vgpr43
                                        ; implicit-def: $vgpr44
                                        ; implicit-def: $vgpr40_vgpr41
                                        ; implicit-def: $vgpr36_vgpr37
                                        ; implicit-def: $vgpr32_vgpr33
                                        ; implicit-def: $vgpr30_vgpr31
                                        ; implicit-def: $vgpr28_vgpr29
                                        ; implicit-def: $vgpr26_vgpr27
	s_cbranch_execz .LBB58_157
; %bb.132:
	s_cmp_lg_u64 s[48:49], 0
	s_cselect_b64 s[6:7], -1, 0
	v_cmp_eq_u32_e32 vcc, 0, v0
	s_mov_b32 s30, 0
	v_cmp_ne_u32_e64 s[2:3], 0, v0
	s_and_b64 s[6:7], vcc, s[6:7]
	s_and_saveexec_b64 s[8:9], s[6:7]
	s_cbranch_execz .LBB58_134
; %bb.133:
	v_mov_b32_e32 v26, 0
	global_load_ubyte v28, v26, s[48:49] offset:4
	s_load_dword s6, s[48:49], 0x0
	s_mov_b32 s31, 1
	v_and_b32_e32 v27, 1, v39
	s_waitcnt lgkmcnt(0)
	v_mov_b32_e32 v29, s6
	v_cmp_gt_u64_e64 s[6:7], s[30:31], v[38:39]
	v_cndmask_b32_e64 v29, 0, v29, s[6:7]
	v_cmp_eq_u64_e64 s[6:7], 0, v[26:27]
	v_add_u32_e32 v38, v29, v38
	s_waitcnt vmcnt(0)
	v_and_b32_e32 v28, 1, v28
	v_cndmask_b32_e64 v39, 1, v28, s[6:7]
.LBB58_134:
	s_or_b64 exec, exec, s[8:9]
	s_mov_b32 s31, 1
	v_cmp_gt_u64_e64 s[6:7], s[30:31], v[2:3]
	v_cndmask_b32_e64 v26, 0, v38, s[6:7]
	v_add_u32_e32 v26, v26, v2
	v_cmp_gt_u64_e64 s[8:9], s[30:31], v[4:5]
	v_cndmask_b32_e64 v27, 0, v26, s[8:9]
	v_add_u32_e32 v27, v27, v4
	;; [unrolled: 3-line block ×11, first 2 shown]
	v_cmp_gt_u64_e64 s[28:29], s[30:31], v[24:25]
	v_mov_b32_e32 v42, 0
	v_cndmask_b32_e64 v41, 0, v40, s[28:29]
	v_or3_b32 v7, v23, v15, v7
	v_add_u32_e32 v41, v41, v24
	v_cmp_gt_u64_e64 s[30:31], s[30:31], v[34:35]
	v_or3_b32 v9, v25, v17, v9
	v_and_b32_e32 v53, 1, v7
	v_mov_b32_e32 v52, v42
	v_cndmask_b32_e64 v43, 0, v41, s[30:31]
	v_or3_b32 v3, v19, v11, v3
	v_and_b32_e32 v51, 1, v9
	v_mov_b32_e32 v50, v42
	v_cmp_ne_u64_e64 s[36:37], 0, v[52:53]
	v_add_u32_e32 v44, v43, v34
	v_or3_b32 v5, v21, v13, v5
	v_and_b32_e32 v43, 1, v3
	v_cndmask_b32_e64 v3, 0, 1, s[36:37]
	v_cmp_ne_u64_e64 s[36:37], 0, v[50:51]
	v_and_b32_e32 v49, 1, v5
	v_mov_b32_e32 v48, v42
	v_cndmask_b32_e64 v5, 0, 1, s[36:37]
	v_lshlrev_b16_e32 v3, 2, v3
	v_lshlrev_b16_e32 v5, 3, v5
	v_cmp_ne_u64_e64 s[36:37], 0, v[48:49]
	v_or_b32_e32 v3, v5, v3
	v_cndmask_b32_e64 v5, 0, 1, s[36:37]
	v_cmp_ne_u64_e64 s[36:37], 0, v[42:43]
	v_lshlrev_b16_e32 v5, 1, v5
	v_cndmask_b32_e64 v7, 0, 1, s[36:37]
	v_or_b32_e32 v5, v7, v5
	v_and_b32_e32 v5, 3, v5
	v_or_b32_e32 v3, v5, v3
	v_and_b32_e32 v35, 1, v35
	v_and_b32_e32 v3, 15, v3
	v_cmp_eq_u32_e64 s[34:35], 1, v35
	v_cmp_ne_u16_e64 s[36:37], 0, v3
	s_or_b64 s[34:35], s[34:35], s[36:37]
	v_cndmask_b32_e64 v5, v39, 1, s[34:35]
	v_and_b32_e32 v7, 0xff, v5
	v_mbcnt_hi_u32_b32 v1, -1, v1
	v_mov_b32_dpp v3, v44 row_shr:1 row_mask:0xf bank_mask:0xf
	v_mov_b32_dpp v9, v7 row_shr:1 row_mask:0xf bank_mask:0xf
	v_cmp_eq_u16_e64 s[34:35], 0, v7
	v_and_b32_e32 v13, 1, v5
	v_and_b32_e32 v11, 15, v1
	v_cndmask_b32_e64 v3, 0, v3, s[34:35]
	v_and_b32_e32 v9, 1, v9
	v_cmp_eq_u32_e64 s[34:35], 1, v13
	v_cndmask_b32_e64 v13, v9, 1, s[34:35]
	v_cmp_eq_u32_e64 s[34:35], 0, v11
	v_and_b32_e32 v9, 0xffff, v13
	v_cndmask_b32_e64 v3, v3, 0, s[34:35]
	v_add_u32_e32 v3, v44, v3
	v_cndmask_b32_e64 v7, v9, v7, s[34:35]
	v_cndmask_b32_e64 v5, v13, v5, s[34:35]
	v_mov_b32_dpp v15, v3 row_shr:2 row_mask:0xf bank_mask:0xf
	v_mov_b32_dpp v17, v7 row_shr:2 row_mask:0xf bank_mask:0xf
	v_cmp_lt_u32_e64 s[34:35], 1, v11
	v_mov_b32_e32 v9, v7
	s_and_saveexec_b64 s[36:37], s[34:35]
; %bb.135:
	v_and_b32_e32 v5, 1, v13
	v_and_b32_e32 v7, 1, v17
	v_cmp_eq_u32_e64 s[34:35], 1, v5
	v_cndmask_b32_e64 v5, v7, 1, s[34:35]
	v_cmp_eq_u16_e64 s[34:35], 0, v13
	v_cndmask_b32_e64 v7, 0, v15, s[34:35]
	v_and_b32_e32 v9, 0xffff, v5
	v_add_u32_e32 v3, v3, v7
	v_mov_b32_e32 v7, v5
; %bb.136:
	s_or_b64 exec, exec, s[36:37]
	v_mov_b32_dpp v13, v3 row_shr:4 row_mask:0xf bank_mask:0xf
	v_mov_b32_dpp v15, v9 row_shr:4 row_mask:0xf bank_mask:0xf
	v_cmp_lt_u32_e64 s[34:35], 3, v11
	s_and_saveexec_b64 s[36:37], s[34:35]
; %bb.137:
	v_and_b32_e32 v5, 1, v7
	v_and_b32_e32 v9, 1, v15
	v_cmp_eq_u32_e64 s[34:35], 1, v5
	v_cndmask_b32_e64 v5, v9, 1, s[34:35]
	v_cmp_eq_u16_e64 s[34:35], 0, v7
	v_cndmask_b32_e64 v7, 0, v13, s[34:35]
	v_and_b32_e32 v9, 0xffff, v5
	v_add_u32_e32 v3, v7, v3
	v_mov_b32_e32 v7, v5
; %bb.138:
	s_or_b64 exec, exec, s[36:37]
	v_mov_b32_dpp v13, v3 row_shr:8 row_mask:0xf bank_mask:0xf
	v_mov_b32_dpp v15, v9 row_shr:8 row_mask:0xf bank_mask:0xf
	v_cmp_lt_u32_e64 s[34:35], 7, v11
	s_and_saveexec_b64 s[36:37], s[34:35]
; %bb.139:
	v_and_b32_e32 v5, 1, v7
	v_and_b32_e32 v9, 1, v15
	v_cmp_eq_u32_e64 s[34:35], 1, v5
	v_cndmask_b32_e64 v5, v9, 1, s[34:35]
	v_cmp_eq_u16_e64 s[34:35], 0, v7
	v_cndmask_b32_e64 v7, 0, v13, s[34:35]
	v_and_b32_e32 v9, 0xffff, v5
	v_add_u32_e32 v3, v7, v3
	v_mov_b32_e32 v7, v5
; %bb.140:
	s_or_b64 exec, exec, s[36:37]
	v_and_b32_e32 v15, 16, v1
	v_mov_b32_dpp v11, v3 row_bcast:15 row_mask:0xf bank_mask:0xf
	v_mov_b32_dpp v13, v9 row_bcast:15 row_mask:0xf bank_mask:0xf
	v_cmp_ne_u32_e64 s[34:35], 0, v15
	s_and_saveexec_b64 s[36:37], s[34:35]
; %bb.141:
	v_and_b32_e32 v5, 1, v7
	v_and_b32_e32 v9, 1, v13
	v_cmp_eq_u32_e64 s[34:35], 1, v5
	v_cndmask_b32_e64 v5, v9, 1, s[34:35]
	v_cmp_eq_u16_e64 s[34:35], 0, v7
	v_cndmask_b32_e64 v7, 0, v11, s[34:35]
	v_and_b32_e32 v9, 0xffff, v5
	v_add_u32_e32 v3, v7, v3
	v_mov_b32_e32 v7, v5
; %bb.142:
	s_or_b64 exec, exec, s[36:37]
	v_mov_b32_e32 v13, 0
	v_mov_b32_dpp v9, v9 row_bcast:31 row_mask:0xf bank_mask:0xf
	v_cmp_eq_u16_sdwa s[36:37], v7, v13 src0_sel:BYTE_0 src1_sel:DWORD
	v_and_b32_e32 v7, 1, v7
	v_and_b32_e32 v9, 1, v9
	v_cmp_eq_u32_e64 s[34:35], 1, v7
	v_cndmask_b32_e64 v7, v9, 1, s[34:35]
	v_cmp_lt_u32_e64 s[34:35], 31, v1
	v_mov_b32_dpp v11, v3 row_bcast:31 row_mask:0xf bank_mask:0xf
	v_cndmask_b32_e64 v5, v5, v7, s[34:35]
	s_and_b64 s[34:35], s[34:35], s[36:37]
	v_cndmask_b32_e64 v7, 0, v11, s[34:35]
	v_or_b32_e32 v9, 63, v0
	v_add_u32_e32 v3, v7, v3
	v_lshrrev_b32_e32 v7, 6, v0
	v_cmp_eq_u32_e64 s[34:35], v9, v0
	s_and_saveexec_b64 s[36:37], s[34:35]
	s_cbranch_execz .LBB58_144
; %bb.143:
	v_lshlrev_b32_e32 v9, 3, v7
	ds_write_b32 v9, v3
	ds_write_b8 v9, v5 offset:4
.LBB58_144:
	s_or_b64 exec, exec, s[36:37]
	v_cmp_gt_u32_e64 s[34:35], 4, v0
	s_waitcnt lgkmcnt(0)
	s_barrier
	s_and_saveexec_b64 s[36:37], s[34:35]
	s_cbranch_execz .LBB58_150
; %bb.145:
	v_lshlrev_b32_e32 v9, 3, v0
	ds_read_b64 v[42:43], v9
	v_and_b32_e32 v11, 3, v1
	v_cmp_ne_u32_e64 s[34:35], 0, v11
	s_waitcnt lgkmcnt(0)
	v_mov_b32_dpp v15, v42 row_shr:1 row_mask:0xf bank_mask:0xf
	v_mov_b32_dpp v17, v43 row_shr:1 row_mask:0xf bank_mask:0xf
	v_mov_b32_e32 v13, v43
	s_and_saveexec_b64 s[44:45], s[34:35]
	s_cbranch_execz .LBB58_147
; %bb.146:
	v_and_b32_e32 v13, 1, v43
	v_and_b32_e32 v17, 1, v17
	v_cmp_eq_u32_e64 s[34:35], 1, v13
	v_mov_b32_e32 v13, 0
	v_cndmask_b32_e64 v17, v17, 1, s[34:35]
	v_cmp_eq_u16_sdwa s[34:35], v43, v13 src0_sel:BYTE_0 src1_sel:DWORD
	v_cndmask_b32_e64 v13, 0, v15, s[34:35]
	v_add_u32_e32 v42, v13, v42
	v_and_b32_e32 v13, 0xffff, v17
	s_movk_i32 s34, 0xff00
	v_and_or_b32 v13, v43, s34, v13
	v_mov_b32_e32 v43, v17
.LBB58_147:
	s_or_b64 exec, exec, s[44:45]
	v_mov_b32_dpp v15, v42 row_shr:2 row_mask:0xf bank_mask:0xf
	v_mov_b32_dpp v17, v13 row_shr:2 row_mask:0xf bank_mask:0xf
	v_cmp_lt_u32_e64 s[34:35], 1, v11
	s_and_saveexec_b64 s[44:45], s[34:35]
; %bb.148:
	v_and_b32_e32 v11, 1, v13
	v_and_b32_e32 v17, 1, v17
	v_cmp_eq_u32_e64 s[34:35], 1, v11
	v_mov_b32_e32 v11, 0
	v_cndmask_b32_e64 v43, v17, 1, s[34:35]
	v_cmp_eq_u32_sdwa s[34:35], v13, v11 src0_sel:BYTE_0 src1_sel:DWORD
	v_cndmask_b32_e64 v11, 0, v15, s[34:35]
	v_add_u32_e32 v42, v11, v42
; %bb.149:
	s_or_b64 exec, exec, s[44:45]
	ds_write_b32 v9, v42
	ds_write_b8 v9, v43 offset:4
.LBB58_150:
	s_or_b64 exec, exec, s[36:37]
	v_cmp_lt_u32_e64 s[34:35], 63, v0
	v_mov_b32_e32 v9, 0
	s_waitcnt lgkmcnt(0)
	s_barrier
	s_and_saveexec_b64 s[36:37], s[34:35]
	s_cbranch_execz .LBB58_152
; %bb.151:
	v_lshl_add_u32 v7, v7, 3, -8
	ds_read_b32 v9, v7
	v_mov_b32_e32 v7, 0
	v_cmp_eq_u16_sdwa s[34:35], v5, v7 src0_sel:BYTE_0 src1_sel:DWORD
	s_waitcnt lgkmcnt(0)
	v_cndmask_b32_e64 v5, 0, v9, s[34:35]
	v_add_u32_e32 v3, v5, v3
.LBB58_152:
	s_or_b64 exec, exec, s[36:37]
	v_add_u32_e32 v5, -1, v1
	v_and_b32_e32 v7, 64, v1
	v_cmp_lt_i32_e64 s[34:35], v5, v7
	v_cndmask_b32_e64 v5, v5, v1, s[34:35]
	v_lshlrev_b32_e32 v5, 2, v5
	ds_bpermute_b32 v3, v5, v3
	s_and_saveexec_b64 s[34:35], s[2:3]
	s_cbranch_execz .LBB58_154
; %bb.153:
	s_mov_b32 s36, 0
	s_mov_b32 s37, 1
	v_cmp_eq_u32_e64 s[2:3], 0, v1
	s_waitcnt lgkmcnt(0)
	v_cndmask_b32_e64 v1, v3, v9, s[2:3]
	v_cmp_gt_u64_e64 s[2:3], s[36:37], v[38:39]
	v_cndmask_b32_e64 v1, 0, v1, s[2:3]
	v_add_u32_e32 v38, v1, v38
	v_cndmask_b32_e64 v1, 0, v38, s[6:7]
	v_add_u32_e32 v26, v1, v2
	;; [unrolled: 2-line block ×14, first 2 shown]
.LBB58_154:
	s_or_b64 exec, exec, s[34:35]
	s_and_saveexec_b64 s[2:3], vcc
	s_cbranch_execz .LBB58_156
; %bb.155:
	v_mov_b32_e32 v5, 0
	ds_read_b32 v2, v5 offset:24
	s_waitcnt lgkmcnt(1)
	ds_read_u8 v3, v5 offset:28
	s_add_u32 s6, s40, 0x400
	s_addc_u32 s7, s41, 0
	v_mov_b32_e32 v4, 2
	v_pk_mov_b32 v[6:7], s[6:7], s[6:7] op_sel:[0,1]
	s_waitcnt lgkmcnt(0)
	;;#ASMSTART
	global_store_dwordx4 v[6:7], v[2:5] off	
s_waitcnt vmcnt(0)
	;;#ASMEND
.LBB58_156:
	s_or_b64 exec, exec, s[2:3]
	v_pk_mov_b32 v[42:43], v[38:39], v[38:39] op_sel:[0,1]
.LBB58_157:
	s_load_dwordx2 s[2:3], s[4:5], 0x18
	v_mul_u32_u24_e32 v2, 14, v0
	s_waitcnt lgkmcnt(0)
	s_add_u32 s2, s2, s38
	s_addc_u32 s3, s3, s39
	s_and_b64 vcc, exec, s[0:1]
	s_cbranch_vccz .LBB58_185
; %bb.158:
	v_lshlrev_b32_e32 v18, 2, v2
	s_movk_i32 s0, 0xffcc
	v_mad_i32_i24 v3, v0, s0, v18
	s_barrier
	ds_write2_b32 v18, v26, v27 offset0:1 offset1:2
	ds_write2_b32 v18, v28, v29 offset0:3 offset1:4
	ds_write2_b32 v18, v30, v31 offset0:5 offset1:6
	ds_write2_b32 v18, v32, v33 offset0:7 offset1:8
	ds_write2_b32 v18, v36, v37 offset0:9 offset1:10
	ds_write2_b32 v18, v40, v41 offset0:11 offset1:12
	ds_write2_b32 v18, v42, v44 offset1:13
	s_waitcnt lgkmcnt(0)
	s_barrier
	ds_read2st64_b32 v[16:17], v3 offset0:4 offset1:8
	ds_read2st64_b32 v[14:15], v3 offset0:12 offset1:16
	;; [unrolled: 1-line block ×6, first 2 shown]
	ds_read_b32 v3, v3 offset:13312
	v_mov_b32_e32 v5, s3
	v_add_co_u32_e32 v4, vcc, s2, v46
	s_add_i32 s33, s33, s42
	v_addc_co_u32_e32 v5, vcc, 0, v5, vcc
	v_mov_b32_e32 v1, 0
	v_cmp_gt_u32_e32 vcc, s33, v0
	s_and_saveexec_b64 s[0:1], vcc
	s_cbranch_execz .LBB58_160
; %bb.159:
	v_mul_i32_i24_e32 v19, 0xffffffcc, v0
	v_add_u32_e32 v18, v18, v19
	ds_read_b32 v18, v18
	s_waitcnt lgkmcnt(0)
	v_cvt_f32_i32_e32 v18, v18
	global_store_dword v[4:5], v18, off
.LBB58_160:
	s_or_b64 exec, exec, s[0:1]
	v_or_b32_e32 v18, 0x100, v0
	v_cmp_gt_u32_e32 vcc, s33, v18
	s_and_saveexec_b64 s[0:1], vcc
	s_cbranch_execz .LBB58_162
; %bb.161:
	s_waitcnt lgkmcnt(6)
	v_cvt_f32_i32_e32 v16, v16
	global_store_dword v[4:5], v16, off offset:1024
.LBB58_162:
	s_or_b64 exec, exec, s[0:1]
	s_waitcnt lgkmcnt(6)
	v_or_b32_e32 v16, 0x200, v0
	v_cmp_gt_u32_e32 vcc, s33, v16
	s_and_saveexec_b64 s[0:1], vcc
	s_cbranch_execz .LBB58_164
; %bb.163:
	v_cvt_f32_i32_e32 v16, v17
	global_store_dword v[4:5], v16, off offset:2048
.LBB58_164:
	s_or_b64 exec, exec, s[0:1]
	v_or_b32_e32 v16, 0x300, v0
	v_cmp_gt_u32_e32 vcc, s33, v16
	s_and_saveexec_b64 s[0:1], vcc
	s_cbranch_execz .LBB58_166
; %bb.165:
	s_waitcnt lgkmcnt(5)
	v_cvt_f32_i32_e32 v14, v14
	global_store_dword v[4:5], v14, off offset:3072
.LBB58_166:
	s_or_b64 exec, exec, s[0:1]
	s_waitcnt lgkmcnt(5)
	v_or_b32_e32 v14, 0x400, v0
	v_cmp_gt_u32_e32 vcc, s33, v14
	s_and_saveexec_b64 s[0:1], vcc
	s_cbranch_execz .LBB58_168
; %bb.167:
	v_cvt_f32_i32_e32 v16, v15
	v_add_co_u32_e32 v14, vcc, 0x1000, v4
	v_addc_co_u32_e32 v15, vcc, 0, v5, vcc
	global_store_dword v[14:15], v16, off
.LBB58_168:
	s_or_b64 exec, exec, s[0:1]
	v_or_b32_e32 v14, 0x500, v0
	v_cmp_gt_u32_e32 vcc, s33, v14
	s_and_saveexec_b64 s[0:1], vcc
	s_cbranch_execz .LBB58_170
; %bb.169:
	s_waitcnt lgkmcnt(4)
	v_cvt_f32_i32_e32 v12, v12
	v_add_co_u32_e32 v14, vcc, 0x1000, v4
	v_addc_co_u32_e32 v15, vcc, 0, v5, vcc
	global_store_dword v[14:15], v12, off offset:1024
.LBB58_170:
	s_or_b64 exec, exec, s[0:1]
	s_waitcnt lgkmcnt(4)
	v_or_b32_e32 v12, 0x600, v0
	v_cmp_gt_u32_e32 vcc, s33, v12
	s_and_saveexec_b64 s[0:1], vcc
	s_cbranch_execz .LBB58_172
; %bb.171:
	v_cvt_f32_i32_e32 v14, v13
	v_add_co_u32_e32 v12, vcc, 0x1000, v4
	v_addc_co_u32_e32 v13, vcc, 0, v5, vcc
	global_store_dword v[12:13], v14, off offset:2048
.LBB58_172:
	s_or_b64 exec, exec, s[0:1]
	v_or_b32_e32 v12, 0x700, v0
	v_cmp_gt_u32_e32 vcc, s33, v12
	s_and_saveexec_b64 s[0:1], vcc
	s_cbranch_execz .LBB58_174
; %bb.173:
	s_waitcnt lgkmcnt(3)
	v_cvt_f32_i32_e32 v10, v10
	v_add_co_u32_e32 v12, vcc, 0x1000, v4
	v_addc_co_u32_e32 v13, vcc, 0, v5, vcc
	global_store_dword v[12:13], v10, off offset:3072
.LBB58_174:
	s_or_b64 exec, exec, s[0:1]
	s_waitcnt lgkmcnt(3)
	v_or_b32_e32 v10, 0x800, v0
	v_cmp_gt_u32_e32 vcc, s33, v10
	s_and_saveexec_b64 s[0:1], vcc
	s_cbranch_execz .LBB58_176
; %bb.175:
	v_cvt_f32_i32_e32 v12, v11
	v_add_co_u32_e32 v10, vcc, 0x2000, v4
	v_addc_co_u32_e32 v11, vcc, 0, v5, vcc
	global_store_dword v[10:11], v12, off
.LBB58_176:
	s_or_b64 exec, exec, s[0:1]
	v_or_b32_e32 v10, 0x900, v0
	v_cmp_gt_u32_e32 vcc, s33, v10
	s_and_saveexec_b64 s[0:1], vcc
	s_cbranch_execz .LBB58_178
; %bb.177:
	s_waitcnt lgkmcnt(2)
	v_cvt_f32_i32_e32 v8, v8
	v_add_co_u32_e32 v10, vcc, 0x2000, v4
	v_addc_co_u32_e32 v11, vcc, 0, v5, vcc
	global_store_dword v[10:11], v8, off offset:1024
.LBB58_178:
	s_or_b64 exec, exec, s[0:1]
	s_waitcnt lgkmcnt(2)
	v_or_b32_e32 v8, 0xa00, v0
	v_cmp_gt_u32_e32 vcc, s33, v8
	s_and_saveexec_b64 s[0:1], vcc
	s_cbranch_execz .LBB58_180
; %bb.179:
	v_cvt_f32_i32_e32 v10, v9
	v_add_co_u32_e32 v8, vcc, 0x2000, v4
	v_addc_co_u32_e32 v9, vcc, 0, v5, vcc
	global_store_dword v[8:9], v10, off offset:2048
.LBB58_180:
	s_or_b64 exec, exec, s[0:1]
	v_or_b32_e32 v8, 0xb00, v0
	v_cmp_gt_u32_e32 vcc, s33, v8
	s_and_saveexec_b64 s[0:1], vcc
	s_cbranch_execz .LBB58_182
; %bb.181:
	s_waitcnt lgkmcnt(1)
	v_cvt_f32_i32_e32 v6, v6
	v_add_co_u32_e32 v8, vcc, 0x2000, v4
	v_addc_co_u32_e32 v9, vcc, 0, v5, vcc
	global_store_dword v[8:9], v6, off offset:3072
.LBB58_182:
	s_or_b64 exec, exec, s[0:1]
	s_waitcnt lgkmcnt(1)
	v_or_b32_e32 v6, 0xc00, v0
	v_cmp_gt_u32_e32 vcc, s33, v6
	s_and_saveexec_b64 s[0:1], vcc
	s_cbranch_execz .LBB58_184
; %bb.183:
	v_cvt_f32_i32_e32 v6, v7
	v_add_co_u32_e32 v4, vcc, 0x3000, v4
	v_addc_co_u32_e32 v5, vcc, 0, v5, vcc
	global_store_dword v[4:5], v6, off
.LBB58_184:
	s_or_b64 exec, exec, s[0:1]
	v_or_b32_e32 v4, 0xd00, v0
	v_cmp_gt_u32_e64 s[0:1], s33, v4
	s_branch .LBB58_187
.LBB58_185:
	s_mov_b64 s[0:1], 0
                                        ; implicit-def: $vgpr3
	s_cbranch_execz .LBB58_187
; %bb.186:
	v_lshlrev_b32_e32 v2, 2, v2
	s_movk_i32 s4, 0xffcc
	s_waitcnt lgkmcnt(0)
	s_barrier
	ds_write2_b32 v2, v26, v27 offset0:1 offset1:2
	ds_write2_b32 v2, v28, v29 offset0:3 offset1:4
	;; [unrolled: 1-line block ×6, first 2 shown]
	ds_write2_b32 v2, v42, v44 offset1:13
	v_mad_i32_i24 v2, v0, s4, v2
	s_waitcnt lgkmcnt(0)
	s_barrier
	ds_read2st64_b32 v[4:5], v2 offset1:4
	ds_read2st64_b32 v[6:7], v2 offset0:8 offset1:12
	ds_read2st64_b32 v[8:9], v2 offset0:16 offset1:20
	;; [unrolled: 1-line block ×6, first 2 shown]
	s_waitcnt lgkmcnt(6)
	v_cvt_f32_i32_e32 v4, v4
	v_cvt_f32_i32_e32 v5, v5
	v_mov_b32_e32 v16, s3
	v_add_co_u32_e32 v17, vcc, s2, v46
	s_waitcnt lgkmcnt(5)
	v_cvt_f32_i32_e32 v6, v6
	v_addc_co_u32_e32 v16, vcc, 0, v16, vcc
	v_cvt_f32_i32_e32 v7, v7
	s_movk_i32 s4, 0x1000
	global_store_dword v46, v4, s[2:3]
	global_store_dword v46, v5, s[2:3] offset:1024
	global_store_dword v46, v6, s[2:3] offset:2048
	;; [unrolled: 1-line block ×3, first 2 shown]
	s_waitcnt lgkmcnt(4)
	v_cvt_f32_i32_e32 v8, v8
	v_add_co_u32_e32 v4, vcc, s4, v17
	v_addc_co_u32_e32 v5, vcc, 0, v16, vcc
	s_movk_i32 s4, 0x2000
	v_cvt_f32_i32_e32 v9, v9
	v_add_co_u32_e32 v6, vcc, s4, v17
	s_waitcnt lgkmcnt(3)
	v_cvt_f32_i32_e32 v10, v10
	v_addc_co_u32_e32 v7, vcc, 0, v16, vcc
	v_cvt_f32_i32_e32 v11, v11
	global_store_dword v[6:7], v8, off offset:-4096
	global_store_dword v[4:5], v9, off offset:1024
	global_store_dword v[4:5], v10, off offset:2048
	;; [unrolled: 1-line block ×3, first 2 shown]
	s_waitcnt lgkmcnt(2)
	v_cvt_f32_i32_e32 v4, v12
	v_cvt_f32_i32_e32 v5, v13
	s_waitcnt lgkmcnt(1)
	v_cvt_f32_i32_e32 v8, v14
	s_waitcnt lgkmcnt(0)
	v_cvt_f32_i32_e32 v2, v2
	v_cvt_f32_i32_e32 v9, v15
	global_store_dword v[6:7], v4, off
	global_store_dword v[6:7], v5, off offset:1024
	global_store_dword v[6:7], v8, off offset:2048
	;; [unrolled: 1-line block ×3, first 2 shown]
	v_add_co_u32_e32 v4, vcc, 0x3000, v17
	v_mov_b32_e32 v1, 0
	v_addc_co_u32_e32 v5, vcc, 0, v16, vcc
	s_or_b64 s[0:1], s[0:1], exec
	global_store_dword v[4:5], v2, off
.LBB58_187:
	s_and_saveexec_b64 s[4:5], s[0:1]
	s_cbranch_execz .LBB58_189
; %bb.188:
	v_lshlrev_b64 v[0:1], 2, v[0:1]
	v_mov_b32_e32 v2, s3
	v_add_co_u32_e32 v0, vcc, s2, v0
	v_addc_co_u32_e32 v1, vcc, v2, v1, vcc
	s_waitcnt lgkmcnt(0)
	v_cvt_f32_i32_e32 v2, v3
	v_add_co_u32_e32 v0, vcc, 0x3000, v0
	v_addc_co_u32_e32 v1, vcc, 0, v1, vcc
	global_store_dword v[0:1], v2, off offset:1024
	s_endpgm
.LBB58_189:
	s_endpgm
	.section	.rodata,"a",@progbits
	.p2align	6, 0x0
	.amdhsa_kernel _ZN7rocprim6detail25device_scan_by_key_kernelILNS0_25lookback_scan_determinismE0ELb0ENS0_26wrapped_scan_by_key_configINS_14default_configEiiEEPiN6hipcub22TransformInputIteratorIsNS7_6CastOpIsEEPslEEPfsNS7_8EqualityENS7_3SumENS0_19lookback_scan_stateINS_5tupleIJibEEELb0ELb1EEEiEEvT2_T3_T4_T5_T6_T7_T8_mmmPKNSH_IJT9_bEEE
		.amdhsa_group_segment_fixed_size 16384
		.amdhsa_private_segment_fixed_size 0
		.amdhsa_kernarg_size 80
		.amdhsa_user_sgpr_count 6
		.amdhsa_user_sgpr_private_segment_buffer 1
		.amdhsa_user_sgpr_dispatch_ptr 0
		.amdhsa_user_sgpr_queue_ptr 0
		.amdhsa_user_sgpr_kernarg_segment_ptr 1
		.amdhsa_user_sgpr_dispatch_id 0
		.amdhsa_user_sgpr_flat_scratch_init 0
		.amdhsa_user_sgpr_kernarg_preload_length 0
		.amdhsa_user_sgpr_kernarg_preload_offset 0
		.amdhsa_user_sgpr_private_segment_size 0
		.amdhsa_uses_dynamic_stack 0
		.amdhsa_system_sgpr_private_segment_wavefront_offset 0
		.amdhsa_system_sgpr_workgroup_id_x 1
		.amdhsa_system_sgpr_workgroup_id_y 0
		.amdhsa_system_sgpr_workgroup_id_z 0
		.amdhsa_system_sgpr_workgroup_info 0
		.amdhsa_system_vgpr_workitem_id 0
		.amdhsa_next_free_vgpr 63
		.amdhsa_next_free_sgpr 56
		.amdhsa_accum_offset 64
		.amdhsa_reserve_vcc 1
		.amdhsa_reserve_flat_scratch 0
		.amdhsa_float_round_mode_32 0
		.amdhsa_float_round_mode_16_64 0
		.amdhsa_float_denorm_mode_32 3
		.amdhsa_float_denorm_mode_16_64 3
		.amdhsa_dx10_clamp 1
		.amdhsa_ieee_mode 1
		.amdhsa_fp16_overflow 0
		.amdhsa_tg_split 0
		.amdhsa_exception_fp_ieee_invalid_op 0
		.amdhsa_exception_fp_denorm_src 0
		.amdhsa_exception_fp_ieee_div_zero 0
		.amdhsa_exception_fp_ieee_overflow 0
		.amdhsa_exception_fp_ieee_underflow 0
		.amdhsa_exception_fp_ieee_inexact 0
		.amdhsa_exception_int_div_zero 0
	.end_amdhsa_kernel
	.section	.text._ZN7rocprim6detail25device_scan_by_key_kernelILNS0_25lookback_scan_determinismE0ELb0ENS0_26wrapped_scan_by_key_configINS_14default_configEiiEEPiN6hipcub22TransformInputIteratorIsNS7_6CastOpIsEEPslEEPfsNS7_8EqualityENS7_3SumENS0_19lookback_scan_stateINS_5tupleIJibEEELb0ELb1EEEiEEvT2_T3_T4_T5_T6_T7_T8_mmmPKNSH_IJT9_bEEE,"axG",@progbits,_ZN7rocprim6detail25device_scan_by_key_kernelILNS0_25lookback_scan_determinismE0ELb0ENS0_26wrapped_scan_by_key_configINS_14default_configEiiEEPiN6hipcub22TransformInputIteratorIsNS7_6CastOpIsEEPslEEPfsNS7_8EqualityENS7_3SumENS0_19lookback_scan_stateINS_5tupleIJibEEELb0ELb1EEEiEEvT2_T3_T4_T5_T6_T7_T8_mmmPKNSH_IJT9_bEEE,comdat
.Lfunc_end58:
	.size	_ZN7rocprim6detail25device_scan_by_key_kernelILNS0_25lookback_scan_determinismE0ELb0ENS0_26wrapped_scan_by_key_configINS_14default_configEiiEEPiN6hipcub22TransformInputIteratorIsNS7_6CastOpIsEEPslEEPfsNS7_8EqualityENS7_3SumENS0_19lookback_scan_stateINS_5tupleIJibEEELb0ELb1EEEiEEvT2_T3_T4_T5_T6_T7_T8_mmmPKNSH_IJT9_bEEE, .Lfunc_end58-_ZN7rocprim6detail25device_scan_by_key_kernelILNS0_25lookback_scan_determinismE0ELb0ENS0_26wrapped_scan_by_key_configINS_14default_configEiiEEPiN6hipcub22TransformInputIteratorIsNS7_6CastOpIsEEPslEEPfsNS7_8EqualityENS7_3SumENS0_19lookback_scan_stateINS_5tupleIJibEEELb0ELb1EEEiEEvT2_T3_T4_T5_T6_T7_T8_mmmPKNSH_IJT9_bEEE
                                        ; -- End function
	.section	.AMDGPU.csdata,"",@progbits
; Kernel info:
; codeLenInByte = 10816
; NumSgprs: 60
; NumVgprs: 63
; NumAgprs: 0
; TotalNumVgprs: 63
; ScratchSize: 0
; MemoryBound: 0
; FloatMode: 240
; IeeeMode: 1
; LDSByteSize: 16384 bytes/workgroup (compile time only)
; SGPRBlocks: 7
; VGPRBlocks: 7
; NumSGPRsForWavesPerEU: 60
; NumVGPRsForWavesPerEU: 63
; AccumOffset: 64
; Occupancy: 4
; WaveLimiterHint : 1
; COMPUTE_PGM_RSRC2:SCRATCH_EN: 0
; COMPUTE_PGM_RSRC2:USER_SGPR: 6
; COMPUTE_PGM_RSRC2:TRAP_HANDLER: 0
; COMPUTE_PGM_RSRC2:TGID_X_EN: 1
; COMPUTE_PGM_RSRC2:TGID_Y_EN: 0
; COMPUTE_PGM_RSRC2:TGID_Z_EN: 0
; COMPUTE_PGM_RSRC2:TIDIG_COMP_CNT: 0
; COMPUTE_PGM_RSRC3_GFX90A:ACCUM_OFFSET: 15
; COMPUTE_PGM_RSRC3_GFX90A:TG_SPLIT: 0
	.section	.text._ZN7rocprim6detail31init_lookback_scan_state_kernelINS0_19lookback_scan_stateINS_5tupleIJsbEEELb1ELb1EEEEEvT_jjPNS6_10value_typeE,"axG",@progbits,_ZN7rocprim6detail31init_lookback_scan_state_kernelINS0_19lookback_scan_stateINS_5tupleIJsbEEELb1ELb1EEEEEvT_jjPNS6_10value_typeE,comdat
	.protected	_ZN7rocprim6detail31init_lookback_scan_state_kernelINS0_19lookback_scan_stateINS_5tupleIJsbEEELb1ELb1EEEEEvT_jjPNS6_10value_typeE ; -- Begin function _ZN7rocprim6detail31init_lookback_scan_state_kernelINS0_19lookback_scan_stateINS_5tupleIJsbEEELb1ELb1EEEEEvT_jjPNS6_10value_typeE
	.globl	_ZN7rocprim6detail31init_lookback_scan_state_kernelINS0_19lookback_scan_stateINS_5tupleIJsbEEELb1ELb1EEEEEvT_jjPNS6_10value_typeE
	.p2align	8
	.type	_ZN7rocprim6detail31init_lookback_scan_state_kernelINS0_19lookback_scan_stateINS_5tupleIJsbEEELb1ELb1EEEEEvT_jjPNS6_10value_typeE,@function
_ZN7rocprim6detail31init_lookback_scan_state_kernelINS0_19lookback_scan_stateINS_5tupleIJsbEEELb1ELb1EEEEEvT_jjPNS6_10value_typeE: ; @_ZN7rocprim6detail31init_lookback_scan_state_kernelINS0_19lookback_scan_stateINS_5tupleIJsbEEELb1ELb1EEEEEvT_jjPNS6_10value_typeE
; %bb.0:
	s_load_dword s7, s[4:5], 0x24
	s_load_dwordx2 s[8:9], s[4:5], 0x10
	s_load_dwordx4 s[0:3], s[4:5], 0x0
	s_waitcnt lgkmcnt(0)
	s_and_b32 s4, s7, 0xffff
	s_mul_i32 s6, s6, s4
	s_cmp_eq_u64 s[8:9], 0
	v_add_u32_e32 v0, s6, v0
	s_cbranch_scc1 .LBB59_9
; %bb.1:
	s_cmp_lt_u32 s3, s2
	s_cselect_b32 s4, s3, 0
	s_mov_b32 s7, 0
	v_cmp_eq_u32_e32 vcc, s4, v0
	s_and_saveexec_b64 s[4:5], vcc
	s_cbranch_execz .LBB59_8
; %bb.2:
	s_add_i32 s6, s3, 64
	s_lshl_b64 s[6:7], s[6:7], 3
	s_add_u32 s6, s0, s6
	s_addc_u32 s7, s1, s7
	v_mov_b32_e32 v2, 0
	global_load_dwordx2 v[4:5], v2, s[6:7] glc
	s_waitcnt vmcnt(0)
	v_and_b32_e32 v3, 0xff, v5
	v_cmp_ne_u64_e32 vcc, 0, v[2:3]
	s_cbranch_vccnz .LBB59_7
; %bb.3:
	s_mov_b32 s3, 1
.LBB59_4:                               ; =>This Loop Header: Depth=1
                                        ;     Child Loop BB59_5 Depth 2
	s_max_u32 s10, s3, 1
.LBB59_5:                               ;   Parent Loop BB59_4 Depth=1
                                        ; =>  This Inner Loop Header: Depth=2
	s_add_i32 s10, s10, -1
	s_cmp_eq_u32 s10, 0
	s_sleep 1
	s_cbranch_scc0 .LBB59_5
; %bb.6:                                ;   in Loop: Header=BB59_4 Depth=1
	global_load_dwordx2 v[4:5], v2, s[6:7] glc
	s_cmp_lt_u32 s3, 32
	s_cselect_b64 s[10:11], -1, 0
	s_cmp_lg_u64 s[10:11], 0
	s_addc_u32 s3, s3, 0
	s_waitcnt vmcnt(0)
	v_and_b32_e32 v3, 0xff, v5
	v_cmp_ne_u64_e32 vcc, 0, v[2:3]
	s_cbranch_vccz .LBB59_4
.LBB59_7:
	v_mov_b32_e32 v1, 0
	global_store_short v1, v4, s[8:9]
	global_store_byte_d16_hi v1, v4, s[8:9] offset:2
.LBB59_8:
	s_or_b64 exec, exec, s[4:5]
.LBB59_9:
	v_cmp_gt_u32_e32 vcc, s2, v0
	s_and_saveexec_b64 s[2:3], vcc
	s_cbranch_execnz .LBB59_12
; %bb.10:
	s_or_b64 exec, exec, s[2:3]
	v_cmp_gt_u32_e32 vcc, 64, v0
	s_and_saveexec_b64 s[2:3], vcc
	s_cbranch_execnz .LBB59_13
.LBB59_11:
	s_endpgm
.LBB59_12:
	v_add_u32_e32 v2, 64, v0
	v_mov_b32_e32 v3, 0
	v_lshlrev_b64 v[4:5], 3, v[2:3]
	v_mov_b32_e32 v1, s1
	v_add_co_u32_e32 v4, vcc, s0, v4
	v_addc_co_u32_e32 v5, vcc, v1, v5, vcc
	v_mov_b32_e32 v2, v3
	global_store_dwordx2 v[4:5], v[2:3], off
	s_or_b64 exec, exec, s[2:3]
	v_cmp_gt_u32_e32 vcc, 64, v0
	s_and_saveexec_b64 s[2:3], vcc
	s_cbranch_execz .LBB59_11
.LBB59_13:
	v_mov_b32_e32 v1, 0
	v_lshlrev_b64 v[2:3], 3, v[0:1]
	v_mov_b32_e32 v0, s1
	v_add_co_u32_e32 v2, vcc, s0, v2
	v_addc_co_u32_e32 v3, vcc, v0, v3, vcc
	v_mov_b32_e32 v5, 0xff
	v_mov_b32_e32 v4, v1
	global_store_dwordx2 v[2:3], v[4:5], off
	s_endpgm
	.section	.rodata,"a",@progbits
	.p2align	6, 0x0
	.amdhsa_kernel _ZN7rocprim6detail31init_lookback_scan_state_kernelINS0_19lookback_scan_stateINS_5tupleIJsbEEELb1ELb1EEEEEvT_jjPNS6_10value_typeE
		.amdhsa_group_segment_fixed_size 0
		.amdhsa_private_segment_fixed_size 0
		.amdhsa_kernarg_size 280
		.amdhsa_user_sgpr_count 6
		.amdhsa_user_sgpr_private_segment_buffer 1
		.amdhsa_user_sgpr_dispatch_ptr 0
		.amdhsa_user_sgpr_queue_ptr 0
		.amdhsa_user_sgpr_kernarg_segment_ptr 1
		.amdhsa_user_sgpr_dispatch_id 0
		.amdhsa_user_sgpr_flat_scratch_init 0
		.amdhsa_user_sgpr_kernarg_preload_length 0
		.amdhsa_user_sgpr_kernarg_preload_offset 0
		.amdhsa_user_sgpr_private_segment_size 0
		.amdhsa_uses_dynamic_stack 0
		.amdhsa_system_sgpr_private_segment_wavefront_offset 0
		.amdhsa_system_sgpr_workgroup_id_x 1
		.amdhsa_system_sgpr_workgroup_id_y 0
		.amdhsa_system_sgpr_workgroup_id_z 0
		.amdhsa_system_sgpr_workgroup_info 0
		.amdhsa_system_vgpr_workitem_id 0
		.amdhsa_next_free_vgpr 6
		.amdhsa_next_free_sgpr 12
		.amdhsa_accum_offset 8
		.amdhsa_reserve_vcc 1
		.amdhsa_reserve_flat_scratch 0
		.amdhsa_float_round_mode_32 0
		.amdhsa_float_round_mode_16_64 0
		.amdhsa_float_denorm_mode_32 3
		.amdhsa_float_denorm_mode_16_64 3
		.amdhsa_dx10_clamp 1
		.amdhsa_ieee_mode 1
		.amdhsa_fp16_overflow 0
		.amdhsa_tg_split 0
		.amdhsa_exception_fp_ieee_invalid_op 0
		.amdhsa_exception_fp_denorm_src 0
		.amdhsa_exception_fp_ieee_div_zero 0
		.amdhsa_exception_fp_ieee_overflow 0
		.amdhsa_exception_fp_ieee_underflow 0
		.amdhsa_exception_fp_ieee_inexact 0
		.amdhsa_exception_int_div_zero 0
	.end_amdhsa_kernel
	.section	.text._ZN7rocprim6detail31init_lookback_scan_state_kernelINS0_19lookback_scan_stateINS_5tupleIJsbEEELb1ELb1EEEEEvT_jjPNS6_10value_typeE,"axG",@progbits,_ZN7rocprim6detail31init_lookback_scan_state_kernelINS0_19lookback_scan_stateINS_5tupleIJsbEEELb1ELb1EEEEEvT_jjPNS6_10value_typeE,comdat
.Lfunc_end59:
	.size	_ZN7rocprim6detail31init_lookback_scan_state_kernelINS0_19lookback_scan_stateINS_5tupleIJsbEEELb1ELb1EEEEEvT_jjPNS6_10value_typeE, .Lfunc_end59-_ZN7rocprim6detail31init_lookback_scan_state_kernelINS0_19lookback_scan_stateINS_5tupleIJsbEEELb1ELb1EEEEEvT_jjPNS6_10value_typeE
                                        ; -- End function
	.section	.AMDGPU.csdata,"",@progbits
; Kernel info:
; codeLenInByte = 352
; NumSgprs: 16
; NumVgprs: 6
; NumAgprs: 0
; TotalNumVgprs: 6
; ScratchSize: 0
; MemoryBound: 0
; FloatMode: 240
; IeeeMode: 1
; LDSByteSize: 0 bytes/workgroup (compile time only)
; SGPRBlocks: 1
; VGPRBlocks: 0
; NumSGPRsForWavesPerEU: 16
; NumVGPRsForWavesPerEU: 6
; AccumOffset: 8
; Occupancy: 8
; WaveLimiterHint : 0
; COMPUTE_PGM_RSRC2:SCRATCH_EN: 0
; COMPUTE_PGM_RSRC2:USER_SGPR: 6
; COMPUTE_PGM_RSRC2:TRAP_HANDLER: 0
; COMPUTE_PGM_RSRC2:TGID_X_EN: 1
; COMPUTE_PGM_RSRC2:TGID_Y_EN: 0
; COMPUTE_PGM_RSRC2:TGID_Z_EN: 0
; COMPUTE_PGM_RSRC2:TIDIG_COMP_CNT: 0
; COMPUTE_PGM_RSRC3_GFX90A:ACCUM_OFFSET: 1
; COMPUTE_PGM_RSRC3_GFX90A:TG_SPLIT: 0
	.section	.text._ZN7rocprim6detail31init_lookback_scan_state_kernelINS0_19lookback_scan_stateINS_5tupleIJsbEEELb0ELb1EEEEEvT_jjPNS6_10value_typeE,"axG",@progbits,_ZN7rocprim6detail31init_lookback_scan_state_kernelINS0_19lookback_scan_stateINS_5tupleIJsbEEELb0ELb1EEEEEvT_jjPNS6_10value_typeE,comdat
	.protected	_ZN7rocprim6detail31init_lookback_scan_state_kernelINS0_19lookback_scan_stateINS_5tupleIJsbEEELb0ELb1EEEEEvT_jjPNS6_10value_typeE ; -- Begin function _ZN7rocprim6detail31init_lookback_scan_state_kernelINS0_19lookback_scan_stateINS_5tupleIJsbEEELb0ELb1EEEEEvT_jjPNS6_10value_typeE
	.globl	_ZN7rocprim6detail31init_lookback_scan_state_kernelINS0_19lookback_scan_stateINS_5tupleIJsbEEELb0ELb1EEEEEvT_jjPNS6_10value_typeE
	.p2align	8
	.type	_ZN7rocprim6detail31init_lookback_scan_state_kernelINS0_19lookback_scan_stateINS_5tupleIJsbEEELb0ELb1EEEEEvT_jjPNS6_10value_typeE,@function
_ZN7rocprim6detail31init_lookback_scan_state_kernelINS0_19lookback_scan_stateINS_5tupleIJsbEEELb0ELb1EEEEEvT_jjPNS6_10value_typeE: ; @_ZN7rocprim6detail31init_lookback_scan_state_kernelINS0_19lookback_scan_stateINS_5tupleIJsbEEELb0ELb1EEEEEvT_jjPNS6_10value_typeE
; %bb.0:
	s_load_dword s7, s[4:5], 0x24
	s_load_dwordx2 s[8:9], s[4:5], 0x10
	s_load_dwordx4 s[0:3], s[4:5], 0x0
	s_waitcnt lgkmcnt(0)
	s_and_b32 s4, s7, 0xffff
	s_mul_i32 s6, s6, s4
	s_cmp_eq_u64 s[8:9], 0
	v_add_u32_e32 v0, s6, v0
	s_cbranch_scc1 .LBB60_6
; %bb.1:
	s_cmp_lt_u32 s3, s2
	s_cselect_b32 s4, s3, 0
	s_mov_b32 s7, 0
	v_cmp_eq_u32_e32 vcc, s4, v0
	s_and_saveexec_b64 s[4:5], vcc
	s_cbranch_execz .LBB60_5
; %bb.2:
	s_add_i32 s6, s3, 64
	s_lshl_b64 s[6:7], s[6:7], 3
	s_add_u32 s6, s0, s6
	s_addc_u32 s7, s1, s7
	v_mov_b32_e32 v4, 0
	global_load_dwordx2 v[2:3], v4, s[6:7] glc
	s_waitcnt vmcnt(0)
	v_and_b32_e32 v5, 0xff, v3
	v_cmp_ne_u64_e32 vcc, 0, v[4:5]
	s_cbranch_vccnz .LBB60_4
.LBB60_3:                               ; =>This Inner Loop Header: Depth=1
	global_load_dwordx2 v[2:3], v4, s[6:7] glc
	s_waitcnt vmcnt(0)
	v_and_b32_e32 v5, 0xff, v3
	v_cmp_eq_u64_e32 vcc, 0, v[4:5]
	s_cbranch_vccnz .LBB60_3
.LBB60_4:
	v_mov_b32_e32 v1, 0
	global_store_short v1, v2, s[8:9]
	global_store_byte_d16_hi v1, v2, s[8:9] offset:2
.LBB60_5:
	s_or_b64 exec, exec, s[4:5]
.LBB60_6:
	v_cmp_gt_u32_e32 vcc, s2, v0
	s_and_saveexec_b64 s[2:3], vcc
	s_cbranch_execnz .LBB60_9
; %bb.7:
	s_or_b64 exec, exec, s[2:3]
	v_cmp_gt_u32_e32 vcc, 64, v0
	s_and_saveexec_b64 s[2:3], vcc
	s_cbranch_execnz .LBB60_10
.LBB60_8:
	s_endpgm
.LBB60_9:
	v_add_u32_e32 v2, 64, v0
	v_mov_b32_e32 v3, 0
	v_lshlrev_b64 v[4:5], 3, v[2:3]
	v_mov_b32_e32 v1, s1
	v_add_co_u32_e32 v4, vcc, s0, v4
	v_addc_co_u32_e32 v5, vcc, v1, v5, vcc
	v_mov_b32_e32 v2, v3
	global_store_dwordx2 v[4:5], v[2:3], off
	s_or_b64 exec, exec, s[2:3]
	v_cmp_gt_u32_e32 vcc, 64, v0
	s_and_saveexec_b64 s[2:3], vcc
	s_cbranch_execz .LBB60_8
.LBB60_10:
	v_mov_b32_e32 v1, 0
	v_lshlrev_b64 v[2:3], 3, v[0:1]
	v_mov_b32_e32 v0, s1
	v_add_co_u32_e32 v2, vcc, s0, v2
	v_addc_co_u32_e32 v3, vcc, v0, v3, vcc
	v_mov_b32_e32 v5, 0xff
	v_mov_b32_e32 v4, v1
	global_store_dwordx2 v[2:3], v[4:5], off
	s_endpgm
	.section	.rodata,"a",@progbits
	.p2align	6, 0x0
	.amdhsa_kernel _ZN7rocprim6detail31init_lookback_scan_state_kernelINS0_19lookback_scan_stateINS_5tupleIJsbEEELb0ELb1EEEEEvT_jjPNS6_10value_typeE
		.amdhsa_group_segment_fixed_size 0
		.amdhsa_private_segment_fixed_size 0
		.amdhsa_kernarg_size 280
		.amdhsa_user_sgpr_count 6
		.amdhsa_user_sgpr_private_segment_buffer 1
		.amdhsa_user_sgpr_dispatch_ptr 0
		.amdhsa_user_sgpr_queue_ptr 0
		.amdhsa_user_sgpr_kernarg_segment_ptr 1
		.amdhsa_user_sgpr_dispatch_id 0
		.amdhsa_user_sgpr_flat_scratch_init 0
		.amdhsa_user_sgpr_kernarg_preload_length 0
		.amdhsa_user_sgpr_kernarg_preload_offset 0
		.amdhsa_user_sgpr_private_segment_size 0
		.amdhsa_uses_dynamic_stack 0
		.amdhsa_system_sgpr_private_segment_wavefront_offset 0
		.amdhsa_system_sgpr_workgroup_id_x 1
		.amdhsa_system_sgpr_workgroup_id_y 0
		.amdhsa_system_sgpr_workgroup_id_z 0
		.amdhsa_system_sgpr_workgroup_info 0
		.amdhsa_system_vgpr_workitem_id 0
		.amdhsa_next_free_vgpr 6
		.amdhsa_next_free_sgpr 10
		.amdhsa_accum_offset 8
		.amdhsa_reserve_vcc 1
		.amdhsa_reserve_flat_scratch 0
		.amdhsa_float_round_mode_32 0
		.amdhsa_float_round_mode_16_64 0
		.amdhsa_float_denorm_mode_32 3
		.amdhsa_float_denorm_mode_16_64 3
		.amdhsa_dx10_clamp 1
		.amdhsa_ieee_mode 1
		.amdhsa_fp16_overflow 0
		.amdhsa_tg_split 0
		.amdhsa_exception_fp_ieee_invalid_op 0
		.amdhsa_exception_fp_denorm_src 0
		.amdhsa_exception_fp_ieee_div_zero 0
		.amdhsa_exception_fp_ieee_overflow 0
		.amdhsa_exception_fp_ieee_underflow 0
		.amdhsa_exception_fp_ieee_inexact 0
		.amdhsa_exception_int_div_zero 0
	.end_amdhsa_kernel
	.section	.text._ZN7rocprim6detail31init_lookback_scan_state_kernelINS0_19lookback_scan_stateINS_5tupleIJsbEEELb0ELb1EEEEEvT_jjPNS6_10value_typeE,"axG",@progbits,_ZN7rocprim6detail31init_lookback_scan_state_kernelINS0_19lookback_scan_stateINS_5tupleIJsbEEELb0ELb1EEEEEvT_jjPNS6_10value_typeE,comdat
.Lfunc_end60:
	.size	_ZN7rocprim6detail31init_lookback_scan_state_kernelINS0_19lookback_scan_stateINS_5tupleIJsbEEELb0ELb1EEEEEvT_jjPNS6_10value_typeE, .Lfunc_end60-_ZN7rocprim6detail31init_lookback_scan_state_kernelINS0_19lookback_scan_stateINS_5tupleIJsbEEELb0ELb1EEEEEvT_jjPNS6_10value_typeE
                                        ; -- End function
	.section	.AMDGPU.csdata,"",@progbits
; Kernel info:
; codeLenInByte = 312
; NumSgprs: 14
; NumVgprs: 6
; NumAgprs: 0
; TotalNumVgprs: 6
; ScratchSize: 0
; MemoryBound: 0
; FloatMode: 240
; IeeeMode: 1
; LDSByteSize: 0 bytes/workgroup (compile time only)
; SGPRBlocks: 1
; VGPRBlocks: 0
; NumSGPRsForWavesPerEU: 14
; NumVGPRsForWavesPerEU: 6
; AccumOffset: 8
; Occupancy: 8
; WaveLimiterHint : 0
; COMPUTE_PGM_RSRC2:SCRATCH_EN: 0
; COMPUTE_PGM_RSRC2:USER_SGPR: 6
; COMPUTE_PGM_RSRC2:TRAP_HANDLER: 0
; COMPUTE_PGM_RSRC2:TGID_X_EN: 1
; COMPUTE_PGM_RSRC2:TGID_Y_EN: 0
; COMPUTE_PGM_RSRC2:TGID_Z_EN: 0
; COMPUTE_PGM_RSRC2:TIDIG_COMP_CNT: 0
; COMPUTE_PGM_RSRC3_GFX90A:ACCUM_OFFSET: 1
; COMPUTE_PGM_RSRC3_GFX90A:TG_SPLIT: 0
	.section	.text._ZN7rocprim6detail25device_scan_by_key_kernelILNS0_25lookback_scan_determinismE0ELb0ENS0_26wrapped_scan_by_key_configINS_14default_configEisEEPiN6hipcub22TransformInputIteratorIsNS7_6CastOpIsEEPslEEPfsNS7_8EqualityENS7_3MaxENS0_19lookback_scan_stateINS_5tupleIJsbEEELb1ELb1EEEsEEvT2_T3_T4_T5_T6_T7_T8_mmmPKNSH_IJT9_bEEE,"axG",@progbits,_ZN7rocprim6detail25device_scan_by_key_kernelILNS0_25lookback_scan_determinismE0ELb0ENS0_26wrapped_scan_by_key_configINS_14default_configEisEEPiN6hipcub22TransformInputIteratorIsNS7_6CastOpIsEEPslEEPfsNS7_8EqualityENS7_3MaxENS0_19lookback_scan_stateINS_5tupleIJsbEEELb1ELb1EEEsEEvT2_T3_T4_T5_T6_T7_T8_mmmPKNSH_IJT9_bEEE,comdat
	.protected	_ZN7rocprim6detail25device_scan_by_key_kernelILNS0_25lookback_scan_determinismE0ELb0ENS0_26wrapped_scan_by_key_configINS_14default_configEisEEPiN6hipcub22TransformInputIteratorIsNS7_6CastOpIsEEPslEEPfsNS7_8EqualityENS7_3MaxENS0_19lookback_scan_stateINS_5tupleIJsbEEELb1ELb1EEEsEEvT2_T3_T4_T5_T6_T7_T8_mmmPKNSH_IJT9_bEEE ; -- Begin function _ZN7rocprim6detail25device_scan_by_key_kernelILNS0_25lookback_scan_determinismE0ELb0ENS0_26wrapped_scan_by_key_configINS_14default_configEisEEPiN6hipcub22TransformInputIteratorIsNS7_6CastOpIsEEPslEEPfsNS7_8EqualityENS7_3MaxENS0_19lookback_scan_stateINS_5tupleIJsbEEELb1ELb1EEEsEEvT2_T3_T4_T5_T6_T7_T8_mmmPKNSH_IJT9_bEEE
	.globl	_ZN7rocprim6detail25device_scan_by_key_kernelILNS0_25lookback_scan_determinismE0ELb0ENS0_26wrapped_scan_by_key_configINS_14default_configEisEEPiN6hipcub22TransformInputIteratorIsNS7_6CastOpIsEEPslEEPfsNS7_8EqualityENS7_3MaxENS0_19lookback_scan_stateINS_5tupleIJsbEEELb1ELb1EEEsEEvT2_T3_T4_T5_T6_T7_T8_mmmPKNSH_IJT9_bEEE
	.p2align	8
	.type	_ZN7rocprim6detail25device_scan_by_key_kernelILNS0_25lookback_scan_determinismE0ELb0ENS0_26wrapped_scan_by_key_configINS_14default_configEisEEPiN6hipcub22TransformInputIteratorIsNS7_6CastOpIsEEPslEEPfsNS7_8EqualityENS7_3MaxENS0_19lookback_scan_stateINS_5tupleIJsbEEELb1ELb1EEEsEEvT2_T3_T4_T5_T6_T7_T8_mmmPKNSH_IJT9_bEEE,@function
_ZN7rocprim6detail25device_scan_by_key_kernelILNS0_25lookback_scan_determinismE0ELb0ENS0_26wrapped_scan_by_key_configINS_14default_configEisEEPiN6hipcub22TransformInputIteratorIsNS7_6CastOpIsEEPslEEPfsNS7_8EqualityENS7_3MaxENS0_19lookback_scan_stateINS_5tupleIJsbEEELb1ELb1EEEsEEvT2_T3_T4_T5_T6_T7_T8_mmmPKNSH_IJT9_bEEE: ; @_ZN7rocprim6detail25device_scan_by_key_kernelILNS0_25lookback_scan_determinismE0ELb0ENS0_26wrapped_scan_by_key_configINS_14default_configEisEEPiN6hipcub22TransformInputIteratorIsNS7_6CastOpIsEEPslEEPfsNS7_8EqualityENS7_3MaxENS0_19lookback_scan_stateINS_5tupleIJsbEEELb1ELb1EEEsEEvT2_T3_T4_T5_T6_T7_T8_mmmPKNSH_IJT9_bEEE
; %bb.0:
	s_endpgm
	.section	.rodata,"a",@progbits
	.p2align	6, 0x0
	.amdhsa_kernel _ZN7rocprim6detail25device_scan_by_key_kernelILNS0_25lookback_scan_determinismE0ELb0ENS0_26wrapped_scan_by_key_configINS_14default_configEisEEPiN6hipcub22TransformInputIteratorIsNS7_6CastOpIsEEPslEEPfsNS7_8EqualityENS7_3MaxENS0_19lookback_scan_stateINS_5tupleIJsbEEELb1ELb1EEEsEEvT2_T3_T4_T5_T6_T7_T8_mmmPKNSH_IJT9_bEEE
		.amdhsa_group_segment_fixed_size 0
		.amdhsa_private_segment_fixed_size 0
		.amdhsa_kernarg_size 80
		.amdhsa_user_sgpr_count 6
		.amdhsa_user_sgpr_private_segment_buffer 1
		.amdhsa_user_sgpr_dispatch_ptr 0
		.amdhsa_user_sgpr_queue_ptr 0
		.amdhsa_user_sgpr_kernarg_segment_ptr 1
		.amdhsa_user_sgpr_dispatch_id 0
		.amdhsa_user_sgpr_flat_scratch_init 0
		.amdhsa_user_sgpr_kernarg_preload_length 0
		.amdhsa_user_sgpr_kernarg_preload_offset 0
		.amdhsa_user_sgpr_private_segment_size 0
		.amdhsa_uses_dynamic_stack 0
		.amdhsa_system_sgpr_private_segment_wavefront_offset 0
		.amdhsa_system_sgpr_workgroup_id_x 1
		.amdhsa_system_sgpr_workgroup_id_y 0
		.amdhsa_system_sgpr_workgroup_id_z 0
		.amdhsa_system_sgpr_workgroup_info 0
		.amdhsa_system_vgpr_workitem_id 0
		.amdhsa_next_free_vgpr 1
		.amdhsa_next_free_sgpr 0
		.amdhsa_accum_offset 4
		.amdhsa_reserve_vcc 0
		.amdhsa_reserve_flat_scratch 0
		.amdhsa_float_round_mode_32 0
		.amdhsa_float_round_mode_16_64 0
		.amdhsa_float_denorm_mode_32 3
		.amdhsa_float_denorm_mode_16_64 3
		.amdhsa_dx10_clamp 1
		.amdhsa_ieee_mode 1
		.amdhsa_fp16_overflow 0
		.amdhsa_tg_split 0
		.amdhsa_exception_fp_ieee_invalid_op 0
		.amdhsa_exception_fp_denorm_src 0
		.amdhsa_exception_fp_ieee_div_zero 0
		.amdhsa_exception_fp_ieee_overflow 0
		.amdhsa_exception_fp_ieee_underflow 0
		.amdhsa_exception_fp_ieee_inexact 0
		.amdhsa_exception_int_div_zero 0
	.end_amdhsa_kernel
	.section	.text._ZN7rocprim6detail25device_scan_by_key_kernelILNS0_25lookback_scan_determinismE0ELb0ENS0_26wrapped_scan_by_key_configINS_14default_configEisEEPiN6hipcub22TransformInputIteratorIsNS7_6CastOpIsEEPslEEPfsNS7_8EqualityENS7_3MaxENS0_19lookback_scan_stateINS_5tupleIJsbEEELb1ELb1EEEsEEvT2_T3_T4_T5_T6_T7_T8_mmmPKNSH_IJT9_bEEE,"axG",@progbits,_ZN7rocprim6detail25device_scan_by_key_kernelILNS0_25lookback_scan_determinismE0ELb0ENS0_26wrapped_scan_by_key_configINS_14default_configEisEEPiN6hipcub22TransformInputIteratorIsNS7_6CastOpIsEEPslEEPfsNS7_8EqualityENS7_3MaxENS0_19lookback_scan_stateINS_5tupleIJsbEEELb1ELb1EEEsEEvT2_T3_T4_T5_T6_T7_T8_mmmPKNSH_IJT9_bEEE,comdat
.Lfunc_end61:
	.size	_ZN7rocprim6detail25device_scan_by_key_kernelILNS0_25lookback_scan_determinismE0ELb0ENS0_26wrapped_scan_by_key_configINS_14default_configEisEEPiN6hipcub22TransformInputIteratorIsNS7_6CastOpIsEEPslEEPfsNS7_8EqualityENS7_3MaxENS0_19lookback_scan_stateINS_5tupleIJsbEEELb1ELb1EEEsEEvT2_T3_T4_T5_T6_T7_T8_mmmPKNSH_IJT9_bEEE, .Lfunc_end61-_ZN7rocprim6detail25device_scan_by_key_kernelILNS0_25lookback_scan_determinismE0ELb0ENS0_26wrapped_scan_by_key_configINS_14default_configEisEEPiN6hipcub22TransformInputIteratorIsNS7_6CastOpIsEEPslEEPfsNS7_8EqualityENS7_3MaxENS0_19lookback_scan_stateINS_5tupleIJsbEEELb1ELb1EEEsEEvT2_T3_T4_T5_T6_T7_T8_mmmPKNSH_IJT9_bEEE
                                        ; -- End function
	.section	.AMDGPU.csdata,"",@progbits
; Kernel info:
; codeLenInByte = 4
; NumSgprs: 4
; NumVgprs: 0
; NumAgprs: 0
; TotalNumVgprs: 0
; ScratchSize: 0
; MemoryBound: 0
; FloatMode: 240
; IeeeMode: 1
; LDSByteSize: 0 bytes/workgroup (compile time only)
; SGPRBlocks: 0
; VGPRBlocks: 0
; NumSGPRsForWavesPerEU: 4
; NumVGPRsForWavesPerEU: 1
; AccumOffset: 4
; Occupancy: 8
; WaveLimiterHint : 0
; COMPUTE_PGM_RSRC2:SCRATCH_EN: 0
; COMPUTE_PGM_RSRC2:USER_SGPR: 6
; COMPUTE_PGM_RSRC2:TRAP_HANDLER: 0
; COMPUTE_PGM_RSRC2:TGID_X_EN: 1
; COMPUTE_PGM_RSRC2:TGID_Y_EN: 0
; COMPUTE_PGM_RSRC2:TGID_Z_EN: 0
; COMPUTE_PGM_RSRC2:TIDIG_COMP_CNT: 0
; COMPUTE_PGM_RSRC3_GFX90A:ACCUM_OFFSET: 0
; COMPUTE_PGM_RSRC3_GFX90A:TG_SPLIT: 0
	.section	.text._ZN7rocprim6detail25device_scan_by_key_kernelILNS0_25lookback_scan_determinismE0ELb0ENS0_26wrapped_scan_by_key_configINS_14default_configEisEEPiN6hipcub22TransformInputIteratorIsNS7_6CastOpIsEEPslEEPfsNS7_8EqualityENS7_3MaxENS0_19lookback_scan_stateINS_5tupleIJsbEEELb0ELb1EEEsEEvT2_T3_T4_T5_T6_T7_T8_mmmPKNSH_IJT9_bEEE,"axG",@progbits,_ZN7rocprim6detail25device_scan_by_key_kernelILNS0_25lookback_scan_determinismE0ELb0ENS0_26wrapped_scan_by_key_configINS_14default_configEisEEPiN6hipcub22TransformInputIteratorIsNS7_6CastOpIsEEPslEEPfsNS7_8EqualityENS7_3MaxENS0_19lookback_scan_stateINS_5tupleIJsbEEELb0ELb1EEEsEEvT2_T3_T4_T5_T6_T7_T8_mmmPKNSH_IJT9_bEEE,comdat
	.protected	_ZN7rocprim6detail25device_scan_by_key_kernelILNS0_25lookback_scan_determinismE0ELb0ENS0_26wrapped_scan_by_key_configINS_14default_configEisEEPiN6hipcub22TransformInputIteratorIsNS7_6CastOpIsEEPslEEPfsNS7_8EqualityENS7_3MaxENS0_19lookback_scan_stateINS_5tupleIJsbEEELb0ELb1EEEsEEvT2_T3_T4_T5_T6_T7_T8_mmmPKNSH_IJT9_bEEE ; -- Begin function _ZN7rocprim6detail25device_scan_by_key_kernelILNS0_25lookback_scan_determinismE0ELb0ENS0_26wrapped_scan_by_key_configINS_14default_configEisEEPiN6hipcub22TransformInputIteratorIsNS7_6CastOpIsEEPslEEPfsNS7_8EqualityENS7_3MaxENS0_19lookback_scan_stateINS_5tupleIJsbEEELb0ELb1EEEsEEvT2_T3_T4_T5_T6_T7_T8_mmmPKNSH_IJT9_bEEE
	.globl	_ZN7rocprim6detail25device_scan_by_key_kernelILNS0_25lookback_scan_determinismE0ELb0ENS0_26wrapped_scan_by_key_configINS_14default_configEisEEPiN6hipcub22TransformInputIteratorIsNS7_6CastOpIsEEPslEEPfsNS7_8EqualityENS7_3MaxENS0_19lookback_scan_stateINS_5tupleIJsbEEELb0ELb1EEEsEEvT2_T3_T4_T5_T6_T7_T8_mmmPKNSH_IJT9_bEEE
	.p2align	8
	.type	_ZN7rocprim6detail25device_scan_by_key_kernelILNS0_25lookback_scan_determinismE0ELb0ENS0_26wrapped_scan_by_key_configINS_14default_configEisEEPiN6hipcub22TransformInputIteratorIsNS7_6CastOpIsEEPslEEPfsNS7_8EqualityENS7_3MaxENS0_19lookback_scan_stateINS_5tupleIJsbEEELb0ELb1EEEsEEvT2_T3_T4_T5_T6_T7_T8_mmmPKNSH_IJT9_bEEE,@function
_ZN7rocprim6detail25device_scan_by_key_kernelILNS0_25lookback_scan_determinismE0ELb0ENS0_26wrapped_scan_by_key_configINS_14default_configEisEEPiN6hipcub22TransformInputIteratorIsNS7_6CastOpIsEEPslEEPfsNS7_8EqualityENS7_3MaxENS0_19lookback_scan_stateINS_5tupleIJsbEEELb0ELb1EEEsEEvT2_T3_T4_T5_T6_T7_T8_mmmPKNSH_IJT9_bEEE: ; @_ZN7rocprim6detail25device_scan_by_key_kernelILNS0_25lookback_scan_determinismE0ELb0ENS0_26wrapped_scan_by_key_configINS_14default_configEisEEPiN6hipcub22TransformInputIteratorIsNS7_6CastOpIsEEPslEEPfsNS7_8EqualityENS7_3MaxENS0_19lookback_scan_stateINS_5tupleIJsbEEELb0ELb1EEEsEEvT2_T3_T4_T5_T6_T7_T8_mmmPKNSH_IJT9_bEEE
; %bb.0:
	s_load_dwordx4 s[0:3], s[4:5], 0x0
	s_load_dwordx8 s[60:67], s[4:5], 0x28
	s_load_dwordx2 s[56:57], s[4:5], 0x48
	s_mul_i32 s8, s6, 0x600
	s_mov_b32 s9, 0
	s_lshl_b64 s[58:59], s[8:9], 2
	s_waitcnt lgkmcnt(0)
	s_add_u32 s70, s0, s58
	s_addc_u32 s71, s1, s59
	s_lshl_b64 s[0:1], s[8:9], 1
	s_add_u32 s68, s2, s0
	s_addc_u32 s69, s3, s1
	s_add_u32 s0, s6, s64
	s_addc_u32 s1, 0, s65
	s_add_u32 s2, s66, -1
	s_addc_u32 s3, s67, -1
	v_pk_mov_b32 v[2:3], s[2:3], s[2:3] op_sel:[0,1]
	v_cmp_ge_u64_e64 s[0:1], s[0:1], v[2:3]
	s_mov_b64 s[34:35], -1
	s_and_b64 vcc, exec, s[0:1]
	s_mul_i32 s33, s2, 0xfffffa00
	v_lshlrev_b32_e32 v52, 2, v0
	s_cbranch_vccz .LBB62_124
; %bb.1:
	s_load_dword s63, s[70:71], 0x0
	s_add_i32 s7, s33, s62
	v_mov_b32_e32 v1, s71
	v_add_co_u32_e32 v2, vcc, s70, v52
	v_addc_co_u32_e32 v3, vcc, 0, v1, vcc
	v_cmp_gt_u32_e64 s[2:3], s7, v0
	s_waitcnt lgkmcnt(0)
	v_mov_b32_e32 v1, s63
	s_and_saveexec_b64 s[8:9], s[2:3]
	s_cbranch_execz .LBB62_3
; %bb.2:
	global_load_dword v1, v[2:3], off
.LBB62_3:
	s_or_b64 exec, exec, s[8:9]
	v_or_b32_e32 v4, 64, v0
	v_cmp_gt_u32_e64 s[54:55], s7, v4
	v_mov_b32_e32 v4, s63
	s_and_saveexec_b64 s[8:9], s[54:55]
	s_cbranch_execz .LBB62_5
; %bb.4:
	global_load_dword v4, v[2:3], off offset:256
.LBB62_5:
	s_or_b64 exec, exec, s[8:9]
	v_or_b32_e32 v5, 0x80, v0
	v_cmp_gt_u32_e64 s[8:9], s7, v5
	v_mov_b32_e32 v5, s63
	s_and_saveexec_b64 s[10:11], s[8:9]
	s_cbranch_execz .LBB62_7
; %bb.6:
	global_load_dword v5, v[2:3], off offset:512
.LBB62_7:
	;; [unrolled: 9-line block ×15, first 2 shown]
	s_or_b64 exec, exec, s[38:39]
	v_or_b32_e32 v19, 0x400, v0
	v_cmp_gt_u32_e64 s[38:39], s7, v19
	v_mov_b32_e32 v19, s63
	s_and_saveexec_b64 s[40:41], s[38:39]
	s_cbranch_execz .LBB62_35
; %bb.34:
	v_add_co_u32_e32 v20, vcc, 0x1000, v2
	v_addc_co_u32_e32 v21, vcc, 0, v3, vcc
	global_load_dword v19, v[20:21], off
.LBB62_35:
	s_or_b64 exec, exec, s[40:41]
	v_or_b32_e32 v20, 0x440, v0
	v_cmp_gt_u32_e64 s[40:41], s7, v20
	v_mov_b32_e32 v20, s63
	s_and_saveexec_b64 s[42:43], s[40:41]
	s_cbranch_execz .LBB62_37
; %bb.36:
	v_add_co_u32_e32 v20, vcc, 0x1000, v2
	v_addc_co_u32_e32 v21, vcc, 0, v3, vcc
	global_load_dword v20, v[20:21], off offset:256
.LBB62_37:
	s_or_b64 exec, exec, s[42:43]
	v_or_b32_e32 v21, 0x480, v0
	v_cmp_gt_u32_e64 s[42:43], s7, v21
	v_mov_b32_e32 v21, s63
	s_and_saveexec_b64 s[44:45], s[42:43]
	s_cbranch_execz .LBB62_39
; %bb.38:
	v_add_co_u32_e32 v22, vcc, 0x1000, v2
	v_addc_co_u32_e32 v23, vcc, 0, v3, vcc
	global_load_dword v21, v[22:23], off offset:512
.LBB62_39:
	;; [unrolled: 11-line block ×7, first 2 shown]
	s_or_b64 exec, exec, s[66:67]
	s_sub_u32 s66, 0, s6
	s_subb_u32 s67, 0, 0
	s_cmp_eq_u64 s[66:67], s[64:65]
	s_movk_i32 s63, 0x5c
	s_cselect_b32 s66, 0, -4
	s_waitcnt vmcnt(0)
	ds_write2st64_b32 v52, v1, v4 offset1:1
	ds_write2st64_b32 v52, v5, v6 offset0:2 offset1:3
	ds_write2st64_b32 v52, v7, v8 offset0:4 offset1:5
	;; [unrolled: 1-line block ×11, first 2 shown]
	v_mad_u32_u24 v1, v0, s63, v52
	s_cselect_b32 s63, 0, -1
	s_add_u32 s66, s70, s66
	s_addc_u32 s67, s71, s63
	s_waitcnt lgkmcnt(0)
	; wave barrier
	s_waitcnt lgkmcnt(0)
	ds_read_b128 v[42:45], v1
	ds_read_b128 v[38:41], v1 offset:16
	ds_read_b128 v[34:37], v1 offset:32
	;; [unrolled: 1-line block ×5, first 2 shown]
	s_load_dword s63, s[66:67], 0x0
	s_movk_i32 s66, 0xffa4
	v_mad_i32_i24 v1, v0, s66, v1
	v_cmp_ne_u32_e32 vcc, 0, v0
	s_waitcnt lgkmcnt(0)
	ds_write_b32 v1, v25 offset:6144
	v_mov_b32_e32 v46, s63
	s_waitcnt lgkmcnt(0)
	; wave barrier
	s_waitcnt lgkmcnt(0)
	s_and_saveexec_b64 s[66:67], vcc
	s_cbranch_execz .LBB62_51
; %bb.50:
	ds_read_b32 v46, v1 offset:6140
.LBB62_51:
	s_or_b64 exec, exec, s[66:67]
	v_lshlrev_b32_e32 v4, 1, v0
	v_mov_b32_e32 v3, s69
	v_add_co_u32_e32 v2, vcc, s68, v4
	v_addc_co_u32_e32 v3, vcc, 0, v3, vcc
	s_waitcnt lgkmcnt(0)
	; wave barrier
	s_waitcnt lgkmcnt(0)
                                        ; implicit-def: $vgpr5
	s_and_saveexec_b64 s[66:67], s[2:3]
	s_cbranch_execz .LBB62_189
; %bb.52:
	global_load_ushort v5, v[2:3], off
	s_or_b64 exec, exec, s[66:67]
                                        ; implicit-def: $vgpr6
	s_and_saveexec_b64 s[2:3], s[54:55]
	s_cbranch_execnz .LBB62_190
.LBB62_53:
	s_or_b64 exec, exec, s[2:3]
                                        ; implicit-def: $vgpr7
	s_and_saveexec_b64 s[2:3], s[8:9]
	s_cbranch_execz .LBB62_191
.LBB62_54:
	global_load_ushort v7, v[2:3], off offset:256
	s_or_b64 exec, exec, s[2:3]
                                        ; implicit-def: $vgpr8
	s_and_saveexec_b64 s[2:3], s[10:11]
	s_cbranch_execnz .LBB62_192
.LBB62_55:
	s_or_b64 exec, exec, s[2:3]
                                        ; implicit-def: $vgpr9
	s_and_saveexec_b64 s[2:3], s[12:13]
	s_cbranch_execz .LBB62_193
.LBB62_56:
	global_load_ushort v9, v[2:3], off offset:512
	s_or_b64 exec, exec, s[2:3]
                                        ; implicit-def: $vgpr10
	s_and_saveexec_b64 s[2:3], s[14:15]
	s_cbranch_execnz .LBB62_194
.LBB62_57:
	s_or_b64 exec, exec, s[2:3]
                                        ; implicit-def: $vgpr11
	s_and_saveexec_b64 s[2:3], s[16:17]
	s_cbranch_execz .LBB62_195
.LBB62_58:
	global_load_ushort v11, v[2:3], off offset:768
	s_or_b64 exec, exec, s[2:3]
                                        ; implicit-def: $vgpr12
	s_and_saveexec_b64 s[2:3], s[18:19]
	s_cbranch_execnz .LBB62_196
.LBB62_59:
	s_or_b64 exec, exec, s[2:3]
                                        ; implicit-def: $vgpr13
	s_and_saveexec_b64 s[2:3], s[20:21]
	s_cbranch_execz .LBB62_197
.LBB62_60:
	global_load_ushort v13, v[2:3], off offset:1024
	s_or_b64 exec, exec, s[2:3]
                                        ; implicit-def: $vgpr14
	s_and_saveexec_b64 s[2:3], s[22:23]
	s_cbranch_execnz .LBB62_198
.LBB62_61:
	s_or_b64 exec, exec, s[2:3]
                                        ; implicit-def: $vgpr15
	s_and_saveexec_b64 s[2:3], s[24:25]
	s_cbranch_execz .LBB62_199
.LBB62_62:
	global_load_ushort v15, v[2:3], off offset:1280
	s_or_b64 exec, exec, s[2:3]
                                        ; implicit-def: $vgpr16
	s_and_saveexec_b64 s[2:3], s[26:27]
	s_cbranch_execnz .LBB62_200
.LBB62_63:
	s_or_b64 exec, exec, s[2:3]
                                        ; implicit-def: $vgpr17
	s_and_saveexec_b64 s[2:3], s[28:29]
	s_cbranch_execz .LBB62_201
.LBB62_64:
	global_load_ushort v17, v[2:3], off offset:1536
	s_or_b64 exec, exec, s[2:3]
                                        ; implicit-def: $vgpr18
	s_and_saveexec_b64 s[2:3], s[30:31]
	s_cbranch_execnz .LBB62_202
.LBB62_65:
	s_or_b64 exec, exec, s[2:3]
                                        ; implicit-def: $vgpr19
	s_and_saveexec_b64 s[2:3], s[34:35]
	s_cbranch_execz .LBB62_203
.LBB62_66:
	global_load_ushort v19, v[2:3], off offset:1792
	s_or_b64 exec, exec, s[2:3]
                                        ; implicit-def: $vgpr20
	s_and_saveexec_b64 s[2:3], s[36:37]
	s_cbranch_execnz .LBB62_204
.LBB62_67:
	s_or_b64 exec, exec, s[2:3]
                                        ; implicit-def: $vgpr21
	s_and_saveexec_b64 s[2:3], s[38:39]
	s_cbranch_execz .LBB62_205
.LBB62_68:
	global_load_ushort v21, v[2:3], off offset:2048
	s_or_b64 exec, exec, s[2:3]
                                        ; implicit-def: $vgpr48
	s_and_saveexec_b64 s[2:3], s[40:41]
	s_cbranch_execnz .LBB62_206
.LBB62_69:
	s_or_b64 exec, exec, s[2:3]
                                        ; implicit-def: $vgpr49
	s_and_saveexec_b64 s[2:3], s[42:43]
	s_cbranch_execz .LBB62_207
.LBB62_70:
	global_load_ushort v49, v[2:3], off offset:2304
	s_or_b64 exec, exec, s[2:3]
                                        ; implicit-def: $vgpr50
	s_and_saveexec_b64 s[2:3], s[44:45]
	s_cbranch_execnz .LBB62_208
.LBB62_71:
	s_or_b64 exec, exec, s[2:3]
                                        ; implicit-def: $vgpr51
	s_and_saveexec_b64 s[2:3], s[46:47]
	s_cbranch_execz .LBB62_209
.LBB62_72:
	global_load_ushort v51, v[2:3], off offset:2560
	s_or_b64 exec, exec, s[2:3]
                                        ; implicit-def: $vgpr53
	s_and_saveexec_b64 s[2:3], s[48:49]
	s_cbranch_execnz .LBB62_210
.LBB62_73:
	s_or_b64 exec, exec, s[2:3]
                                        ; implicit-def: $vgpr55
	s_and_saveexec_b64 s[2:3], s[50:51]
	s_cbranch_execz .LBB62_75
.LBB62_74:
	global_load_ushort v55, v[2:3], off offset:2816
.LBB62_75:
	s_or_b64 exec, exec, s[2:3]
	v_mul_u32_u24_e32 v54, 24, v0
                                        ; implicit-def: $vgpr56
	s_and_saveexec_b64 s[2:3], s[52:53]
	s_cbranch_execz .LBB62_77
; %bb.76:
	global_load_ushort v56, v[2:3], off offset:2944
.LBB62_77:
	s_or_b64 exec, exec, s[2:3]
	s_mov_b32 s8, 0
	v_sub_u32_e32 v47, v1, v4
	s_mov_b32 s9, s8
	s_mov_b32 s24, s8
	;; [unrolled: 1-line block ×3, first 2 shown]
	s_waitcnt vmcnt(0)
	ds_write_b16 v47, v5
	ds_write_b16 v47, v6 offset:128
	ds_write_b16 v47, v7 offset:256
	;; [unrolled: 1-line block ×23, first 2 shown]
	s_mov_b32 s10, s8
	s_mov_b32 s11, s8
	;; [unrolled: 1-line block ×18, first 2 shown]
	v_pk_mov_b32 v[18:19], s[24:25], s[24:25] op_sel:[0,1]
	v_pk_mov_b32 v[2:3], s[8:9], s[8:9] op_sel:[0,1]
	v_cmp_gt_u32_e32 vcc, s7, v54
	s_mov_b64 s[34:35], 0
	v_pk_mov_b32 v[50:51], s[2:3], s[2:3] op_sel:[0,1]
	v_pk_mov_b32 v[20:21], s[26:27], s[26:27] op_sel:[0,1]
	;; [unrolled: 1-line block ×9, first 2 shown]
	v_mov_b32_e32 v1, 0
	s_mov_b64 s[14:15], 0
	s_waitcnt lgkmcnt(0)
	; wave barrier
	s_waitcnt lgkmcnt(0)
                                        ; implicit-def: $sgpr12_sgpr13
                                        ; implicit-def: $vgpr53
	s_and_saveexec_b64 s[10:11], vcc
	s_cbranch_execz .LBB62_123
; %bb.78:
	v_mad_u32_u24 v1, v0, 46, v47
	ds_read_u16 v1, v1
	s_waitcnt lgkmcnt(14)
	v_cmp_ne_u32_e32 vcc, v46, v42
	s_mov_b32 s12, 0
	v_or_b32_e32 v2, 1, v54
	v_cndmask_b32_e64 v3, 0, 1, vcc
	s_mov_b32 s13, s12
	s_mov_b32 s28, s12
	;; [unrolled: 1-line block ×3, first 2 shown]
	v_cmp_gt_u32_e32 vcc, s7, v2
	s_waitcnt lgkmcnt(0)
	v_lshl_or_b32 v1, v3, 16, v1
	s_mov_b32 s14, s12
	s_mov_b32 s15, s12
	;; [unrolled: 1-line block ×18, first 2 shown]
	v_pk_mov_b32 v[18:19], s[28:29], s[28:29] op_sel:[0,1]
	v_pk_mov_b32 v[2:3], s[12:13], s[12:13] op_sel:[0,1]
	s_mov_b64 s[2:3], 0
	v_pk_mov_b32 v[50:51], s[36:37], s[36:37] op_sel:[0,1]
	v_pk_mov_b32 v[20:21], s[30:31], s[30:31] op_sel:[0,1]
	;; [unrolled: 1-line block ×9, first 2 shown]
                                        ; implicit-def: $sgpr38_sgpr39
                                        ; implicit-def: $vgpr53
	s_and_saveexec_b64 s[36:37], vcc
	s_cbranch_execz .LBB62_122
; %bb.79:
	v_mul_u32_u24_e32 v2, 46, v0
	v_add_u32_e32 v55, v47, v2
	ds_read_b128 v[46:49], v55 offset:2
	v_or_b32_e32 v2, 2, v54
	v_cmp_ne_u32_e32 vcc, v42, v43
	v_cndmask_b32_e64 v3, 0, 1, vcc
	v_cmp_gt_u32_e32 vcc, s7, v2
	s_waitcnt lgkmcnt(0)
	v_and_b32_e32 v2, 0xffff, v46
	v_lshl_or_b32 v50, v3, 16, v2
	v_pk_mov_b32 v[18:19], s[28:29], s[28:29] op_sel:[0,1]
	v_pk_mov_b32 v[2:3], s[12:13], s[12:13] op_sel:[0,1]
	v_mov_b32_e32 v51, 0
	v_pk_mov_b32 v[20:21], s[30:31], s[30:31] op_sel:[0,1]
	v_pk_mov_b32 v[4:5], s[14:15], s[14:15] op_sel:[0,1]
	;; [unrolled: 1-line block ×8, first 2 shown]
                                        ; implicit-def: $sgpr12_sgpr13
                                        ; implicit-def: $vgpr53
	s_and_saveexec_b64 s[28:29], vcc
	s_cbranch_execz .LBB62_121
; %bb.80:
	v_cmp_ne_u32_e32 vcc, v43, v44
	s_mov_b32 s12, 0
	v_or_b32_e32 v2, 3, v54
	v_cndmask_b32_e64 v3, 0, 1, vcc
	s_mov_b32 s13, s12
	s_mov_b32 s40, s12
	;; [unrolled: 1-line block ×3, first 2 shown]
	v_alignbit_b32 v51, v3, v46, 16
	v_cmp_gt_u32_e32 vcc, s7, v2
	s_mov_b32 s14, s12
	s_mov_b32 s15, s12
	;; [unrolled: 1-line block ×16, first 2 shown]
	v_pk_mov_b32 v[18:19], s[40:41], s[40:41] op_sel:[0,1]
	v_pk_mov_b32 v[2:3], s[12:13], s[12:13] op_sel:[0,1]
	;; [unrolled: 1-line block ×10, first 2 shown]
                                        ; implicit-def: $sgpr38_sgpr39
                                        ; implicit-def: $vgpr53
	s_and_saveexec_b64 s[30:31], vcc
	s_cbranch_execz .LBB62_120
; %bb.81:
	v_cmp_ne_u32_e32 vcc, v44, v45
	v_and_b32_e32 v2, 0xffff, v47
	v_or_b32_e32 v3, 4, v54
	v_cndmask_b32_e64 v4, 0, 1, vcc
	v_lshl_or_b32 v18, v4, 16, v2
	v_cmp_gt_u32_e32 vcc, s7, v3
	v_mov_b32_e32 v20, 0
	v_pk_mov_b32 v[2:3], s[12:13], s[12:13] op_sel:[0,1]
	v_mov_b32_e32 v19, v20
	v_mov_b32_e32 v21, v20
	v_pk_mov_b32 v[4:5], s[14:15], s[14:15] op_sel:[0,1]
	v_pk_mov_b32 v[6:7], s[16:17], s[16:17] op_sel:[0,1]
	;; [unrolled: 1-line block ×7, first 2 shown]
                                        ; implicit-def: $sgpr12_sgpr13
                                        ; implicit-def: $vgpr53
	s_and_saveexec_b64 s[38:39], vcc
	s_cbranch_execz .LBB62_119
; %bb.82:
	v_cmp_ne_u32_e32 vcc, v45, v38
	s_mov_b32 s12, 0
	v_or_b32_e32 v2, 5, v54
	v_cndmask_b32_e64 v3, 0, 1, vcc
	s_mov_b32 s13, s12
	v_alignbit_b32 v19, v3, v47, 16
	v_cmp_gt_u32_e32 vcc, s7, v2
	s_mov_b32 s14, s12
	s_mov_b32 s15, s12
	;; [unrolled: 1-line block ×14, first 2 shown]
	v_pk_mov_b32 v[2:3], s[12:13], s[12:13] op_sel:[0,1]
	v_mov_b32_e32 v21, v20
	v_pk_mov_b32 v[4:5], s[14:15], s[14:15] op_sel:[0,1]
	v_pk_mov_b32 v[6:7], s[16:17], s[16:17] op_sel:[0,1]
	v_pk_mov_b32 v[8:9], s[18:19], s[18:19] op_sel:[0,1]
	v_pk_mov_b32 v[10:11], s[20:21], s[20:21] op_sel:[0,1]
	v_pk_mov_b32 v[12:13], s[22:23], s[22:23] op_sel:[0,1]
	v_pk_mov_b32 v[14:15], s[24:25], s[24:25] op_sel:[0,1]
	v_pk_mov_b32 v[16:17], s[26:27], s[26:27] op_sel:[0,1]
                                        ; implicit-def: $sgpr42_sgpr43
                                        ; implicit-def: $vgpr53
	s_and_saveexec_b64 s[40:41], vcc
	s_cbranch_execz .LBB62_118
; %bb.83:
	v_cmp_ne_u32_e32 vcc, v38, v39
	v_and_b32_e32 v2, 0xffff, v48
	v_or_b32_e32 v3, 6, v54
	v_cndmask_b32_e64 v4, 0, 1, vcc
	v_lshl_or_b32 v20, v4, 16, v2
	v_cmp_gt_u32_e32 vcc, s7, v3
	v_pk_mov_b32 v[2:3], s[12:13], s[12:13] op_sel:[0,1]
	v_mov_b32_e32 v21, s12
	v_pk_mov_b32 v[4:5], s[14:15], s[14:15] op_sel:[0,1]
	v_pk_mov_b32 v[6:7], s[16:17], s[16:17] op_sel:[0,1]
	;; [unrolled: 1-line block ×7, first 2 shown]
                                        ; implicit-def: $sgpr12_sgpr13
                                        ; implicit-def: $vgpr53
	s_and_saveexec_b64 s[42:43], vcc
	s_cbranch_execz .LBB62_117
; %bb.84:
	v_cmp_ne_u32_e32 vcc, v39, v40
	s_mov_b32 s12, 0
	v_or_b32_e32 v2, 7, v54
	v_cndmask_b32_e64 v3, 0, 1, vcc
	s_mov_b32 s13, s12
	v_alignbit_b32 v21, v3, v48, 16
	v_cmp_gt_u32_e32 vcc, s7, v2
	s_mov_b32 s14, s12
	s_mov_b32 s15, s12
	s_mov_b32 s16, s12
	s_mov_b32 s17, s12
	s_mov_b32 s18, s12
	s_mov_b32 s19, s12
	s_mov_b32 s20, s12
	s_mov_b32 s21, s12
	s_mov_b32 s22, s12
	s_mov_b32 s23, s12
	s_mov_b32 s24, s12
	s_mov_b32 s25, s12
	s_mov_b32 s26, s12
	s_mov_b32 s27, s12
	v_pk_mov_b32 v[2:3], s[12:13], s[12:13] op_sel:[0,1]
	v_pk_mov_b32 v[4:5], s[14:15], s[14:15] op_sel:[0,1]
	;; [unrolled: 1-line block ×8, first 2 shown]
                                        ; implicit-def: $sgpr14_sgpr15
                                        ; implicit-def: $vgpr53
	s_and_saveexec_b64 s[12:13], vcc
	s_cbranch_execz .LBB62_116
; %bb.85:
	v_cmp_ne_u32_e32 vcc, v40, v41
	v_and_b32_e32 v2, 0xffff, v49
	v_cndmask_b32_e64 v4, 0, 1, vcc
	v_add_u32_e32 v3, 8, v54
	v_lshl_or_b32 v2, v4, 16, v2
	v_mov_b32_e32 v4, 0
	v_cmp_gt_u32_e32 vcc, s7, v3
	v_mov_b32_e32 v3, v4
	v_mov_b32_e32 v5, v4
	v_mov_b32_e32 v6, v4
	v_mov_b32_e32 v7, v4
	v_mov_b32_e32 v8, v4
	v_mov_b32_e32 v9, v4
	v_mov_b32_e32 v10, v4
	v_mov_b32_e32 v11, v4
	v_mov_b32_e32 v12, v4
	v_mov_b32_e32 v13, v4
	v_mov_b32_e32 v14, v4
	v_mov_b32_e32 v15, v4
	v_mov_b32_e32 v16, v4
	v_mov_b32_e32 v17, v4
                                        ; implicit-def: $sgpr16_sgpr17
                                        ; implicit-def: $vgpr53
	s_and_saveexec_b64 s[14:15], vcc
	s_cbranch_execz .LBB62_115
; %bb.86:
	v_cmp_ne_u32_e32 vcc, v41, v34
	v_add_u32_e32 v5, 9, v54
	v_cndmask_b32_e64 v3, 0, 1, vcc
	v_alignbit_b32 v3, v3, v49, 16
	v_cmp_gt_u32_e32 vcc, s7, v5
	v_mov_b32_e32 v5, v4
	v_mov_b32_e32 v6, v4
	;; [unrolled: 1-line block ×13, first 2 shown]
                                        ; implicit-def: $sgpr18_sgpr19
                                        ; implicit-def: $vgpr53
	s_and_saveexec_b64 s[16:17], vcc
	s_cbranch_execz .LBB62_114
; %bb.87:
	ds_read_b128 v[38:41], v55 offset:18
	v_add_u32_e32 v4, 10, v54
	v_cmp_ne_u32_e32 vcc, v34, v35
	v_cndmask_b32_e64 v5, 0, 1, vcc
	v_cmp_gt_u32_e32 vcc, s7, v4
	s_waitcnt lgkmcnt(0)
	v_and_b32_e32 v4, 0xffff, v38
	v_mov_b32_e32 v6, 0
	v_lshl_or_b32 v4, v5, 16, v4
	v_mov_b32_e32 v5, v6
	v_mov_b32_e32 v7, v6
	;; [unrolled: 1-line block ×12, first 2 shown]
                                        ; implicit-def: $sgpr20_sgpr21
                                        ; implicit-def: $vgpr53
	s_and_saveexec_b64 s[18:19], vcc
	s_cbranch_execz .LBB62_113
; %bb.88:
	v_cmp_ne_u32_e32 vcc, v35, v36
	v_add_u32_e32 v7, 11, v54
	v_cndmask_b32_e64 v5, 0, 1, vcc
	v_alignbit_b32 v5, v5, v38, 16
	v_cmp_gt_u32_e32 vcc, s7, v7
	v_mov_b32_e32 v7, v6
	v_mov_b32_e32 v8, v6
	v_mov_b32_e32 v9, v6
	v_mov_b32_e32 v10, v6
	v_mov_b32_e32 v11, v6
	v_mov_b32_e32 v12, v6
	v_mov_b32_e32 v13, v6
	v_mov_b32_e32 v14, v6
	v_mov_b32_e32 v15, v6
	v_mov_b32_e32 v16, v6
	v_mov_b32_e32 v17, v6
                                        ; implicit-def: $sgpr22_sgpr23
                                        ; implicit-def: $vgpr53
	s_and_saveexec_b64 s[20:21], vcc
	s_cbranch_execz .LBB62_112
; %bb.89:
	v_cmp_ne_u32_e32 vcc, v36, v37
	v_and_b32_e32 v6, 0xffff, v39
	v_cndmask_b32_e64 v8, 0, 1, vcc
	v_add_u32_e32 v7, 12, v54
	v_lshl_or_b32 v6, v8, 16, v6
	v_mov_b32_e32 v8, 0
	v_cmp_gt_u32_e32 vcc, s7, v7
	v_mov_b32_e32 v7, v8
	v_mov_b32_e32 v9, v8
	;; [unrolled: 1-line block ×10, first 2 shown]
                                        ; implicit-def: $sgpr24_sgpr25
                                        ; implicit-def: $vgpr53
	s_and_saveexec_b64 s[22:23], vcc
	s_cbranch_execz .LBB62_111
; %bb.90:
	v_cmp_ne_u32_e32 vcc, v37, v30
	v_add_u32_e32 v9, 13, v54
	v_cndmask_b32_e64 v7, 0, 1, vcc
	v_alignbit_b32 v7, v7, v39, 16
	v_cmp_gt_u32_e32 vcc, s7, v9
	v_mov_b32_e32 v9, v8
	v_mov_b32_e32 v10, v8
	;; [unrolled: 1-line block ×9, first 2 shown]
                                        ; implicit-def: $sgpr26_sgpr27
                                        ; implicit-def: $vgpr53
	s_and_saveexec_b64 s[24:25], vcc
	s_cbranch_execz .LBB62_110
; %bb.91:
	v_cmp_ne_u32_e32 vcc, v30, v31
	v_and_b32_e32 v8, 0xffff, v40
	v_cndmask_b32_e64 v10, 0, 1, vcc
	v_add_u32_e32 v9, 14, v54
	v_lshl_or_b32 v8, v10, 16, v8
	v_mov_b32_e32 v10, 0
	v_cmp_gt_u32_e32 vcc, s7, v9
	v_mov_b32_e32 v9, v10
	v_mov_b32_e32 v11, v10
	;; [unrolled: 1-line block ×8, first 2 shown]
                                        ; implicit-def: $sgpr44_sgpr45
                                        ; implicit-def: $vgpr53
	s_and_saveexec_b64 s[26:27], vcc
	s_cbranch_execz .LBB62_109
; %bb.92:
	v_cmp_ne_u32_e32 vcc, v31, v32
	v_add_u32_e32 v11, 15, v54
	v_cndmask_b32_e64 v9, 0, 1, vcc
	v_alignbit_b32 v9, v9, v40, 16
	v_cmp_gt_u32_e32 vcc, s7, v11
	v_mov_b32_e32 v11, v10
	v_mov_b32_e32 v12, v10
	v_mov_b32_e32 v13, v10
	v_mov_b32_e32 v14, v10
	v_mov_b32_e32 v15, v10
	v_mov_b32_e32 v16, v10
	v_mov_b32_e32 v17, v10
                                        ; implicit-def: $sgpr46_sgpr47
                                        ; implicit-def: $vgpr53
	s_and_saveexec_b64 s[44:45], vcc
	s_cbranch_execz .LBB62_108
; %bb.93:
	v_cmp_ne_u32_e32 vcc, v32, v33
	v_and_b32_e32 v10, 0xffff, v41
	v_cndmask_b32_e64 v12, 0, 1, vcc
	v_add_u32_e32 v11, 16, v54
	v_lshl_or_b32 v10, v12, 16, v10
	v_mov_b32_e32 v12, 0
	v_cmp_gt_u32_e32 vcc, s7, v11
	v_mov_b32_e32 v11, v12
	v_mov_b32_e32 v13, v12
	v_mov_b32_e32 v14, v12
	v_mov_b32_e32 v15, v12
	v_mov_b32_e32 v16, v12
	v_mov_b32_e32 v17, v12
                                        ; implicit-def: $sgpr48_sgpr49
                                        ; implicit-def: $vgpr53
	s_and_saveexec_b64 s[46:47], vcc
	s_cbranch_execz .LBB62_107
; %bb.94:
	v_cmp_ne_u32_e32 vcc, v33, v26
	v_add_u32_e32 v13, 17, v54
	v_cndmask_b32_e64 v11, 0, 1, vcc
	v_alignbit_b32 v11, v11, v41, 16
	v_cmp_gt_u32_e32 vcc, s7, v13
	v_mov_b32_e32 v13, v12
	v_mov_b32_e32 v14, v12
	;; [unrolled: 1-line block ×5, first 2 shown]
                                        ; implicit-def: $sgpr50_sgpr51
                                        ; implicit-def: $vgpr53
	s_and_saveexec_b64 s[48:49], vcc
	s_cbranch_execz .LBB62_106
; %bb.95:
	ds_read_b96 v[30:32], v55 offset:34
	v_add_u32_e32 v12, 18, v54
	v_cmp_ne_u32_e32 vcc, v26, v27
	v_cndmask_b32_e64 v13, 0, 1, vcc
	v_cmp_gt_u32_e32 vcc, s7, v12
	s_waitcnt lgkmcnt(0)
	v_and_b32_e32 v12, 0xffff, v30
	v_mov_b32_e32 v14, 0
	v_lshl_or_b32 v12, v13, 16, v12
	v_mov_b32_e32 v13, v14
	v_mov_b32_e32 v15, v14
	;; [unrolled: 1-line block ×4, first 2 shown]
                                        ; implicit-def: $sgpr52_sgpr53
                                        ; implicit-def: $vgpr53
	s_and_saveexec_b64 s[50:51], vcc
	s_cbranch_execz .LBB62_105
; %bb.96:
	v_cmp_ne_u32_e32 vcc, v27, v28
	v_add_u32_e32 v15, 19, v54
	v_cndmask_b32_e64 v13, 0, 1, vcc
	v_alignbit_b32 v13, v13, v30, 16
	v_cmp_gt_u32_e32 vcc, s7, v15
	v_mov_b32_e32 v15, v14
	v_mov_b32_e32 v16, v14
	;; [unrolled: 1-line block ×3, first 2 shown]
                                        ; implicit-def: $sgpr54_sgpr55
                                        ; implicit-def: $vgpr53
	s_and_saveexec_b64 s[52:53], vcc
	s_cbranch_execz .LBB62_104
; %bb.97:
	v_cmp_ne_u32_e32 vcc, v28, v29
	v_and_b32_e32 v14, 0xffff, v31
	v_cndmask_b32_e64 v16, 0, 1, vcc
	v_add_u32_e32 v15, 20, v54
	v_lshl_or_b32 v14, v16, 16, v14
	v_mov_b32_e32 v16, 0
	v_cmp_gt_u32_e32 vcc, s7, v15
	v_mov_b32_e32 v15, v16
	v_mov_b32_e32 v17, v16
                                        ; implicit-def: $sgpr66_sgpr67
                                        ; implicit-def: $vgpr53
	s_and_saveexec_b64 s[54:55], vcc
	s_cbranch_execz .LBB62_103
; %bb.98:
	v_cmp_ne_u32_e32 vcc, v29, v22
	v_add_u32_e32 v17, 21, v54
	v_cndmask_b32_e64 v15, 0, 1, vcc
	v_alignbit_b32 v15, v15, v31, 16
	v_cmp_gt_u32_e32 vcc, s7, v17
	s_mov_b32 s9, 0
	v_mov_b32_e32 v17, v16
                                        ; implicit-def: $sgpr72_sgpr73
                                        ; implicit-def: $vgpr53
	s_and_saveexec_b64 s[66:67], vcc
	s_cbranch_execz .LBB62_102
; %bb.99:
	v_cmp_ne_u32_e32 vcc, v22, v23
	v_and_b32_e32 v16, 0xffff, v32
	v_add_u32_e32 v17, 22, v54
	v_cndmask_b32_e64 v22, 0, 1, vcc
	v_lshl_or_b32 v16, v22, 16, v16
	v_cmp_gt_u32_e32 vcc, s7, v17
	v_mov_b32_e32 v17, s9
                                        ; implicit-def: $sgpr72_sgpr73
                                        ; implicit-def: $vgpr53
	s_and_saveexec_b64 s[74:75], vcc
	s_xor_b64 s[74:75], exec, s[74:75]
	s_cbranch_execz .LBB62_101
; %bb.100:
	ds_read_u16 v53, v55 offset:46
	v_add_u32_e32 v22, 23, v54
	v_cmp_ne_u32_e64 s[2:3], v23, v24
	v_cmp_ne_u32_e32 vcc, v24, v25
	v_cndmask_b32_e64 v17, 0, 1, s[2:3]
	v_cmp_gt_u32_e64 s[2:3], s7, v22
	v_alignbit_b32 v17, v17, v32, 16
	s_and_b64 s[72:73], vcc, exec
	s_and_b64 s[2:3], s[2:3], exec
.LBB62_101:
	s_or_b64 exec, exec, s[74:75]
	s_and_b64 s[72:73], s[72:73], exec
	s_and_b64 s[2:3], s[2:3], exec
.LBB62_102:
	s_or_b64 exec, exec, s[66:67]
	s_and_b64 s[66:67], s[72:73], exec
	s_and_b64 s[2:3], s[2:3], exec
.LBB62_103:
	s_or_b64 exec, exec, s[54:55]
	s_and_b64 s[54:55], s[66:67], exec
	s_and_b64 s[2:3], s[2:3], exec
.LBB62_104:
	s_or_b64 exec, exec, s[52:53]
	s_and_b64 s[52:53], s[54:55], exec
	s_and_b64 s[2:3], s[2:3], exec
.LBB62_105:
	s_or_b64 exec, exec, s[50:51]
	s_and_b64 s[50:51], s[52:53], exec
	s_and_b64 s[2:3], s[2:3], exec
.LBB62_106:
	s_or_b64 exec, exec, s[48:49]
	s_and_b64 s[48:49], s[50:51], exec
	s_and_b64 s[2:3], s[2:3], exec
.LBB62_107:
	s_or_b64 exec, exec, s[46:47]
	s_and_b64 s[46:47], s[48:49], exec
	s_and_b64 s[2:3], s[2:3], exec
.LBB62_108:
	s_or_b64 exec, exec, s[44:45]
	s_and_b64 s[44:45], s[46:47], exec
	s_and_b64 s[2:3], s[2:3], exec
.LBB62_109:
	s_or_b64 exec, exec, s[26:27]
	s_and_b64 s[26:27], s[44:45], exec
	s_and_b64 s[2:3], s[2:3], exec
.LBB62_110:
	s_or_b64 exec, exec, s[24:25]
	s_and_b64 s[24:25], s[26:27], exec
	s_and_b64 s[2:3], s[2:3], exec
.LBB62_111:
	s_or_b64 exec, exec, s[22:23]
	s_and_b64 s[22:23], s[24:25], exec
	s_and_b64 s[2:3], s[2:3], exec
.LBB62_112:
	s_or_b64 exec, exec, s[20:21]
	s_and_b64 s[20:21], s[22:23], exec
	s_and_b64 s[2:3], s[2:3], exec
.LBB62_113:
	s_or_b64 exec, exec, s[18:19]
	s_and_b64 s[18:19], s[20:21], exec
	s_and_b64 s[2:3], s[2:3], exec
.LBB62_114:
	s_or_b64 exec, exec, s[16:17]
	s_and_b64 s[16:17], s[18:19], exec
	s_and_b64 s[2:3], s[2:3], exec
.LBB62_115:
	s_or_b64 exec, exec, s[14:15]
	s_and_b64 s[14:15], s[16:17], exec
	s_and_b64 s[2:3], s[2:3], exec
.LBB62_116:
	s_or_b64 exec, exec, s[12:13]
	s_and_b64 s[12:13], s[14:15], exec
	s_and_b64 s[2:3], s[2:3], exec
.LBB62_117:
	s_or_b64 exec, exec, s[42:43]
	s_and_b64 s[42:43], s[12:13], exec
	s_and_b64 s[2:3], s[2:3], exec
.LBB62_118:
	s_or_b64 exec, exec, s[40:41]
	s_and_b64 s[12:13], s[42:43], exec
	s_and_b64 s[2:3], s[2:3], exec
.LBB62_119:
	s_or_b64 exec, exec, s[38:39]
	s_and_b64 s[38:39], s[12:13], exec
	s_and_b64 s[2:3], s[2:3], exec
.LBB62_120:
	s_or_b64 exec, exec, s[30:31]
	s_and_b64 s[12:13], s[38:39], exec
	s_and_b64 s[2:3], s[2:3], exec
.LBB62_121:
	s_or_b64 exec, exec, s[28:29]
	s_and_b64 s[38:39], s[12:13], exec
	s_and_b64 s[2:3], s[2:3], exec
.LBB62_122:
	s_or_b64 exec, exec, s[36:37]
	s_and_b64 s[12:13], s[38:39], exec
	s_and_b64 s[14:15], s[2:3], exec
.LBB62_123:
	s_or_b64 exec, exec, s[10:11]
	s_and_b64 vcc, exec, s[34:35]
	v_cmp_ne_u32_e64 s[2:3], 0, v0
	s_cbranch_vccnz .LBB62_125
	s_branch .LBB62_128
.LBB62_124:
	s_mov_b64 s[14:15], 0
                                        ; implicit-def: $sgpr12_sgpr13
                                        ; implicit-def: $vgpr50_vgpr51
                                        ; implicit-def: $vgpr18_vgpr19_vgpr20_vgpr21
                                        ; implicit-def: $vgpr2_vgpr3_vgpr4_vgpr5_vgpr6_vgpr7_vgpr8_vgpr9_vgpr10_vgpr11_vgpr12_vgpr13_vgpr14_vgpr15_vgpr16_vgpr17
                                        ; implicit-def: $vgpr53
                                        ; implicit-def: $vgpr1
                                        ; implicit-def: $sgpr8
	s_and_b64 vcc, exec, s[34:35]
	v_cmp_ne_u32_e64 s[2:3], 0, v0
	s_cbranch_vccz .LBB62_128
.LBB62_125:
	v_mov_b32_e32 v1, s71
	v_add_co_u32_e32 v2, vcc, s70, v52
	v_addc_co_u32_e32 v1, vcc, 0, v1, vcc
	s_movk_i32 s7, 0x1000
	v_add_co_u32_e32 v2, vcc, s7, v2
	v_addc_co_u32_e32 v3, vcc, 0, v1, vcc
	global_load_dword v4, v52, s[70:71]
	global_load_dword v5, v52, s[70:71] offset:256
	global_load_dword v6, v52, s[70:71] offset:512
	;; [unrolled: 1-line block ×15, first 2 shown]
	global_load_dword v20, v[2:3], off
	global_load_dword v21, v[2:3], off offset:256
	global_load_dword v22, v[2:3], off offset:512
	;; [unrolled: 1-line block ×7, first 2 shown]
	s_sub_u32 s8, 0, s6
	s_subb_u32 s9, 0, 0
	s_cmp_eq_u64 s[8:9], s[64:65]
	s_movk_i32 s7, 0x5c
	s_cselect_b32 s8, 0, -4
	v_mad_u32_u24 v38, v0, s7, v52
	s_cselect_b32 s7, 0, -1
	s_add_u32 s8, s70, s8
	s_addc_u32 s9, s71, s7
	s_movk_i32 s10, 0xffa4
	v_mad_i32_i24 v1, v0, s10, v38
	s_waitcnt vmcnt(22)
	ds_write2st64_b32 v52, v4, v5 offset1:1
	s_waitcnt vmcnt(20)
	ds_write2st64_b32 v52, v6, v7 offset0:2 offset1:3
	s_waitcnt vmcnt(18)
	ds_write2st64_b32 v52, v8, v9 offset0:4 offset1:5
	;; [unrolled: 2-line block ×11, first 2 shown]
	s_waitcnt lgkmcnt(0)
	; wave barrier
	s_waitcnt lgkmcnt(0)
	ds_read2_b64 v[2:5], v38 offset1:11
	ds_read2_b64 v[34:37], v38 offset0:9 offset1:10
	ds_read2_b64 v[30:33], v38 offset0:7 offset1:8
	;; [unrolled: 1-line block ×3, first 2 shown]
	s_load_dword s7, s[8:9], 0x0
	ds_read2_b64 v[6:9], v38 offset0:1 offset1:2
	ds_read2_b64 v[22:25], v38 offset0:3 offset1:4
	s_waitcnt lgkmcnt(0)
	ds_write_b32 v1, v5 offset:6144
	s_waitcnt lgkmcnt(0)
	; wave barrier
	s_waitcnt lgkmcnt(0)
	v_mov_b32_e32 v10, s7
	s_and_saveexec_b64 s[8:9], s[2:3]
	s_cbranch_execz .LBB62_127
; %bb.126:
	ds_read_b32 v10, v1 offset:6140
.LBB62_127:
	s_or_b64 exec, exec, s[8:9]
	v_lshlrev_b32_e32 v11, 1, v0
	s_waitcnt lgkmcnt(0)
	; wave barrier
	s_waitcnt lgkmcnt(0)
	global_load_ushort v12, v11, s[68:69]
	global_load_ushort v13, v11, s[68:69] offset:128
	global_load_ushort v14, v11, s[68:69] offset:256
	;; [unrolled: 1-line block ×23, first 2 shown]
	v_cmp_ne_u32_e32 vcc, v10, v2
	v_cmp_ne_u32_e64 s[12:13], v4, v5
	v_cndmask_b32_e64 v5, 0, 1, vcc
	v_cmp_ne_u32_e32 vcc, v3, v6
	v_cndmask_b32_e64 v54, 0, 1, vcc
	v_cmp_ne_u32_e32 vcc, v2, v3
	;; [unrolled: 2-line block ×4, first 2 shown]
	v_sub_u32_e32 v1, v1, v11
	v_cndmask_b32_e64 v55, 0, 1, vcc
	v_cmp_ne_u32_e32 vcc, v8, v9
	v_mad_u32_u24 v53, v0, 46, v1
	v_cndmask_b32_e64 v56, 0, 1, vcc
	v_cmp_ne_u32_e32 vcc, v6, v7
	v_cndmask_b32_e64 v57, 0, 1, vcc
	v_cmp_ne_u32_e32 vcc, v37, v4
	s_mov_b64 s[14:15], -1
                                        ; implicit-def: $sgpr8
	s_waitcnt vmcnt(23)
	ds_write_b16 v1, v12
	s_waitcnt vmcnt(22)
	ds_write_b16 v1, v13 offset:128
	s_waitcnt vmcnt(21)
	ds_write_b16 v1, v14 offset:256
	;; [unrolled: 2-line block ×23, first 2 shown]
	s_waitcnt lgkmcnt(0)
	; wave barrier
	s_waitcnt lgkmcnt(0)
	ds_read_u16 v1, v53
	ds_read_b96 v[10:12], v53 offset:2
	ds_read_b128 v[38:41], v53 offset:14
	ds_read_b128 v[6:9], v53 offset:30
	ds_read_u16 v53, v53 offset:46
	s_waitcnt lgkmcnt(4)
	v_lshl_or_b32 v1, v5, 16, v1
	s_waitcnt lgkmcnt(3)
	v_alignbit_b32 v21, v3, v12, 16
	v_cndmask_b32_e64 v3, 0, 1, vcc
	v_cmp_ne_u32_e32 vcc, v35, v36
	s_waitcnt lgkmcnt(1)
	v_alignbit_b32 v17, v3, v9, 16
	v_cndmask_b32_e64 v3, 0, 1, vcc
	v_cmp_ne_u32_e32 vcc, v33, v34
	v_and_b32_e32 v13, 0xffff, v12
	v_alignbit_b32 v15, v3, v8, 16
	v_cndmask_b32_e64 v3, 0, 1, vcc
	v_cmp_ne_u32_e32 vcc, v31, v32
	v_lshl_or_b32 v20, v56, 16, v13
	v_alignbit_b32 v13, v3, v7, 16
	v_cndmask_b32_e64 v3, 0, 1, vcc
	v_cmp_ne_u32_e32 vcc, v29, v30
	v_and_b32_e32 v5, 0xffff, v10
	v_alignbit_b32 v51, v54, v10, 16
	v_and_b32_e32 v10, 0xffff, v11
	v_alignbit_b32 v19, v55, v11, 16
	v_alignbit_b32 v11, v3, v6, 16
	v_cndmask_b32_e64 v3, 0, 1, vcc
	v_cmp_ne_u32_e32 vcc, v27, v28
	v_and_b32_e32 v16, 0xffff, v9
	v_alignbit_b32 v9, v3, v41, 16
	v_cndmask_b32_e64 v3, 0, 1, vcc
	v_cmp_ne_u32_e32 vcc, v25, v26
	v_and_b32_e32 v12, 0xffff, v7
	v_alignbit_b32 v7, v3, v40, 16
	v_cndmask_b32_e64 v3, 0, 1, vcc
	v_cmp_ne_u32_e32 vcc, v23, v24
	v_lshl_or_b32 v50, v2, 16, v5
	v_alignbit_b32 v5, v3, v39, 16
	v_cndmask_b32_e64 v3, 0, 1, vcc
	v_cmp_ne_u32_e32 vcc, v36, v37
	v_cndmask_b32_e64 v4, 0, 1, vcc
	v_cmp_ne_u32_e32 vcc, v34, v35
	v_and_b32_e32 v14, 0xffff, v8
	v_lshl_or_b32 v16, v4, 16, v16
	v_cndmask_b32_e64 v4, 0, 1, vcc
	v_cmp_ne_u32_e32 vcc, v32, v33
	v_lshl_or_b32 v14, v4, 16, v14
	v_cndmask_b32_e64 v4, 0, 1, vcc
	v_cmp_ne_u32_e32 vcc, v30, v31
	v_lshl_or_b32 v18, v57, 16, v10
	v_and_b32_e32 v10, 0xffff, v6
	v_lshl_or_b32 v12, v4, 16, v12
	v_cndmask_b32_e64 v4, 0, 1, vcc
	v_cmp_ne_u32_e32 vcc, v28, v29
	v_and_b32_e32 v2, 0xffff, v41
	v_lshl_or_b32 v10, v4, 16, v10
	v_cndmask_b32_e64 v4, 0, 1, vcc
	v_cmp_ne_u32_e32 vcc, v26, v27
	;; [unrolled: 4-line block ×4, first 2 shown]
	v_and_b32_e32 v42, 0xffff, v38
	v_lshl_or_b32 v4, v2, 16, v43
	v_cndmask_b32_e64 v2, 0, 1, vcc
	v_alignbit_b32 v3, v3, v38, 16
	v_lshl_or_b32 v2, v2, 16, v42
.LBB62_128:
	v_mov_b32_e32 v32, s8
	s_and_saveexec_b64 s[2:3], s[14:15]
	s_cbranch_execz .LBB62_130
; %bb.129:
	v_mov_b32_e32 v22, 0x10000
	v_cndmask_b32_e64 v22, 0, v22, s[12:13]
	s_waitcnt lgkmcnt(0)
	v_or_b32_sdwa v32, v22, v53 dst_sel:DWORD dst_unused:UNUSED_PAD src0_sel:DWORD src1_sel:WORD_0
.LBB62_130:
	s_or_b64 exec, exec, s[2:3]
	s_cmp_lg_u32 s6, 0
	v_mbcnt_lo_u32_b32 v33, -1, 0
	s_waitcnt lgkmcnt(0)
	; wave barrier
	s_waitcnt lgkmcnt(0)
	s_cbranch_scc0 .LBB62_211
; %bb.131:
	s_mov_b32 s7, 0x10000
	v_max_i16_e32 v22, v1, v50
	v_cmp_gt_u32_e64 s[2:3], s7, v50
	v_cndmask_b32_e64 v22, v50, v22, s[2:3]
	v_max_i16_e32 v22, v22, v51
	v_cmp_gt_u32_e64 s[54:55], s7, v51
	v_cndmask_b32_e64 v22, v51, v22, s[54:55]
	;; [unrolled: 3-line block ×16, first 2 shown]
	v_max_i16_e32 v22, v22, v12
	v_cmp_gt_u32_e64 s[38:39], s7, v12
	v_or3_b32 v24, v32, v17, v16
	v_cndmask_b32_e64 v22, v12, v22, s[38:39]
	v_or3_b32 v24, v24, v15, v14
	v_max_i16_e32 v22, v22, v13
	v_cmp_gt_u32_e64 s[40:41], s7, v13
	v_or3_b32 v24, v24, v13, v12
	v_cndmask_b32_e64 v22, v13, v22, s[40:41]
	v_or3_b32 v24, v24, v11, v10
	;; [unrolled: 5-line block ×5, first 2 shown]
	v_max_i16_e32 v22, v22, v17
	v_cmp_gt_u32_e64 s[48:49], s7, v17
	v_or3_b32 v24, v24, v51, v50
	v_cndmask_b32_e64 v22, v17, v22, s[48:49]
	v_and_b32_e32 v24, 0x10000, v24
	v_and_b32_e32 v23, 0x10000, v1
	v_max_i16_e32 v22, v22, v32
	v_cmp_gt_u32_e64 s[50:51], s7, v32
	v_mov_b32_e32 v25, 0x10000
	v_cmp_eq_u32_e32 vcc, 0, v24
	v_cndmask_b32_e64 v22, v32, v22, s[50:51]
	v_cndmask_b32_e32 v24, v25, v23, vcc
	v_mbcnt_hi_u32_b32 v25, -1, v33
	v_and_b32_e32 v28, 15, v25
	v_or_b32_sdwa v27, v24, v22 dst_sel:DWORD dst_unused:UNUSED_PAD src0_sel:DWORD src1_sel:WORD_0
	v_lshrrev_b32_e32 v23, 16, v24
	v_cmp_ne_u32_e32 vcc, 0, v28
	v_mov_b32_dpp v26, v27 row_shr:1 row_mask:0xf bank_mask:0xf
	s_and_saveexec_b64 s[52:53], vcc
; %bb.132:
	v_and_b32_e32 v23, 0x10000, v24
	v_mov_b32_e32 v27, 1
	v_and_b32_sdwa v27, v26, v27 dst_sel:DWORD dst_unused:UNUSED_PAD src0_sel:WORD_1 src1_sel:DWORD
	v_cmp_ne_u32_e32 vcc, 0, v23
	v_cndmask_b32_e64 v23, v27, 1, vcc
	v_max_i16_e32 v26, v26, v22
	v_cmp_eq_u32_e32 vcc, 0, v24
	v_cndmask_b32_e32 v22, v22, v26, vcc
	v_lshlrev_b32_e32 v24, 16, v23
	v_or_b32_sdwa v27, v24, v22 dst_sel:DWORD dst_unused:UNUSED_PAD src0_sel:DWORD src1_sel:WORD_0
; %bb.133:
	s_or_b64 exec, exec, s[52:53]
	v_lshrrev_b32_e32 v26, 16, v27
	v_mov_b32_dpp v29, v27 row_shr:2 row_mask:0xf bank_mask:0xf
	v_cmp_lt_u32_e32 vcc, 1, v28
	v_mov_b32_e32 v24, v27
	s_and_saveexec_b64 s[52:53], vcc
	s_cbranch_execz .LBB62_135
; %bb.134:
	v_and_b32_e32 v22, 0x10000, v27
	v_mov_b32_e32 v23, 1
	v_and_b32_sdwa v23, v29, v23 dst_sel:DWORD dst_unused:UNUSED_PAD src0_sel:WORD_1 src1_sel:DWORD
	v_cmp_ne_u32_e32 vcc, 0, v22
	v_cndmask_b32_e64 v23, v23, 1, vcc
	v_max_i16_e32 v22, v29, v27
	v_cmp_gt_u32_e32 vcc, s7, v27
	v_cndmask_b32_e32 v22, v27, v22, vcc
	v_lshlrev_b32_e32 v24, 16, v23
	v_or_b32_sdwa v27, v24, v22 dst_sel:DWORD dst_unused:UNUSED_PAD src0_sel:DWORD src1_sel:WORD_0
	v_mov_b32_e32 v24, v22
	v_mov_b32_e32 v26, v23
.LBB62_135:
	s_or_b64 exec, exec, s[52:53]
	v_mov_b32_dpp v29, v27 row_shr:4 row_mask:0xf bank_mask:0xf
	v_cmp_lt_u32_e32 vcc, 3, v28
	s_and_saveexec_b64 s[52:53], vcc
	s_cbranch_execz .LBB62_137
; %bb.136:
	v_and_b32_e32 v22, 1, v26
	v_mov_b32_e32 v23, 1
	v_and_b32_sdwa v23, v29, v23 dst_sel:DWORD dst_unused:UNUSED_PAD src0_sel:WORD_1 src1_sel:DWORD
	v_cmp_eq_u32_e32 vcc, 1, v22
	v_cndmask_b32_e64 v23, v23, 1, vcc
	v_max_i16_e32 v22, v29, v24
	v_cmp_eq_u16_e32 vcc, 0, v26
	v_cndmask_b32_e32 v22, v24, v22, vcc
	v_lshlrev_b32_e32 v24, 16, v23
	v_or_b32_sdwa v27, v24, v22 dst_sel:DWORD dst_unused:UNUSED_PAD src0_sel:DWORD src1_sel:WORD_0
	v_mov_b32_e32 v24, v22
	v_mov_b32_e32 v26, v23
.LBB62_137:
	s_or_b64 exec, exec, s[52:53]
	v_mov_b32_dpp v29, v27 row_shr:8 row_mask:0xf bank_mask:0xf
	v_cmp_lt_u32_e32 vcc, 7, v28
	s_and_saveexec_b64 s[52:53], vcc
	s_cbranch_execz .LBB62_139
; %bb.138:
	v_and_b32_e32 v22, 1, v26
	v_mov_b32_e32 v23, 1
	v_and_b32_sdwa v23, v29, v23 dst_sel:DWORD dst_unused:UNUSED_PAD src0_sel:WORD_1 src1_sel:DWORD
	v_cmp_eq_u32_e32 vcc, 1, v22
	v_cndmask_b32_e64 v23, v23, 1, vcc
	v_max_i16_e32 v22, v29, v24
	v_cmp_eq_u16_e32 vcc, 0, v26
	v_cndmask_b32_e32 v22, v24, v22, vcc
	v_lshlrev_b32_e32 v24, 16, v23
	v_or_b32_sdwa v27, v24, v22 dst_sel:DWORD dst_unused:UNUSED_PAD src0_sel:DWORD src1_sel:WORD_0
	v_mov_b32_e32 v24, v22
	v_mov_b32_e32 v26, v23
.LBB62_139:
	s_or_b64 exec, exec, s[52:53]
	v_and_b32_e32 v29, 16, v25
	v_mov_b32_dpp v28, v27 row_bcast:15 row_mask:0xf bank_mask:0xf
	v_cmp_ne_u32_e32 vcc, 0, v29
	s_and_saveexec_b64 s[52:53], vcc
	s_cbranch_execz .LBB62_141
; %bb.140:
	v_and_b32_e32 v22, 1, v26
	v_mov_b32_e32 v23, 1
	v_and_b32_sdwa v23, v28, v23 dst_sel:DWORD dst_unused:UNUSED_PAD src0_sel:WORD_1 src1_sel:DWORD
	v_cmp_eq_u32_e32 vcc, 1, v22
	v_cndmask_b32_e64 v23, v23, 1, vcc
	v_max_i16_e32 v22, v28, v24
	v_cmp_eq_u16_e32 vcc, 0, v26
	v_cndmask_b32_e32 v22, v24, v22, vcc
	v_lshlrev_b32_e32 v24, 16, v23
	v_or_b32_sdwa v27, v24, v22 dst_sel:DWORD dst_unused:UNUSED_PAD src0_sel:DWORD src1_sel:WORD_0
	v_mov_b32_e32 v24, v22
	v_mov_b32_e32 v26, v23
.LBB62_141:
	s_or_b64 exec, exec, s[52:53]
	v_mov_b32_dpp v27, v27 row_bcast:31 row_mask:0xf bank_mask:0xf
	v_cmp_lt_u32_e32 vcc, 31, v25
	s_and_saveexec_b64 s[52:53], vcc
; %bb.142:
	v_and_b32_e32 v22, 1, v26
	v_mov_b32_e32 v23, 1
	v_and_b32_sdwa v23, v27, v23 dst_sel:DWORD dst_unused:UNUSED_PAD src0_sel:WORD_1 src1_sel:DWORD
	v_cmp_eq_u32_e32 vcc, 1, v22
	v_cndmask_b32_e64 v23, v23, 1, vcc
	v_max_i16_e32 v22, v27, v24
	v_cmp_eq_u16_e32 vcc, 0, v26
	v_cndmask_b32_e32 v22, v24, v22, vcc
	v_mov_b32_e32 v26, v23
	v_mov_b32_e32 v24, v22
; %bb.143:
	s_or_b64 exec, exec, s[52:53]
	v_cmp_eq_u32_e32 vcc, 63, v0
	s_and_saveexec_b64 s[52:53], vcc
	s_cbranch_execz .LBB62_145
; %bb.144:
	v_mov_b32_e32 v27, 0
	ds_write_b16 v27, v24
	ds_write_b8 v27, v26 offset:2
.LBB62_145:
	s_or_b64 exec, exec, s[52:53]
	v_lshlrev_b32_e32 v23, 16, v23
	v_or_b32_sdwa v22, v23, v22 dst_sel:DWORD dst_unused:UNUSED_PAD src0_sel:DWORD src1_sel:WORD_0
	v_add_u32_e32 v23, -1, v25
	v_and_b32_e32 v24, 64, v25
	v_cmp_lt_i32_e32 vcc, v23, v24
	v_cndmask_b32_e32 v23, v23, v25, vcc
	v_lshlrev_b32_e32 v23, 2, v23
	ds_bpermute_b32 v34, v23, v22
	v_cmp_gt_u32_e32 vcc, 64, v0
	s_waitcnt lgkmcnt(0)
	; wave barrier
	s_waitcnt lgkmcnt(0)
	s_and_saveexec_b64 s[64:65], vcc
	s_cbranch_execz .LBB62_188
; %bb.146:
	v_mov_b32_e32 v29, 0
	ds_read_b32 v22, v29
	s_mov_b32 s69, 0
	v_cmp_eq_u32_e64 s[52:53], 0, v25
	s_and_saveexec_b64 s[66:67], s[52:53]
	s_cbranch_execz .LBB62_148
; %bb.147:
	s_add_i32 s68, s6, 64
	s_lshl_b64 s[68:69], s[68:69], 3
	s_add_u32 s68, s60, s68
	s_addc_u32 s69, s61, s69
	v_mov_b32_e32 v23, 1
	s_waitcnt lgkmcnt(0)
	global_store_dwordx2 v29, v[22:23], s[68:69]
.LBB62_148:
	s_or_b64 exec, exec, s[66:67]
	v_xad_u32 v24, v25, -1, s6
	v_add_u32_e32 v28, 64, v24
	v_lshlrev_b64 v[26:27], 3, v[28:29]
	v_mov_b32_e32 v23, s61
	v_add_co_u32_e32 v30, vcc, s60, v26
	v_addc_co_u32_e32 v31, vcc, v23, v27, vcc
	global_load_dwordx2 v[26:27], v[30:31], off glc
	s_waitcnt vmcnt(0)
	v_cmp_eq_u16_sdwa s[68:69], v27, v29 src0_sel:BYTE_0 src1_sel:DWORD
	s_and_saveexec_b64 s[66:67], s[68:69]
	s_cbranch_execz .LBB62_152
; %bb.149:
	s_mov_b64 s[68:69], 0
	v_mov_b32_e32 v23, 0
.LBB62_150:                             ; =>This Inner Loop Header: Depth=1
	global_load_dwordx2 v[26:27], v[30:31], off glc
	s_waitcnt vmcnt(0)
	v_cmp_ne_u16_sdwa s[70:71], v27, v23 src0_sel:BYTE_0 src1_sel:DWORD
	s_or_b64 s[68:69], s[70:71], s[68:69]
	s_andn2_b64 exec, exec, s[68:69]
	s_cbranch_execnz .LBB62_150
; %bb.151:
	s_or_b64 exec, exec, s[68:69]
.LBB62_152:
	s_or_b64 exec, exec, s[66:67]
	v_mov_b32_e32 v23, 2
	v_cmp_eq_u16_sdwa s[66:67], v27, v23 src0_sel:BYTE_0 src1_sel:DWORD
	v_lshlrev_b64 v[28:29], v25, -1
	v_and_b32_e32 v23, s67, v29
	v_or_b32_e32 v23, 0x80000000, v23
	v_and_b32_e32 v30, s66, v28
	v_ffbl_b32_e32 v23, v23
	v_and_b32_e32 v31, 63, v25
	v_add_u32_e32 v23, 32, v23
	v_ffbl_b32_e32 v30, v30
	v_cmp_ne_u32_e32 vcc, 63, v31
	v_min_u32_e32 v30, v30, v23
	v_addc_co_u32_e32 v23, vcc, 0, v25, vcc
	v_and_b32_e32 v46, 0xffffff, v26
	v_lshlrev_b32_e32 v23, 2, v23
	ds_bpermute_b32 v36, v23, v46
	v_add_u32_e32 v35, 1, v25
	v_lshrrev_b32_e32 v53, 16, v26
	v_cmp_le_u32_e32 vcc, v35, v30
	v_bfe_u32 v44, v26, 16, 8
	s_and_saveexec_b64 s[66:67], vcc
	s_cbranch_execz .LBB62_154
; %bb.153:
	v_and_b32_e32 v37, 0xff0000, v26
	s_waitcnt lgkmcnt(0)
	v_max_i16_e32 v38, v36, v26
	v_cmp_eq_u32_e32 vcc, 0, v37
	v_cndmask_b32_e32 v26, v26, v38, vcc
	v_and_b32_e32 v37, 0x10000, v37
	v_mov_b32_e32 v38, 1
	v_and_b32_sdwa v36, v36, v38 dst_sel:DWORD dst_unused:UNUSED_PAD src0_sel:WORD_1 src1_sel:DWORD
	v_cmp_ne_u32_e32 vcc, 0, v37
	v_cndmask_b32_e64 v53, v36, 1, vcc
	v_lshlrev_b32_e32 v36, 16, v53
	v_or_b32_sdwa v46, v36, v26 dst_sel:DWORD dst_unused:UNUSED_PAD src0_sel:DWORD src1_sel:WORD_0
	v_mov_b32_e32 v44, v53
.LBB62_154:
	s_or_b64 exec, exec, s[66:67]
	v_cmp_gt_u32_e32 vcc, 62, v31
	s_waitcnt lgkmcnt(0)
	v_cndmask_b32_e64 v36, 0, 1, vcc
	v_lshlrev_b32_e32 v36, 1, v36
	v_add_lshl_u32 v36, v36, v25, 2
	ds_bpermute_b32 v38, v36, v46
	v_add_u32_e32 v37, 2, v25
	v_cmp_le_u32_e32 vcc, v37, v30
	s_and_saveexec_b64 s[66:67], vcc
	s_cbranch_execz .LBB62_156
; %bb.155:
	s_waitcnt lgkmcnt(0)
	v_max_i16_e32 v39, v38, v26
	v_cmp_eq_u16_e32 vcc, 0, v44
	v_cndmask_b32_e32 v26, v26, v39, vcc
	v_and_b32_e32 v39, 1, v44
	v_mov_b32_e32 v40, 1
	v_and_b32_sdwa v38, v38, v40 dst_sel:DWORD dst_unused:UNUSED_PAD src0_sel:WORD_1 src1_sel:DWORD
	v_cmp_eq_u32_e32 vcc, 1, v39
	v_cndmask_b32_e64 v53, v38, 1, vcc
	v_lshlrev_b32_e32 v38, 16, v53
	v_or_b32_sdwa v46, v38, v26 dst_sel:DWORD dst_unused:UNUSED_PAD src0_sel:DWORD src1_sel:WORD_0
	v_mov_b32_e32 v44, v53
.LBB62_156:
	s_or_b64 exec, exec, s[66:67]
	v_cmp_gt_u32_e32 vcc, 60, v31
	s_waitcnt lgkmcnt(0)
	v_cndmask_b32_e64 v38, 0, 1, vcc
	v_lshlrev_b32_e32 v38, 2, v38
	v_add_lshl_u32 v38, v38, v25, 2
	ds_bpermute_b32 v40, v38, v46
	v_add_u32_e32 v39, 4, v25
	v_cmp_le_u32_e32 vcc, v39, v30
	s_and_saveexec_b64 s[66:67], vcc
	s_cbranch_execz .LBB62_158
; %bb.157:
	s_waitcnt lgkmcnt(0)
	v_max_i16_e32 v41, v40, v26
	v_cmp_eq_u16_e32 vcc, 0, v44
	v_cndmask_b32_e32 v26, v26, v41, vcc
	v_and_b32_e32 v41, 1, v44
	v_mov_b32_e32 v42, 1
	v_and_b32_sdwa v40, v40, v42 dst_sel:DWORD dst_unused:UNUSED_PAD src0_sel:WORD_1 src1_sel:DWORD
	v_cmp_eq_u32_e32 vcc, 1, v41
	v_cndmask_b32_e64 v53, v40, 1, vcc
	v_lshlrev_b32_e32 v40, 16, v53
	v_or_b32_sdwa v46, v40, v26 dst_sel:DWORD dst_unused:UNUSED_PAD src0_sel:DWORD src1_sel:WORD_0
	v_mov_b32_e32 v44, v53
.LBB62_158:
	;; [unrolled: 25-line block ×4, first 2 shown]
	s_or_b64 exec, exec, s[66:67]
	v_cmp_gt_u32_e32 vcc, 32, v31
	v_cndmask_b32_e64 v31, 0, 1, vcc
	v_lshlrev_b32_e32 v31, 5, v31
	s_waitcnt lgkmcnt(0)
	v_add_lshl_u32 v45, v31, v25, 2
	ds_bpermute_b32 v31, v45, v46
	v_add_u32_e32 v46, 32, v25
	v_cmp_le_u32_e32 vcc, v46, v30
	s_and_saveexec_b64 s[66:67], vcc
	s_cbranch_execz .LBB62_164
; %bb.163:
	s_waitcnt lgkmcnt(0)
	v_max_i16_e32 v25, v31, v26
	v_cmp_eq_u16_e32 vcc, 0, v44
	v_cndmask_b32_e32 v26, v26, v25, vcc
	v_and_b32_e32 v25, 1, v44
	v_mov_b32_e32 v30, 1
	v_and_b32_sdwa v30, v31, v30 dst_sel:DWORD dst_unused:UNUSED_PAD src0_sel:WORD_1 src1_sel:DWORD
	v_cmp_eq_u32_e32 vcc, 1, v25
	v_cndmask_b32_e64 v53, v30, 1, vcc
.LBB62_164:
	s_or_b64 exec, exec, s[66:67]
	v_mov_b32_e32 v25, 0
	v_mov_b32_e32 v48, 2
	v_mov_b32_e32 v49, 1
	s_branch .LBB62_166
.LBB62_165:                             ;   in Loop: Header=BB62_166 Depth=1
	s_or_b64 exec, exec, s[66:67]
	v_max_i16_e32 v26, v26, v47
	v_cmp_eq_u16_sdwa vcc, v44, v25 src0_sel:BYTE_0 src1_sel:DWORD
	v_and_b32_e32 v30, 1, v44
	v_cndmask_b32_e32 v26, v47, v26, vcc
	v_and_b32_e32 v31, 1, v31
	v_cmp_eq_u32_e32 vcc, 1, v30
	v_subrev_u32_e32 v24, 64, v24
	v_cndmask_b32_e64 v53, v31, 1, vcc
.LBB62_166:                             ; =>This Loop Header: Depth=1
                                        ;     Child Loop BB62_169 Depth 2
	v_cmp_ne_u16_sdwa s[66:67], v27, v48 src0_sel:BYTE_0 src1_sel:DWORD
	v_cndmask_b32_e64 v27, 0, 1, s[66:67]
	;;#ASMSTART
	;;#ASMEND
	v_cmp_ne_u32_e32 vcc, 0, v27
	v_mov_b32_e32 v44, v53
	s_cmp_lg_u64 vcc, exec
	v_mov_b32_e32 v47, v26
	s_cbranch_scc1 .LBB62_183
; %bb.167:                              ;   in Loop: Header=BB62_166 Depth=1
	v_lshlrev_b64 v[26:27], 3, v[24:25]
	s_waitcnt lgkmcnt(0)
	v_mov_b32_e32 v31, s61
	v_add_co_u32_e32 v30, vcc, s60, v26
	v_addc_co_u32_e32 v31, vcc, v31, v27, vcc
	global_load_dwordx2 v[26:27], v[30:31], off glc
	s_waitcnt vmcnt(0)
	v_cmp_eq_u16_sdwa s[68:69], v27, v25 src0_sel:BYTE_0 src1_sel:DWORD
	s_and_saveexec_b64 s[66:67], s[68:69]
	s_cbranch_execz .LBB62_171
; %bb.168:                              ;   in Loop: Header=BB62_166 Depth=1
	s_mov_b64 s[68:69], 0
.LBB62_169:                             ;   Parent Loop BB62_166 Depth=1
                                        ; =>  This Inner Loop Header: Depth=2
	global_load_dwordx2 v[26:27], v[30:31], off glc
	s_waitcnt vmcnt(0)
	v_cmp_ne_u16_sdwa s[70:71], v27, v25 src0_sel:BYTE_0 src1_sel:DWORD
	s_or_b64 s[68:69], s[70:71], s[68:69]
	s_andn2_b64 exec, exec, s[68:69]
	s_cbranch_execnz .LBB62_169
; %bb.170:                              ;   in Loop: Header=BB62_166 Depth=1
	s_or_b64 exec, exec, s[68:69]
.LBB62_171:                             ;   in Loop: Header=BB62_166 Depth=1
	s_or_b64 exec, exec, s[66:67]
	v_cmp_eq_u16_sdwa s[66:67], v27, v48 src0_sel:BYTE_0 src1_sel:DWORD
	v_and_b32_e32 v30, s67, v29
	v_and_b32_e32 v54, 0xffffff, v26
	v_or_b32_e32 v30, 0x80000000, v30
	ds_bpermute_b32 v55, v23, v54
	v_and_b32_e32 v31, s66, v28
	v_ffbl_b32_e32 v30, v30
	v_add_u32_e32 v30, 32, v30
	v_ffbl_b32_e32 v31, v31
	v_min_u32_e32 v30, v31, v30
	v_lshrrev_b32_e32 v31, 16, v26
	v_cmp_le_u32_e32 vcc, v35, v30
	v_bfe_u32 v53, v26, 16, 8
	s_and_saveexec_b64 s[66:67], vcc
	s_cbranch_execz .LBB62_173
; %bb.172:                              ;   in Loop: Header=BB62_166 Depth=1
	v_and_b32_e32 v31, 0xff0000, v26
	s_waitcnt lgkmcnt(0)
	v_max_i16_e32 v53, v55, v26
	v_cmp_eq_u32_e32 vcc, 0, v31
	v_and_b32_e32 v31, 0x10000, v31
	v_cndmask_b32_e32 v26, v26, v53, vcc
	v_and_b32_sdwa v53, v55, v49 dst_sel:DWORD dst_unused:UNUSED_PAD src0_sel:WORD_1 src1_sel:DWORD
	v_cmp_ne_u32_e32 vcc, 0, v31
	v_cndmask_b32_e64 v31, v53, 1, vcc
	v_lshlrev_b32_e32 v53, 16, v31
	v_or_b32_sdwa v54, v53, v26 dst_sel:DWORD dst_unused:UNUSED_PAD src0_sel:DWORD src1_sel:WORD_0
	v_mov_b32_e32 v53, v31
.LBB62_173:                             ;   in Loop: Header=BB62_166 Depth=1
	s_or_b64 exec, exec, s[66:67]
	s_waitcnt lgkmcnt(0)
	ds_bpermute_b32 v55, v36, v54
	v_cmp_le_u32_e32 vcc, v37, v30
	s_and_saveexec_b64 s[66:67], vcc
	s_cbranch_execz .LBB62_175
; %bb.174:                              ;   in Loop: Header=BB62_166 Depth=1
	s_waitcnt lgkmcnt(0)
	v_max_i16_e32 v31, v55, v26
	v_cmp_eq_u16_e32 vcc, 0, v53
	v_cndmask_b32_e32 v26, v26, v31, vcc
	v_and_b32_e32 v31, 1, v53
	v_and_b32_sdwa v53, v55, v49 dst_sel:DWORD dst_unused:UNUSED_PAD src0_sel:WORD_1 src1_sel:DWORD
	v_cmp_eq_u32_e32 vcc, 1, v31
	v_cndmask_b32_e64 v31, v53, 1, vcc
	v_lshlrev_b32_e32 v53, 16, v31
	v_or_b32_sdwa v54, v53, v26 dst_sel:DWORD dst_unused:UNUSED_PAD src0_sel:DWORD src1_sel:WORD_0
	v_mov_b32_e32 v53, v31
.LBB62_175:                             ;   in Loop: Header=BB62_166 Depth=1
	s_or_b64 exec, exec, s[66:67]
	s_waitcnt lgkmcnt(0)
	ds_bpermute_b32 v55, v38, v54
	v_cmp_le_u32_e32 vcc, v39, v30
	s_and_saveexec_b64 s[66:67], vcc
	s_cbranch_execz .LBB62_177
; %bb.176:                              ;   in Loop: Header=BB62_166 Depth=1
	s_waitcnt lgkmcnt(0)
	v_max_i16_e32 v31, v55, v26
	v_cmp_eq_u16_e32 vcc, 0, v53
	v_cndmask_b32_e32 v26, v26, v31, vcc
	v_and_b32_e32 v31, 1, v53
	v_and_b32_sdwa v53, v55, v49 dst_sel:DWORD dst_unused:UNUSED_PAD src0_sel:WORD_1 src1_sel:DWORD
	v_cmp_eq_u32_e32 vcc, 1, v31
	v_cndmask_b32_e64 v31, v53, 1, vcc
	v_lshlrev_b32_e32 v53, 16, v31
	v_or_b32_sdwa v54, v53, v26 dst_sel:DWORD dst_unused:UNUSED_PAD src0_sel:DWORD src1_sel:WORD_0
	v_mov_b32_e32 v53, v31
.LBB62_177:                             ;   in Loop: Header=BB62_166 Depth=1
	;; [unrolled: 19-line block ×4, first 2 shown]
	s_or_b64 exec, exec, s[66:67]
	ds_bpermute_b32 v54, v45, v54
	v_cmp_le_u32_e32 vcc, v46, v30
	s_and_saveexec_b64 s[66:67], vcc
	s_cbranch_execz .LBB62_165
; %bb.182:                              ;   in Loop: Header=BB62_166 Depth=1
	s_waitcnt lgkmcnt(0)
	v_max_i16_e32 v30, v54, v26
	v_cmp_eq_u16_e32 vcc, 0, v53
	v_cndmask_b32_e32 v26, v26, v30, vcc
	v_and_b32_e32 v30, 1, v53
	v_lshrrev_b32_e32 v31, 16, v54
	v_cmp_eq_u32_e32 vcc, 1, v30
	v_cndmask_b32_e64 v31, v31, 1, vcc
	s_branch .LBB62_165
.LBB62_183:                             ;   in Loop: Header=BB62_166 Depth=1
                                        ; implicit-def: $vgpr53
                                        ; implicit-def: $vgpr26
	s_cbranch_execz .LBB62_166
; %bb.184:
	s_and_saveexec_b64 s[66:67], s[52:53]
	s_cbranch_execz .LBB62_186
; %bb.185:
	v_and_b32_e32 v23, 0xff0000, v22
	v_max_i16_e32 v24, v47, v22
	v_cmp_eq_u32_e32 vcc, 0, v23
	s_mov_b32 s7, 0
	v_cndmask_b32_e32 v23, v22, v24, vcc
	v_and_b32_e32 v22, 0x10000, v22
	v_mov_b32_e32 v24, 1
	s_add_i32 s6, s6, 64
	v_and_b32_sdwa v24, v44, v24 dst_sel:WORD_1 dst_unused:UNUSED_PAD src0_sel:DWORD src1_sel:DWORD
	v_mov_b32_e32 v25, 0x10000
	v_cmp_eq_u32_e32 vcc, 0, v22
	s_lshl_b64 s[6:7], s[6:7], 3
	v_cndmask_b32_e32 v22, v25, v24, vcc
	s_add_u32 s6, s60, s6
	s_addc_u32 s7, s61, s7
	v_mov_b32_e32 v24, 0
	v_or_b32_sdwa v22, v22, v23 dst_sel:DWORD dst_unused:UNUSED_PAD src0_sel:DWORD src1_sel:WORD_0
	v_mov_b32_e32 v23, 2
	global_store_dwordx2 v24, v[22:23], s[6:7]
.LBB62_186:
	s_or_b64 exec, exec, s[66:67]
	v_cmp_eq_u32_e32 vcc, 0, v0
	s_and_b64 exec, exec, vcc
	s_cbranch_execz .LBB62_188
; %bb.187:
	v_mov_b32_e32 v22, 0
	ds_write_b16 v22, v47
	ds_write_b8 v22, v44 offset:2
.LBB62_188:
	s_or_b64 exec, exec, s[64:65]
	v_mov_b32_e32 v22, 0
	s_waitcnt lgkmcnt(0)
	; wave barrier
	s_waitcnt lgkmcnt(0)
	ds_read_b32 v23, v22
	v_and_b32_e32 v25, 0x10000, v1
	v_mov_b32_e32 v26, 1
	s_mov_b32 s6, 0x10000
	v_and_b32_sdwa v26, v34, v26 dst_sel:DWORD dst_unused:UNUSED_PAD src0_sel:WORD_1 src1_sel:DWORD
	v_cmp_ne_u32_e32 vcc, 0, v25
	v_cndmask_b32_e64 v25, v26, 1, vcc
	v_max_i16_e32 v26, v34, v1
	v_cmp_gt_u32_e32 vcc, s6, v1
	v_lshrrev_b32_e32 v24, 16, v1
	v_cndmask_b32_e32 v26, v1, v26, vcc
	v_cmp_eq_u32_e32 vcc, 0, v0
	v_cndmask_b32_e32 v24, v25, v24, vcc
	v_cndmask_b32_e32 v25, v26, v1, vcc
	s_waitcnt lgkmcnt(0)
	v_max_i16_e32 v23, v23, v25
	v_cmp_eq_u16_sdwa vcc, v24, v22 src0_sel:BYTE_0 src1_sel:DWORD
	v_cndmask_b32_e32 v22, v25, v23, vcc
	v_and_b32_e32 v47, 0xffff, v22
	v_max_i16_e32 v22, v22, v50
	v_cndmask_b32_e64 v22, v50, v22, s[2:3]
	v_max_i16_e32 v23, v22, v51
	v_cndmask_b32_e64 v23, v51, v23, s[54:55]
	v_max_i16_e32 v24, v23, v18
	v_cndmask_b32_e64 v24, v18, v24, s[8:9]
	v_max_i16_e32 v25, v24, v19
	v_cndmask_b32_e64 v25, v19, v25, s[10:11]
	v_max_i16_e32 v26, v25, v20
	v_cndmask_b32_e64 v26, v20, v26, s[12:13]
	v_max_i16_e32 v27, v26, v21
	v_cndmask_b32_e64 v27, v21, v27, s[14:15]
	v_max_i16_e32 v28, v27, v2
	v_cndmask_b32_e64 v29, v2, v28, s[16:17]
	v_max_i16_e32 v28, v29, v3
	v_cndmask_b32_e64 v28, v3, v28, s[18:19]
	v_max_i16_e32 v30, v28, v4
	v_cndmask_b32_e64 v30, v4, v30, s[20:21]
	v_max_i16_e32 v31, v30, v5
	v_cndmask_b32_e64 v31, v5, v31, s[22:23]
	v_max_i16_e32 v34, v31, v6
	v_cndmask_b32_e64 v34, v6, v34, s[24:25]
	v_max_i16_e32 v35, v34, v7
	v_cndmask_b32_e64 v35, v7, v35, s[26:27]
	v_max_i16_e32 v36, v35, v8
	v_cndmask_b32_e64 v36, v8, v36, s[28:29]
	v_max_i16_e32 v37, v36, v9
	v_cndmask_b32_e64 v37, v9, v37, s[30:31]
	v_max_i16_e32 v38, v37, v10
	v_cndmask_b32_e64 v39, v10, v38, s[34:35]
	v_max_i16_e32 v38, v39, v11
	v_cndmask_b32_e64 v38, v11, v38, s[36:37]
	v_max_i16_e32 v40, v38, v12
	v_cndmask_b32_e64 v40, v12, v40, s[38:39]
	v_max_i16_e32 v41, v40, v13
	v_cndmask_b32_e64 v41, v13, v41, s[40:41]
	v_max_i16_e32 v42, v41, v14
	v_cndmask_b32_e64 v42, v14, v42, s[42:43]
	v_max_i16_e32 v43, v42, v15
	v_cndmask_b32_e64 v43, v15, v43, s[44:45]
	v_max_i16_e32 v44, v43, v16
	v_cndmask_b32_e64 v44, v16, v44, s[46:47]
	v_max_i16_e32 v45, v44, v17
	v_cndmask_b32_e64 v45, v17, v45, s[48:49]
	v_max_i16_e32 v46, v45, v32
	v_cndmask_b32_e64 v46, v32, v46, s[50:51]
	v_and_b32_e32 v46, 0xffff, v46
	s_branch .LBB62_233
.LBB62_189:
	s_or_b64 exec, exec, s[66:67]
                                        ; implicit-def: $vgpr6
	s_and_saveexec_b64 s[2:3], s[54:55]
	s_cbranch_execz .LBB62_53
.LBB62_190:
	global_load_ushort v6, v[2:3], off offset:128
	s_or_b64 exec, exec, s[2:3]
                                        ; implicit-def: $vgpr7
	s_and_saveexec_b64 s[2:3], s[8:9]
	s_cbranch_execnz .LBB62_54
.LBB62_191:
	s_or_b64 exec, exec, s[2:3]
                                        ; implicit-def: $vgpr8
	s_and_saveexec_b64 s[2:3], s[10:11]
	s_cbranch_execz .LBB62_55
.LBB62_192:
	global_load_ushort v8, v[2:3], off offset:384
	s_or_b64 exec, exec, s[2:3]
                                        ; implicit-def: $vgpr9
	s_and_saveexec_b64 s[2:3], s[12:13]
	s_cbranch_execnz .LBB62_56
.LBB62_193:
	s_or_b64 exec, exec, s[2:3]
                                        ; implicit-def: $vgpr10
	s_and_saveexec_b64 s[2:3], s[14:15]
	s_cbranch_execz .LBB62_57
.LBB62_194:
	global_load_ushort v10, v[2:3], off offset:640
	s_or_b64 exec, exec, s[2:3]
                                        ; implicit-def: $vgpr11
	s_and_saveexec_b64 s[2:3], s[16:17]
	s_cbranch_execnz .LBB62_58
.LBB62_195:
	s_or_b64 exec, exec, s[2:3]
                                        ; implicit-def: $vgpr12
	s_and_saveexec_b64 s[2:3], s[18:19]
	s_cbranch_execz .LBB62_59
.LBB62_196:
	global_load_ushort v12, v[2:3], off offset:896
	s_or_b64 exec, exec, s[2:3]
                                        ; implicit-def: $vgpr13
	s_and_saveexec_b64 s[2:3], s[20:21]
	s_cbranch_execnz .LBB62_60
.LBB62_197:
	s_or_b64 exec, exec, s[2:3]
                                        ; implicit-def: $vgpr14
	s_and_saveexec_b64 s[2:3], s[22:23]
	s_cbranch_execz .LBB62_61
.LBB62_198:
	global_load_ushort v14, v[2:3], off offset:1152
	s_or_b64 exec, exec, s[2:3]
                                        ; implicit-def: $vgpr15
	s_and_saveexec_b64 s[2:3], s[24:25]
	s_cbranch_execnz .LBB62_62
.LBB62_199:
	s_or_b64 exec, exec, s[2:3]
                                        ; implicit-def: $vgpr16
	s_and_saveexec_b64 s[2:3], s[26:27]
	s_cbranch_execz .LBB62_63
.LBB62_200:
	global_load_ushort v16, v[2:3], off offset:1408
	s_or_b64 exec, exec, s[2:3]
                                        ; implicit-def: $vgpr17
	s_and_saveexec_b64 s[2:3], s[28:29]
	s_cbranch_execnz .LBB62_64
.LBB62_201:
	s_or_b64 exec, exec, s[2:3]
                                        ; implicit-def: $vgpr18
	s_and_saveexec_b64 s[2:3], s[30:31]
	s_cbranch_execz .LBB62_65
.LBB62_202:
	global_load_ushort v18, v[2:3], off offset:1664
	s_or_b64 exec, exec, s[2:3]
                                        ; implicit-def: $vgpr19
	s_and_saveexec_b64 s[2:3], s[34:35]
	s_cbranch_execnz .LBB62_66
.LBB62_203:
	s_or_b64 exec, exec, s[2:3]
                                        ; implicit-def: $vgpr20
	s_and_saveexec_b64 s[2:3], s[36:37]
	s_cbranch_execz .LBB62_67
.LBB62_204:
	global_load_ushort v20, v[2:3], off offset:1920
	s_or_b64 exec, exec, s[2:3]
                                        ; implicit-def: $vgpr21
	s_and_saveexec_b64 s[2:3], s[38:39]
	s_cbranch_execnz .LBB62_68
.LBB62_205:
	s_or_b64 exec, exec, s[2:3]
                                        ; implicit-def: $vgpr48
	s_and_saveexec_b64 s[2:3], s[40:41]
	s_cbranch_execz .LBB62_69
.LBB62_206:
	global_load_ushort v48, v[2:3], off offset:2176
	s_or_b64 exec, exec, s[2:3]
                                        ; implicit-def: $vgpr49
	s_and_saveexec_b64 s[2:3], s[42:43]
	s_cbranch_execnz .LBB62_70
.LBB62_207:
	s_or_b64 exec, exec, s[2:3]
                                        ; implicit-def: $vgpr50
	s_and_saveexec_b64 s[2:3], s[44:45]
	s_cbranch_execz .LBB62_71
.LBB62_208:
	global_load_ushort v50, v[2:3], off offset:2432
	s_or_b64 exec, exec, s[2:3]
                                        ; implicit-def: $vgpr51
	s_and_saveexec_b64 s[2:3], s[46:47]
	s_cbranch_execnz .LBB62_72
.LBB62_209:
	s_or_b64 exec, exec, s[2:3]
                                        ; implicit-def: $vgpr53
	s_and_saveexec_b64 s[2:3], s[48:49]
	s_cbranch_execz .LBB62_73
.LBB62_210:
	global_load_ushort v53, v[2:3], off offset:2688
	s_or_b64 exec, exec, s[2:3]
                                        ; implicit-def: $vgpr55
	s_and_saveexec_b64 s[2:3], s[50:51]
	s_cbranch_execz .LBB62_75
	s_branch .LBB62_74
.LBB62_211:
                                        ; implicit-def: $vgpr47
                                        ; implicit-def: $vgpr22
                                        ; implicit-def: $vgpr23
                                        ; implicit-def: $vgpr24
                                        ; implicit-def: $vgpr25
                                        ; implicit-def: $vgpr26
                                        ; implicit-def: $vgpr27
                                        ; implicit-def: $vgpr29
                                        ; implicit-def: $vgpr28
                                        ; implicit-def: $vgpr30
                                        ; implicit-def: $vgpr31
                                        ; implicit-def: $vgpr34
                                        ; implicit-def: $vgpr35
                                        ; implicit-def: $vgpr36
                                        ; implicit-def: $vgpr37
                                        ; implicit-def: $vgpr39
                                        ; implicit-def: $vgpr38
                                        ; implicit-def: $vgpr40
                                        ; implicit-def: $vgpr41
                                        ; implicit-def: $vgpr42
                                        ; implicit-def: $vgpr43
                                        ; implicit-def: $vgpr44
                                        ; implicit-def: $vgpr45
                                        ; implicit-def: $vgpr46
	s_cbranch_execz .LBB62_233
; %bb.212:
	s_cmp_lg_u64 s[56:57], 0
	s_cselect_b64 s[6:7], -1, 0
	v_cmp_eq_u32_e32 vcc, 0, v0
	v_cmp_ne_u32_e64 s[2:3], 0, v0
	s_and_b64 s[6:7], vcc, s[6:7]
	s_and_saveexec_b64 s[8:9], s[6:7]
	s_cbranch_execz .LBB62_214
; %bb.213:
	v_mov_b32_e32 v22, 0
	global_load_ushort v23, v22, s[56:57]
	global_load_ubyte v24, v22, s[56:57] offset:2
	s_mov_b32 s6, 0x10000
	v_and_b32_e32 v22, 0x10000, v1
	v_mov_b32_e32 v25, 1
	v_cmp_gt_u32_e64 s[6:7], s6, v1
	v_mov_b32_e32 v26, 0x10000
	s_waitcnt vmcnt(1)
	v_max_i16_e32 v23, v23, v1
	s_waitcnt vmcnt(0)
	v_and_b32_sdwa v24, v24, v25 dst_sel:WORD_1 dst_unused:UNUSED_PAD src0_sel:DWORD src1_sel:DWORD
	v_cndmask_b32_e64 v1, v1, v23, s[6:7]
	v_cmp_eq_u32_e64 s[6:7], 0, v22
	v_cndmask_b32_e64 v22, v26, v24, s[6:7]
	v_or_b32_sdwa v1, v22, v1 dst_sel:DWORD dst_unused:UNUSED_PAD src0_sel:DWORD src1_sel:WORD_0
.LBB62_214:
	s_or_b64 exec, exec, s[8:9]
	s_mov_b32 s52, 0x10000
	v_max_i16_e32 v22, v1, v50
	v_cmp_gt_u32_e64 s[6:7], s52, v50
	v_cndmask_b32_e64 v22, v50, v22, s[6:7]
	v_max_i16_e32 v23, v22, v51
	v_cmp_gt_u32_e64 s[8:9], s52, v51
	v_cndmask_b32_e64 v23, v51, v23, s[8:9]
	;; [unrolled: 3-line block ×4, first 2 shown]
	v_bfe_u32 v28, v19, 16, 1
	v_mov_b32_e32 v49, 1
	v_max_i16_e32 v26, v25, v20
	v_cmp_gt_u32_e64 s[14:15], s52, v20
	v_lshlrev_b16_e32 v28, 1, v28
	v_and_b32_sdwa v29, v18, v49 dst_sel:DWORD dst_unused:UNUSED_PAD src0_sel:WORD_1 src1_sel:DWORD
	v_cndmask_b32_e64 v26, v20, v26, s[14:15]
	v_or_b32_e32 v28, v29, v28
	v_bfe_u32 v29, v21, 16, 1
	v_and_b32_sdwa v30, v20, v49 dst_sel:DWORD dst_unused:UNUSED_PAD src0_sel:WORD_1 src1_sel:DWORD
	v_max_i16_e32 v27, v26, v21
	v_cmp_gt_u32_e64 s[16:17], s52, v21
	v_lshlrev_b16_e32 v29, 3, v29
	v_lshlrev_b16_e32 v30, 2, v30
	v_cndmask_b32_e64 v27, v21, v27, s[16:17]
	v_or_b32_e32 v29, v29, v30
	v_or_b32_e32 v47, v28, v29
	v_max_i16_e32 v28, v27, v2
	v_cmp_gt_u32_e64 s[18:19], s52, v2
	v_cndmask_b32_e64 v29, v2, v28, s[18:19]
	v_max_i16_e32 v28, v29, v3
	v_cmp_gt_u32_e64 s[20:21], s52, v3
	v_cndmask_b32_e64 v28, v3, v28, s[20:21]
	v_bfe_u32 v48, v11, 16, 1
	v_max_i16_e32 v30, v28, v4
	v_cmp_gt_u32_e64 s[22:23], s52, v4
	v_lshlrev_b16_e32 v48, 1, v48
	v_and_b32_sdwa v53, v10, v49 dst_sel:DWORD dst_unused:UNUSED_PAD src0_sel:WORD_1 src1_sel:DWORD
	v_cndmask_b32_e64 v30, v4, v30, s[22:23]
	v_or_b32_e32 v48, v53, v48
	v_bfe_u32 v53, v13, 16, 1
	v_and_b32_sdwa v54, v12, v49 dst_sel:DWORD dst_unused:UNUSED_PAD src0_sel:WORD_1 src1_sel:DWORD
	v_max_i16_e32 v31, v30, v5
	v_cmp_gt_u32_e64 s[24:25], s52, v5
	v_lshlrev_b16_e32 v53, 3, v53
	v_lshlrev_b16_e32 v54, 2, v54
	v_cndmask_b32_e64 v31, v5, v31, s[24:25]
	v_or_b32_e32 v53, v53, v54
	v_max_i16_e32 v34, v31, v6
	v_cmp_gt_u32_e64 s[26:27], s52, v6
	v_or_b32_sdwa v48, v48, v53 dst_sel:BYTE_1 dst_unused:UNUSED_PAD src0_sel:DWORD src1_sel:DWORD
	v_bfe_u32 v53, v15, 16, 1
	v_cndmask_b32_e64 v34, v6, v34, s[26:27]
	v_lshlrev_b16_e32 v53, 1, v53
	v_and_b32_sdwa v54, v14, v49 dst_sel:DWORD dst_unused:UNUSED_PAD src0_sel:WORD_1 src1_sel:DWORD
	v_max_i16_e32 v35, v34, v7
	v_cmp_gt_u32_e64 s[28:29], s52, v7
	v_or_b32_e32 v53, v54, v53
	v_bfe_u32 v54, v17, 16, 1
	v_and_b32_sdwa v55, v16, v49 dst_sel:DWORD dst_unused:UNUSED_PAD src0_sel:WORD_1 src1_sel:DWORD
	v_cndmask_b32_e64 v35, v7, v35, s[28:29]
	v_lshlrev_b16_e32 v54, 3, v54
	v_lshlrev_b16_e32 v55, 2, v55
	v_max_i16_e32 v36, v35, v8
	v_cmp_gt_u32_e64 s[30:31], s52, v8
	v_or_b32_e32 v54, v54, v55
	v_cndmask_b32_e64 v36, v8, v36, s[30:31]
	v_or_b32_e32 v53, v53, v54
	v_max_i16_e32 v37, v36, v9
	v_cmp_gt_u32_e64 s[34:35], s52, v9
	v_lshlrev_b16_e32 v53, 12, v53
	v_cndmask_b32_e64 v37, v9, v37, s[34:35]
	v_or_b32_e32 v48, v53, v48
	v_bfe_u32 v53, v3, 16, 1
	v_max_i16_e32 v38, v37, v10
	v_cmp_gt_u32_e64 s[36:37], s52, v10
	v_lshlrev_b16_e32 v53, 1, v53
	v_and_b32_sdwa v54, v2, v49 dst_sel:DWORD dst_unused:UNUSED_PAD src0_sel:WORD_1 src1_sel:DWORD
	v_cndmask_b32_e64 v39, v10, v38, s[36:37]
	v_or_b32_e32 v53, v54, v53
	v_bfe_u32 v54, v5, 16, 1
	v_and_b32_sdwa v55, v4, v49 dst_sel:DWORD dst_unused:UNUSED_PAD src0_sel:WORD_1 src1_sel:DWORD
	v_max_i16_e32 v38, v39, v11
	v_cmp_gt_u32_e64 s[38:39], s52, v11
	v_lshlrev_b16_e32 v54, 3, v54
	v_lshlrev_b16_e32 v55, 2, v55
	v_cndmask_b32_e64 v38, v11, v38, s[38:39]
	v_or_b32_e32 v54, v54, v55
	v_max_i16_e32 v40, v38, v12
	v_cmp_gt_u32_e64 s[40:41], s52, v12
	v_or_b32_e32 v53, v53, v54
	v_bfe_u32 v54, v7, 16, 1
	v_cndmask_b32_e64 v40, v12, v40, s[40:41]
	v_lshlrev_b16_e32 v54, 1, v54
	v_and_b32_sdwa v55, v6, v49 dst_sel:DWORD dst_unused:UNUSED_PAD src0_sel:WORD_1 src1_sel:DWORD
	v_max_i16_e32 v41, v40, v13
	v_cmp_gt_u32_e64 s[42:43], s52, v13
	v_or_b32_e32 v54, v55, v54
	v_bfe_u32 v55, v9, 16, 1
	v_and_b32_sdwa v56, v8, v49 dst_sel:DWORD dst_unused:UNUSED_PAD src0_sel:WORD_1 src1_sel:DWORD
	v_cndmask_b32_e64 v41, v13, v41, s[42:43]
	v_lshlrev_b16_e32 v55, 3, v55
	v_lshlrev_b16_e32 v56, 2, v56
	v_max_i16_e32 v42, v41, v14
	v_cmp_gt_u32_e64 s[44:45], s52, v14
	v_or_b32_e32 v55, v55, v56
	v_cndmask_b32_e64 v42, v14, v42, s[44:45]
	v_or_b32_e32 v54, v54, v55
	v_max_i16_e32 v43, v42, v15
	v_cmp_gt_u32_e64 s[46:47], s52, v15
	v_lshlrev_b16_e32 v54, 4, v54
	v_cndmask_b32_e64 v43, v15, v43, s[46:47]
	v_or_b32_e32 v53, v53, v54
	v_max_i16_e32 v44, v43, v16
	v_cmp_gt_u32_e64 s[48:49], s52, v16
	v_or_b32_sdwa v53, v53, v48 dst_sel:DWORD dst_unused:UNUSED_PAD src0_sel:BYTE_0 src1_sel:DWORD
	v_cndmask_b32_e64 v44, v16, v44, s[48:49]
	v_or_b32_e32 v47, v53, v47
	v_max_i16_e32 v45, v44, v17
	v_cmp_gt_u32_e64 s[50:51], s52, v17
	v_cmp_ne_u16_e64 s[54:55], 0, v47
	v_or3_b32 v47, v51, v50, v32
	v_cndmask_b32_e64 v45, v17, v45, s[50:51]
	v_and_b32_e32 v47, 0x10000, v47
	v_max_i16_e32 v48, v45, v32
	v_cmp_gt_u32_e64 s[52:53], s52, v32
	v_cmp_ne_u32_e64 s[56:57], 0, v47
	v_and_b32_e32 v46, 0x10000, v1
	v_cndmask_b32_e64 v48, v32, v48, s[52:53]
	v_mov_b32_e32 v53, 0x10000
	s_or_b64 s[54:55], s[56:57], s[54:55]
	v_cndmask_b32_e64 v53, v46, v53, s[54:55]
	v_and_b32_e32 v46, 0xffff, v48
	v_mbcnt_hi_u32_b32 v33, -1, v33
	v_and_b32_e32 v55, 15, v33
	v_or_b32_e32 v54, v53, v46
	v_lshrrev_b32_e32 v47, 16, v53
	v_cmp_ne_u32_e64 s[54:55], 0, v55
	v_mov_b32_dpp v56, v54 row_shr:1 row_mask:0xf bank_mask:0xf
	s_and_saveexec_b64 s[56:57], s[54:55]
; %bb.215:
	v_and_b32_e32 v47, 0x10000, v53
	v_and_b32_sdwa v49, v56, v49 dst_sel:DWORD dst_unused:UNUSED_PAD src0_sel:WORD_1 src1_sel:DWORD
	v_cmp_ne_u32_e64 s[54:55], 0, v47
	v_cndmask_b32_e64 v47, v49, 1, s[54:55]
	v_max_i16_e32 v49, v56, v48
	v_cmp_eq_u32_e64 s[54:55], 0, v53
	v_cndmask_b32_e64 v48, v48, v49, s[54:55]
	v_lshlrev_b32_e32 v49, 16, v47
	v_or_b32_sdwa v54, v49, v48 dst_sel:DWORD dst_unused:UNUSED_PAD src0_sel:DWORD src1_sel:WORD_0
; %bb.216:
	s_or_b64 exec, exec, s[56:57]
	v_lshrrev_b32_e32 v53, 16, v54
	v_mov_b32_dpp v56, v54 row_shr:2 row_mask:0xf bank_mask:0xf
	v_cmp_lt_u32_e64 s[54:55], 1, v55
	v_mov_b32_e32 v49, v54
	s_and_saveexec_b64 s[56:57], s[54:55]
	s_cbranch_execz .LBB62_218
; %bb.217:
	v_and_b32_e32 v47, 0x10000, v54
	v_mov_b32_e32 v48, 1
	v_and_b32_sdwa v48, v56, v48 dst_sel:DWORD dst_unused:UNUSED_PAD src0_sel:WORD_1 src1_sel:DWORD
	v_cmp_ne_u32_e64 s[54:55], 0, v47
	v_cndmask_b32_e64 v47, v48, 1, s[54:55]
	s_mov_b32 s54, 0x10000
	v_max_i16_e32 v48, v56, v54
	v_cmp_gt_u32_e64 s[54:55], s54, v54
	v_cndmask_b32_e64 v48, v54, v48, s[54:55]
	v_lshlrev_b32_e32 v49, 16, v47
	v_or_b32_sdwa v54, v49, v48 dst_sel:DWORD dst_unused:UNUSED_PAD src0_sel:DWORD src1_sel:WORD_0
	v_mov_b32_e32 v49, v48
	v_mov_b32_e32 v53, v47
.LBB62_218:
	s_or_b64 exec, exec, s[56:57]
	v_mov_b32_dpp v56, v54 row_shr:4 row_mask:0xf bank_mask:0xf
	v_cmp_lt_u32_e64 s[54:55], 3, v55
	s_and_saveexec_b64 s[56:57], s[54:55]
	s_cbranch_execz .LBB62_220
; %bb.219:
	v_and_b32_e32 v47, 1, v53
	v_mov_b32_e32 v48, 1
	v_and_b32_sdwa v48, v56, v48 dst_sel:DWORD dst_unused:UNUSED_PAD src0_sel:WORD_1 src1_sel:DWORD
	v_cmp_eq_u32_e64 s[54:55], 1, v47
	v_cndmask_b32_e64 v47, v48, 1, s[54:55]
	v_max_i16_e32 v48, v56, v49
	v_cmp_eq_u16_e64 s[54:55], 0, v53
	v_cndmask_b32_e64 v48, v49, v48, s[54:55]
	v_lshlrev_b32_e32 v49, 16, v47
	v_or_b32_sdwa v54, v49, v48 dst_sel:DWORD dst_unused:UNUSED_PAD src0_sel:DWORD src1_sel:WORD_0
	v_mov_b32_e32 v49, v48
	v_mov_b32_e32 v53, v47
.LBB62_220:
	s_or_b64 exec, exec, s[56:57]
	v_mov_b32_dpp v56, v54 row_shr:8 row_mask:0xf bank_mask:0xf
	v_cmp_lt_u32_e64 s[54:55], 7, v55
	s_and_saveexec_b64 s[56:57], s[54:55]
	s_cbranch_execz .LBB62_222
; %bb.221:
	v_and_b32_e32 v47, 1, v53
	v_mov_b32_e32 v48, 1
	v_and_b32_sdwa v48, v56, v48 dst_sel:DWORD dst_unused:UNUSED_PAD src0_sel:WORD_1 src1_sel:DWORD
	v_cmp_eq_u32_e64 s[54:55], 1, v47
	v_cndmask_b32_e64 v47, v48, 1, s[54:55]
	v_max_i16_e32 v48, v56, v49
	v_cmp_eq_u16_e64 s[54:55], 0, v53
	v_cndmask_b32_e64 v48, v49, v48, s[54:55]
	v_lshlrev_b32_e32 v49, 16, v47
	v_or_b32_sdwa v54, v49, v48 dst_sel:DWORD dst_unused:UNUSED_PAD src0_sel:DWORD src1_sel:WORD_0
	v_mov_b32_e32 v49, v48
	v_mov_b32_e32 v53, v47
.LBB62_222:
	s_or_b64 exec, exec, s[56:57]
	v_and_b32_e32 v56, 16, v33
	v_mov_b32_dpp v55, v54 row_bcast:15 row_mask:0xf bank_mask:0xf
	v_cmp_ne_u32_e64 s[54:55], 0, v56
	s_and_saveexec_b64 s[56:57], s[54:55]
	s_cbranch_execz .LBB62_224
; %bb.223:
	v_and_b32_e32 v47, 1, v53
	v_mov_b32_e32 v48, 1
	v_and_b32_sdwa v48, v55, v48 dst_sel:DWORD dst_unused:UNUSED_PAD src0_sel:WORD_1 src1_sel:DWORD
	v_cmp_eq_u32_e64 s[54:55], 1, v47
	v_cndmask_b32_e64 v47, v48, 1, s[54:55]
	v_max_i16_e32 v48, v55, v49
	v_cmp_eq_u16_e64 s[54:55], 0, v53
	v_cndmask_b32_e64 v48, v49, v48, s[54:55]
	v_lshlrev_b32_e32 v49, 16, v47
	v_or_b32_sdwa v54, v49, v48 dst_sel:DWORD dst_unused:UNUSED_PAD src0_sel:DWORD src1_sel:WORD_0
	v_mov_b32_e32 v49, v48
	v_mov_b32_e32 v53, v47
.LBB62_224:
	s_or_b64 exec, exec, s[56:57]
	v_mov_b32_dpp v54, v54 row_bcast:31 row_mask:0xf bank_mask:0xf
	v_cmp_lt_u32_e64 s[54:55], 31, v33
	s_and_saveexec_b64 s[56:57], s[54:55]
; %bb.225:
	v_and_b32_e32 v47, 1, v53
	v_mov_b32_e32 v48, 1
	v_and_b32_sdwa v48, v54, v48 dst_sel:DWORD dst_unused:UNUSED_PAD src0_sel:WORD_1 src1_sel:DWORD
	v_cmp_eq_u32_e64 s[54:55], 1, v47
	v_cndmask_b32_e64 v47, v48, 1, s[54:55]
	v_max_i16_e32 v48, v54, v49
	v_cmp_eq_u16_e64 s[54:55], 0, v53
	v_cndmask_b32_e64 v48, v49, v48, s[54:55]
	v_mov_b32_e32 v53, v47
	v_mov_b32_e32 v49, v48
; %bb.226:
	s_or_b64 exec, exec, s[56:57]
	v_cmp_eq_u32_e64 s[54:55], 63, v0
	s_and_saveexec_b64 s[56:57], s[54:55]
	s_cbranch_execz .LBB62_228
; %bb.227:
	v_mov_b32_e32 v54, 0
	ds_write_b16 v54, v49
	ds_write_b8 v54, v53 offset:2
.LBB62_228:
	s_or_b64 exec, exec, s[56:57]
	v_lshlrev_b32_e32 v47, 16, v47
	v_or_b32_sdwa v47, v47, v48 dst_sel:DWORD dst_unused:UNUSED_PAD src0_sel:DWORD src1_sel:WORD_0
	v_add_u32_e32 v48, -1, v33
	v_and_b32_e32 v49, 64, v33
	v_cmp_lt_i32_e64 s[54:55], v48, v49
	v_cndmask_b32_e64 v33, v48, v33, s[54:55]
	v_lshlrev_b32_e32 v33, 2, v33
	ds_bpermute_b32 v33, v33, v47
	s_waitcnt lgkmcnt(0)
	; wave barrier
	s_waitcnt lgkmcnt(0)
	s_and_saveexec_b64 s[54:55], s[2:3]
	s_cbranch_execz .LBB62_230
; %bb.229:
	v_and_b32_e32 v22, 0xff0000, v1
	v_max_i16_e32 v23, v33, v1
	v_cmp_eq_u32_e64 s[2:3], 0, v22
	v_cndmask_b32_e64 v22, v1, v23, s[2:3]
	v_and_b32_e32 v1, 0xffff, v22
	v_max_i16_e32 v22, v22, v50
	v_cndmask_b32_e64 v22, v50, v22, s[6:7]
	v_max_i16_e32 v23, v22, v51
	v_cndmask_b32_e64 v23, v51, v23, s[8:9]
	v_max_i16_e32 v24, v23, v18
	v_cndmask_b32_e64 v24, v18, v24, s[10:11]
	v_max_i16_e32 v18, v24, v19
	v_cndmask_b32_e64 v25, v19, v18, s[12:13]
	v_max_i16_e32 v18, v25, v20
	v_cndmask_b32_e64 v26, v20, v18, s[14:15]
	v_max_i16_e32 v18, v26, v21
	v_cndmask_b32_e64 v27, v21, v18, s[16:17]
	v_max_i16_e32 v18, v27, v2
	v_cndmask_b32_e64 v29, v2, v18, s[18:19]
	v_max_i16_e32 v2, v29, v3
	v_cndmask_b32_e64 v28, v3, v2, s[20:21]
	v_max_i16_e32 v2, v28, v4
	v_cndmask_b32_e64 v30, v4, v2, s[22:23]
	v_max_i16_e32 v2, v30, v5
	v_cndmask_b32_e64 v31, v5, v2, s[24:25]
	v_max_i16_e32 v2, v31, v6
	v_cndmask_b32_e64 v34, v6, v2, s[26:27]
	v_max_i16_e32 v2, v34, v7
	v_cndmask_b32_e64 v35, v7, v2, s[28:29]
	v_max_i16_e32 v2, v35, v8
	v_cndmask_b32_e64 v36, v8, v2, s[30:31]
	v_max_i16_e32 v2, v36, v9
	v_cndmask_b32_e64 v37, v9, v2, s[34:35]
	v_max_i16_e32 v2, v37, v10
	v_cndmask_b32_e64 v39, v10, v2, s[36:37]
	v_max_i16_e32 v2, v39, v11
	v_cndmask_b32_e64 v38, v11, v2, s[38:39]
	v_max_i16_e32 v2, v38, v12
	v_cndmask_b32_e64 v40, v12, v2, s[40:41]
	v_max_i16_e32 v2, v40, v13
	v_cndmask_b32_e64 v41, v13, v2, s[42:43]
	v_max_i16_e32 v2, v41, v14
	v_cndmask_b32_e64 v42, v14, v2, s[44:45]
	v_max_i16_e32 v2, v42, v15
	v_cndmask_b32_e64 v43, v15, v2, s[46:47]
	v_max_i16_e32 v2, v43, v16
	v_cndmask_b32_e64 v44, v16, v2, s[48:49]
	v_max_i16_e32 v2, v44, v17
	v_cndmask_b32_e64 v45, v17, v2, s[50:51]
	v_max_i16_e32 v2, v45, v32
	v_cndmask_b32_e64 v2, v32, v2, s[52:53]
	v_and_b32_e32 v46, 0xffff, v2
.LBB62_230:
	s_or_b64 exec, exec, s[54:55]
	s_and_saveexec_b64 s[2:3], vcc
	s_cbranch_execz .LBB62_232
; %bb.231:
	v_mov_b32_e32 v4, 0
	ds_read_u8 v2, v4 offset:2
	ds_read_u16 v3, v4
	s_waitcnt lgkmcnt(1)
	v_lshlrev_b32_e32 v2, 16, v2
	s_waitcnt lgkmcnt(0)
	v_or_b32_e32 v2, v2, v3
	v_mov_b32_e32 v3, 2
	global_store_dwordx2 v4, v[2:3], s[60:61] offset:512
.LBB62_232:
	s_or_b64 exec, exec, s[2:3]
	v_mov_b32_e32 v47, v1
.LBB62_233:
	s_load_dwordx2 s[2:3], s[4:5], 0x18
	v_mul_u32_u24_e32 v4, 24, v0
	s_waitcnt lgkmcnt(0)
	s_add_u32 s2, s2, s58
	s_addc_u32 s3, s3, s59
	s_and_b64 vcc, exec, s[0:1]
	s_cbranch_vccz .LBB62_283
; %bb.234:
	s_add_i32 s33, s33, s62
	v_cmp_le_u32_e32 vcc, s33, v4
	v_or_b32_e32 v8, 1, v4
	v_or_b32_e32 v7, 2, v4
	;; [unrolled: 1-line block ×7, first 2 shown]
	s_and_saveexec_b64 s[0:1], vcc
	s_xor_b64 s[0:1], exec, s[0:1]
; %bb.235:
	v_or_b32_e32 v8, 1, v4
	v_or_b32_e32 v7, 2, v4
	;; [unrolled: 1-line block ×7, first 2 shown]
; %bb.236:
	s_andn2_saveexec_b64 s[0:1], s[0:1]
	s_or_b64 exec, exec, s[0:1]
	v_lshlrev_b32_e32 v49, 1, v4
	v_lshlrev_b32_e32 v8, 1, v8
	;; [unrolled: 1-line block ×4, first 2 shown]
	s_mov_b32 s0, 0x5040100
	s_waitcnt lgkmcnt(0)
	; wave barrier
	ds_write_b16 v49, v47
	ds_write_b16 v8, v22
	;; [unrolled: 1-line block ×4, first 2 shown]
	v_lshlrev_b32_e32 v5, 1, v5
	v_lshlrev_b32_e32 v3, 1, v3
	v_lshlrev_b32_e32 v2, 1, v2
	v_lshlrev_b32_e32 v1, 1, v1
	v_perm_b32 v9, v39, v37, s0
	v_perm_b32 v8, v36, v35, s0
	;; [unrolled: 1-line block ×4, first 2 shown]
	ds_write_b16 v5, v25
	ds_write_b16 v3, v26
	;; [unrolled: 1-line block ×4, first 2 shown]
	ds_write_b128 v49, v[6:9] offset:16
	v_perm_b32 v9, v46, v45, s0
	v_perm_b32 v8, v44, v43, s0
	;; [unrolled: 1-line block ×4, first 2 shown]
	s_movk_i32 s0, 0xffd2
	v_mad_i32_i24 v2, v0, s0, v49
	ds_write_b128 v49, v[6:9] offset:32
	s_waitcnt lgkmcnt(0)
	; wave barrier
	s_waitcnt lgkmcnt(0)
	ds_read_u16 v53, v2 offset:128
	ds_read_u16 v51, v2 offset:256
	;; [unrolled: 1-line block ×23, first 2 shown]
	v_mov_b32_e32 v3, s3
	v_add_co_u32_e32 v2, vcc, s2, v52
	v_addc_co_u32_e32 v3, vcc, 0, v3, vcc
	v_mov_b32_e32 v1, 0
	v_cmp_gt_u32_e32 vcc, s33, v0
	s_and_saveexec_b64 s[0:1], vcc
	s_cbranch_execz .LBB62_238
; %bb.237:
	v_mul_i32_i24_e32 v54, 0xffffffd2, v0
	v_add_u32_e32 v49, v49, v54
	ds_read_i16 v49, v49
	s_waitcnt lgkmcnt(0)
	v_cvt_f32_i32_e32 v49, v49
	global_store_dword v[2:3], v49, off
.LBB62_238:
	s_or_b64 exec, exec, s[0:1]
	v_or_b32_e32 v49, 64, v0
	v_cmp_gt_u32_e32 vcc, s33, v49
	s_and_saveexec_b64 s[0:1], vcc
	s_cbranch_execz .LBB62_240
; %bb.239:
	s_waitcnt lgkmcnt(14)
	v_cvt_f32_i32_sdwa v49, sext(v53) dst_sel:DWORD dst_unused:UNUSED_PAD src0_sel:WORD_0
	global_store_dword v[2:3], v49, off offset:256
.LBB62_240:
	s_or_b64 exec, exec, s[0:1]
	v_or_b32_e32 v49, 0x80, v0
	v_cmp_gt_u32_e32 vcc, s33, v49
	s_and_saveexec_b64 s[0:1], vcc
	s_cbranch_execz .LBB62_242
; %bb.241:
	s_waitcnt lgkmcnt(14)
	v_cvt_f32_i32_sdwa v49, sext(v51) dst_sel:DWORD dst_unused:UNUSED_PAD src0_sel:WORD_0
	global_store_dword v[2:3], v49, off offset:512
.LBB62_242:
	;; [unrolled: 10-line block ×4, first 2 shown]
	s_or_b64 exec, exec, s[0:1]
	s_waitcnt lgkmcnt(14)
	v_or_b32_e32 v48, 0x140, v0
	v_cmp_gt_u32_e32 vcc, s33, v48
	s_and_saveexec_b64 s[0:1], vcc
	s_cbranch_execz .LBB62_248
; %bb.247:
	v_cvt_f32_i32_sdwa v33, sext(v33) dst_sel:DWORD dst_unused:UNUSED_PAD src0_sel:WORD_0
	global_store_dword v[2:3], v33, off offset:1280
.LBB62_248:
	s_or_b64 exec, exec, s[0:1]
	v_or_b32_e32 v33, 0x180, v0
	v_cmp_gt_u32_e32 vcc, s33, v33
	s_and_saveexec_b64 s[0:1], vcc
	s_cbranch_execz .LBB62_250
; %bb.249:
	v_cvt_f32_i32_sdwa v32, sext(v32) dst_sel:DWORD dst_unused:UNUSED_PAD src0_sel:WORD_0
	global_store_dword v[2:3], v32, off offset:1536
.LBB62_250:
	s_or_b64 exec, exec, s[0:1]
	;; [unrolled: 9-line block ×5, first 2 shown]
	v_or_b32_e32 v19, 0x280, v0
	v_cmp_gt_u32_e32 vcc, s33, v19
	s_and_saveexec_b64 s[0:1], vcc
	s_cbranch_execz .LBB62_258
; %bb.257:
	s_waitcnt lgkmcnt(13)
	v_cvt_f32_i32_sdwa v18, sext(v18) dst_sel:DWORD dst_unused:UNUSED_PAD src0_sel:WORD_0
	global_store_dword v[2:3], v18, off offset:2560
.LBB62_258:
	s_or_b64 exec, exec, s[0:1]
	s_waitcnt lgkmcnt(13)
	v_or_b32_e32 v18, 0x2c0, v0
	v_cmp_gt_u32_e32 vcc, s33, v18
	s_and_saveexec_b64 s[0:1], vcc
	s_cbranch_execz .LBB62_260
; %bb.259:
	s_waitcnt lgkmcnt(12)
	v_cvt_f32_i32_sdwa v17, sext(v17) dst_sel:DWORD dst_unused:UNUSED_PAD src0_sel:WORD_0
	global_store_dword v[2:3], v17, off offset:2816
.LBB62_260:
	s_or_b64 exec, exec, s[0:1]
	s_waitcnt lgkmcnt(12)
	;; [unrolled: 11-line block ×6, first 2 shown]
	v_or_b32_e32 v13, 0x400, v0
	v_cmp_gt_u32_e32 vcc, s33, v13
	s_and_saveexec_b64 s[0:1], vcc
	s_cbranch_execz .LBB62_270
; %bb.269:
	s_waitcnt lgkmcnt(7)
	v_cvt_f32_i32_sdwa v14, sext(v12) dst_sel:DWORD dst_unused:UNUSED_PAD src0_sel:WORD_0
	v_add_co_u32_e32 v12, vcc, 0x1000, v2
	v_addc_co_u32_e32 v13, vcc, 0, v3, vcc
	global_store_dword v[12:13], v14, off
.LBB62_270:
	s_or_b64 exec, exec, s[0:1]
	s_waitcnt lgkmcnt(7)
	v_or_b32_e32 v12, 0x440, v0
	v_cmp_gt_u32_e32 vcc, s33, v12
	s_and_saveexec_b64 s[0:1], vcc
	s_cbranch_execz .LBB62_272
; %bb.271:
	s_waitcnt lgkmcnt(6)
	v_cvt_f32_i32_sdwa v11, sext(v11) dst_sel:DWORD dst_unused:UNUSED_PAD src0_sel:WORD_0
	v_add_co_u32_e32 v12, vcc, 0x1000, v2
	v_addc_co_u32_e32 v13, vcc, 0, v3, vcc
	global_store_dword v[12:13], v11, off offset:256
.LBB62_272:
	s_or_b64 exec, exec, s[0:1]
	s_waitcnt lgkmcnt(6)
	v_or_b32_e32 v11, 0x480, v0
	v_cmp_gt_u32_e32 vcc, s33, v11
	s_and_saveexec_b64 s[0:1], vcc
	s_cbranch_execz .LBB62_274
; %bb.273:
	s_waitcnt lgkmcnt(5)
	v_cvt_f32_i32_sdwa v12, sext(v10) dst_sel:DWORD dst_unused:UNUSED_PAD src0_sel:WORD_0
	v_add_co_u32_e32 v10, vcc, 0x1000, v2
	v_addc_co_u32_e32 v11, vcc, 0, v3, vcc
	global_store_dword v[10:11], v12, off offset:512
.LBB62_274:
	;; [unrolled: 13-line block ×6, first 2 shown]
	s_or_b64 exec, exec, s[0:1]
	v_or_b32_e32 v2, 0x5c0, v0
	v_cmp_gt_u32_e64 s[0:1], s33, v2
	s_branch .LBB62_285
.LBB62_283:
	s_mov_b64 s[0:1], 0
                                        ; implicit-def: $vgpr5
	s_cbranch_execz .LBB62_285
; %bb.284:
	s_mov_b32 s4, 0x5040100
	s_waitcnt lgkmcnt(1)
	v_lshlrev_b32_e32 v6, 1, v4
	s_waitcnt lgkmcnt(0)
	v_perm_b32 v5, v29, v27, s4
	v_perm_b32 v4, v26, v25, s4
	;; [unrolled: 1-line block ×4, first 2 shown]
	s_waitcnt lgkmcnt(0)
	; wave barrier
	ds_write_b128 v6, v[2:5]
	v_perm_b32 v5, v39, v37, s4
	v_perm_b32 v4, v36, v35, s4
	;; [unrolled: 1-line block ×4, first 2 shown]
	ds_write_b128 v6, v[2:5] offset:16
	v_perm_b32 v4, v44, v43, s4
	v_perm_b32 v3, v42, v41, s4
	;; [unrolled: 1-line block ×4, first 2 shown]
	s_movk_i32 s4, 0xffd2
	ds_write_b128 v6, v[2:5] offset:32
	v_mad_i32_i24 v2, v0, s4, v6
	s_waitcnt lgkmcnt(0)
	; wave barrier
	s_waitcnt lgkmcnt(0)
	ds_read_i16 v3, v2
	ds_read_i16 v4, v2 offset:128
	ds_read_i16 v6, v2 offset:256
	;; [unrolled: 1-line block ×22, first 2 shown]
	ds_read_u16 v5, v2 offset:2944
	v_mov_b32_e32 v2, s3
	v_add_co_u32_e32 v27, vcc, s2, v52
	v_addc_co_u32_e32 v28, vcc, 0, v2, vcc
	s_waitcnt lgkmcnt(14)
	v_cvt_f32_i32_e32 v2, v3
	v_cvt_f32_i32_e32 v3, v4
	;; [unrolled: 1-line block ×4, first 2 shown]
	global_store_dword v52, v2, s[2:3]
	global_store_dword v52, v3, s[2:3] offset:256
	global_store_dword v52, v4, s[2:3] offset:512
	;; [unrolled: 1-line block ×3, first 2 shown]
	v_cvt_f32_i32_e32 v2, v8
	v_cvt_f32_i32_e32 v3, v9
	;; [unrolled: 1-line block ×4, first 2 shown]
	global_store_dword v52, v2, s[2:3] offset:1024
	global_store_dword v52, v3, s[2:3] offset:1280
	;; [unrolled: 1-line block ×4, first 2 shown]
	v_cvt_f32_i32_e32 v2, v12
	v_cvt_f32_i32_e32 v3, v13
	s_waitcnt lgkmcnt(13)
	v_cvt_f32_i32_e32 v4, v14
	s_waitcnt lgkmcnt(12)
	v_cvt_f32_i32_e32 v6, v15
	global_store_dword v52, v2, s[2:3] offset:2048
	global_store_dword v52, v3, s[2:3] offset:2304
	;; [unrolled: 1-line block ×4, first 2 shown]
	s_waitcnt lgkmcnt(11)
	v_cvt_f32_i32_e32 v2, v16
	s_waitcnt lgkmcnt(10)
	v_cvt_f32_i32_e32 v3, v17
	;; [unrolled: 2-line block ×4, first 2 shown]
	global_store_dword v52, v2, s[2:3] offset:3072
	global_store_dword v52, v3, s[2:3] offset:3328
	;; [unrolled: 1-line block ×4, first 2 shown]
	s_waitcnt lgkmcnt(7)
	v_cvt_f32_i32_e32 v4, v20
	s_movk_i32 s4, 0x1000
	s_waitcnt lgkmcnt(6)
	v_cvt_f32_i32_e32 v6, v21
	s_waitcnt lgkmcnt(5)
	v_cvt_f32_i32_e32 v7, v22
	v_add_co_u32_e32 v2, vcc, s4, v27
	v_addc_co_u32_e32 v3, vcc, 0, v28, vcc
	global_store_dword v[2:3], v4, off
	global_store_dword v[2:3], v6, off offset:256
	global_store_dword v[2:3], v7, off offset:512
	s_waitcnt lgkmcnt(4)
	v_cvt_f32_i32_e32 v4, v23
	s_waitcnt lgkmcnt(3)
	v_cvt_f32_i32_e32 v6, v24
	;; [unrolled: 2-line block ×3, first 2 shown]
	v_mov_b32_e32 v1, 0
	s_waitcnt lgkmcnt(1)
	v_cvt_f32_i32_e32 v8, v26
	s_or_b64 s[0:1], s[0:1], exec
	global_store_dword v[2:3], v4, off offset:768
	global_store_dword v[2:3], v6, off offset:1024
	;; [unrolled: 1-line block ×4, first 2 shown]
.LBB62_285:
	s_and_saveexec_b64 s[4:5], s[0:1]
	s_cbranch_execz .LBB62_287
; %bb.286:
	v_lshlrev_b64 v[0:1], 2, v[0:1]
	v_mov_b32_e32 v2, s3
	v_add_co_u32_e32 v0, vcc, s2, v0
	v_addc_co_u32_e32 v1, vcc, v2, v1, vcc
	s_waitcnt lgkmcnt(0)
	v_cvt_f32_i32_sdwa v2, sext(v5) dst_sel:DWORD dst_unused:UNUSED_PAD src0_sel:WORD_0
	v_add_co_u32_e32 v0, vcc, 0x1000, v0
	v_addc_co_u32_e32 v1, vcc, 0, v1, vcc
	global_store_dword v[0:1], v2, off offset:1792
	s_endpgm
.LBB62_287:
	s_endpgm
	.section	.rodata,"a",@progbits
	.p2align	6, 0x0
	.amdhsa_kernel _ZN7rocprim6detail25device_scan_by_key_kernelILNS0_25lookback_scan_determinismE0ELb0ENS0_26wrapped_scan_by_key_configINS_14default_configEisEEPiN6hipcub22TransformInputIteratorIsNS7_6CastOpIsEEPslEEPfsNS7_8EqualityENS7_3MaxENS0_19lookback_scan_stateINS_5tupleIJsbEEELb0ELb1EEEsEEvT2_T3_T4_T5_T6_T7_T8_mmmPKNSH_IJT9_bEEE
		.amdhsa_group_segment_fixed_size 6656
		.amdhsa_private_segment_fixed_size 0
		.amdhsa_kernarg_size 80
		.amdhsa_user_sgpr_count 6
		.amdhsa_user_sgpr_private_segment_buffer 1
		.amdhsa_user_sgpr_dispatch_ptr 0
		.amdhsa_user_sgpr_queue_ptr 0
		.amdhsa_user_sgpr_kernarg_segment_ptr 1
		.amdhsa_user_sgpr_dispatch_id 0
		.amdhsa_user_sgpr_flat_scratch_init 0
		.amdhsa_user_sgpr_kernarg_preload_length 0
		.amdhsa_user_sgpr_kernarg_preload_offset 0
		.amdhsa_user_sgpr_private_segment_size 0
		.amdhsa_uses_dynamic_stack 0
		.amdhsa_system_sgpr_private_segment_wavefront_offset 0
		.amdhsa_system_sgpr_workgroup_id_x 1
		.amdhsa_system_sgpr_workgroup_id_y 0
		.amdhsa_system_sgpr_workgroup_id_z 0
		.amdhsa_system_sgpr_workgroup_info 0
		.amdhsa_system_vgpr_workitem_id 0
		.amdhsa_next_free_vgpr 58
		.amdhsa_next_free_sgpr 76
		.amdhsa_accum_offset 60
		.amdhsa_reserve_vcc 1
		.amdhsa_reserve_flat_scratch 0
		.amdhsa_float_round_mode_32 0
		.amdhsa_float_round_mode_16_64 0
		.amdhsa_float_denorm_mode_32 3
		.amdhsa_float_denorm_mode_16_64 3
		.amdhsa_dx10_clamp 1
		.amdhsa_ieee_mode 1
		.amdhsa_fp16_overflow 0
		.amdhsa_tg_split 0
		.amdhsa_exception_fp_ieee_invalid_op 0
		.amdhsa_exception_fp_denorm_src 0
		.amdhsa_exception_fp_ieee_div_zero 0
		.amdhsa_exception_fp_ieee_overflow 0
		.amdhsa_exception_fp_ieee_underflow 0
		.amdhsa_exception_fp_ieee_inexact 0
		.amdhsa_exception_int_div_zero 0
	.end_amdhsa_kernel
	.section	.text._ZN7rocprim6detail25device_scan_by_key_kernelILNS0_25lookback_scan_determinismE0ELb0ENS0_26wrapped_scan_by_key_configINS_14default_configEisEEPiN6hipcub22TransformInputIteratorIsNS7_6CastOpIsEEPslEEPfsNS7_8EqualityENS7_3MaxENS0_19lookback_scan_stateINS_5tupleIJsbEEELb0ELb1EEEsEEvT2_T3_T4_T5_T6_T7_T8_mmmPKNSH_IJT9_bEEE,"axG",@progbits,_ZN7rocprim6detail25device_scan_by_key_kernelILNS0_25lookback_scan_determinismE0ELb0ENS0_26wrapped_scan_by_key_configINS_14default_configEisEEPiN6hipcub22TransformInputIteratorIsNS7_6CastOpIsEEPslEEPfsNS7_8EqualityENS7_3MaxENS0_19lookback_scan_stateINS_5tupleIJsbEEELb0ELb1EEEsEEvT2_T3_T4_T5_T6_T7_T8_mmmPKNSH_IJT9_bEEE,comdat
.Lfunc_end62:
	.size	_ZN7rocprim6detail25device_scan_by_key_kernelILNS0_25lookback_scan_determinismE0ELb0ENS0_26wrapped_scan_by_key_configINS_14default_configEisEEPiN6hipcub22TransformInputIteratorIsNS7_6CastOpIsEEPslEEPfsNS7_8EqualityENS7_3MaxENS0_19lookback_scan_stateINS_5tupleIJsbEEELb0ELb1EEEsEEvT2_T3_T4_T5_T6_T7_T8_mmmPKNSH_IJT9_bEEE, .Lfunc_end62-_ZN7rocprim6detail25device_scan_by_key_kernelILNS0_25lookback_scan_determinismE0ELb0ENS0_26wrapped_scan_by_key_configINS_14default_configEisEEPiN6hipcub22TransformInputIteratorIsNS7_6CastOpIsEEPslEEPfsNS7_8EqualityENS7_3MaxENS0_19lookback_scan_stateINS_5tupleIJsbEEELb0ELb1EEEsEEvT2_T3_T4_T5_T6_T7_T8_mmmPKNSH_IJT9_bEEE
                                        ; -- End function
	.section	.AMDGPU.csdata,"",@progbits
; Kernel info:
; codeLenInByte = 14956
; NumSgprs: 80
; NumVgprs: 58
; NumAgprs: 0
; TotalNumVgprs: 58
; ScratchSize: 0
; MemoryBound: 0
; FloatMode: 240
; IeeeMode: 1
; LDSByteSize: 6656 bytes/workgroup (compile time only)
; SGPRBlocks: 9
; VGPRBlocks: 7
; NumSGPRsForWavesPerEU: 80
; NumVGPRsForWavesPerEU: 58
; AccumOffset: 60
; Occupancy: 3
; WaveLimiterHint : 1
; COMPUTE_PGM_RSRC2:SCRATCH_EN: 0
; COMPUTE_PGM_RSRC2:USER_SGPR: 6
; COMPUTE_PGM_RSRC2:TRAP_HANDLER: 0
; COMPUTE_PGM_RSRC2:TGID_X_EN: 1
; COMPUTE_PGM_RSRC2:TGID_Y_EN: 0
; COMPUTE_PGM_RSRC2:TGID_Z_EN: 0
; COMPUTE_PGM_RSRC2:TIDIG_COMP_CNT: 0
; COMPUTE_PGM_RSRC3_GFX90A:ACCUM_OFFSET: 14
; COMPUTE_PGM_RSRC3_GFX90A:TG_SPLIT: 0
	.section	.text._ZN7rocprim6detail31init_lookback_scan_state_kernelINS0_19lookback_scan_stateINS_5tupleIJmbEEELb1ELb0EEEEEvT_jjPNS6_10value_typeE,"axG",@progbits,_ZN7rocprim6detail31init_lookback_scan_state_kernelINS0_19lookback_scan_stateINS_5tupleIJmbEEELb1ELb0EEEEEvT_jjPNS6_10value_typeE,comdat
	.protected	_ZN7rocprim6detail31init_lookback_scan_state_kernelINS0_19lookback_scan_stateINS_5tupleIJmbEEELb1ELb0EEEEEvT_jjPNS6_10value_typeE ; -- Begin function _ZN7rocprim6detail31init_lookback_scan_state_kernelINS0_19lookback_scan_stateINS_5tupleIJmbEEELb1ELb0EEEEEvT_jjPNS6_10value_typeE
	.globl	_ZN7rocprim6detail31init_lookback_scan_state_kernelINS0_19lookback_scan_stateINS_5tupleIJmbEEELb1ELb0EEEEEvT_jjPNS6_10value_typeE
	.p2align	8
	.type	_ZN7rocprim6detail31init_lookback_scan_state_kernelINS0_19lookback_scan_stateINS_5tupleIJmbEEELb1ELb0EEEEEvT_jjPNS6_10value_typeE,@function
_ZN7rocprim6detail31init_lookback_scan_state_kernelINS0_19lookback_scan_stateINS_5tupleIJmbEEELb1ELb0EEEEEvT_jjPNS6_10value_typeE: ; @_ZN7rocprim6detail31init_lookback_scan_state_kernelINS0_19lookback_scan_stateINS_5tupleIJmbEEELb1ELb0EEEEEvT_jjPNS6_10value_typeE
; %bb.0:
	s_load_dword s7, s[4:5], 0x34
	s_load_dwordx2 s[8:9], s[4:5], 0x20
	s_load_dwordx4 s[0:3], s[4:5], 0x10
	s_waitcnt lgkmcnt(0)
	s_and_b32 s7, s7, 0xffff
	s_mul_i32 s6, s6, s7
	s_cmp_eq_u64 s[8:9], 0
	v_add_u32_e32 v0, s6, v0
	s_cbranch_scc1 .LBB63_11
; %bb.1:
	s_cmp_lt_u32 s3, s2
	s_cselect_b32 s6, s3, 0
	s_mov_b32 s13, 0
	v_cmp_eq_u32_e32 vcc, s6, v0
	s_and_saveexec_b64 s[10:11], vcc
	s_cbranch_execz .LBB63_10
; %bb.2:
	s_add_i32 s12, s3, 64
	v_mov_b32_e32 v1, s12
	global_load_ubyte v1, v1, s[0:1] glc
	s_load_dwordx4 s[4:7], s[4:5], 0x0
	s_add_u32 s14, s0, s12
	s_addc_u32 s15, s1, 0
	s_waitcnt vmcnt(0)
	v_cmp_ne_u16_e32 vcc, 0, v1
	v_readfirstlane_b32 s3, v1
	s_cbranch_vccz .LBB63_4
; %bb.3:
	s_and_b32 s3, 0xffff, s3
	s_branch .LBB63_9
.LBB63_4:
	s_mov_b32 s3, 1
	v_mov_b32_e32 v1, 0
.LBB63_5:                               ; =>This Loop Header: Depth=1
                                        ;     Child Loop BB63_6 Depth 2
	s_max_u32 s16, s3, 1
.LBB63_6:                               ;   Parent Loop BB63_5 Depth=1
                                        ; =>  This Inner Loop Header: Depth=2
	s_add_i32 s16, s16, -1
	s_cmp_eq_u32 s16, 0
	s_sleep 1
	s_cbranch_scc0 .LBB63_6
; %bb.7:                                ;   in Loop: Header=BB63_5 Depth=1
	global_load_ubyte v2, v1, s[14:15] glc
	s_cmp_lt_u32 s3, 32
	s_cselect_b64 s[16:17], -1, 0
	s_cmp_lg_u64 s[16:17], 0
	s_addc_u32 s3, s3, 0
	s_waitcnt vmcnt(0)
	v_cmp_ne_u16_e32 vcc, 0, v2
	v_readfirstlane_b32 s16, v2
	s_cbranch_vccz .LBB63_5
; %bb.8:
	s_and_b32 s3, 0xffff, s16
.LBB63_9:
	s_cmp_eq_u32 s3, 1
	s_waitcnt lgkmcnt(0)
	s_cselect_b32 s3, s5, s7
	s_cselect_b32 s6, s4, s6
	s_lshl_b64 s[4:5], s[12:13], 4
	s_add_u32 s4, s6, s4
	s_addc_u32 s5, s3, s5
	v_mov_b32_e32 v1, 0
	buffer_wbinvl1_vol
	global_load_dwordx2 v[2:3], v1, s[4:5]
	global_load_ubyte v4, v1, s[4:5] offset:8
	s_waitcnt vmcnt(1)
	global_store_dwordx2 v1, v[2:3], s[8:9]
	s_waitcnt vmcnt(1)
	global_store_byte v1, v4, s[8:9] offset:8
.LBB63_10:
	s_or_b64 exec, exec, s[10:11]
.LBB63_11:
	v_cmp_gt_u32_e32 vcc, s2, v0
	s_and_saveexec_b64 s[2:3], vcc
	s_cbranch_execnz .LBB63_14
; %bb.12:
	s_or_b64 exec, exec, s[2:3]
	v_cmp_gt_u32_e32 vcc, 64, v0
	s_and_saveexec_b64 s[2:3], vcc
	s_cbranch_execnz .LBB63_15
.LBB63_13:
	s_endpgm
.LBB63_14:
	v_add_u32_e32 v1, 64, v0
	v_mov_b32_e32 v2, 0
	global_store_byte v1, v2, s[0:1]
	s_or_b64 exec, exec, s[2:3]
	v_cmp_gt_u32_e32 vcc, 64, v0
	s_and_saveexec_b64 s[2:3], vcc
	s_cbranch_execz .LBB63_13
.LBB63_15:
	v_mov_b32_e32 v1, 0xff
	global_store_byte v0, v1, s[0:1]
	s_endpgm
	.section	.rodata,"a",@progbits
	.p2align	6, 0x0
	.amdhsa_kernel _ZN7rocprim6detail31init_lookback_scan_state_kernelINS0_19lookback_scan_stateINS_5tupleIJmbEEELb1ELb0EEEEEvT_jjPNS6_10value_typeE
		.amdhsa_group_segment_fixed_size 0
		.amdhsa_private_segment_fixed_size 0
		.amdhsa_kernarg_size 296
		.amdhsa_user_sgpr_count 6
		.amdhsa_user_sgpr_private_segment_buffer 1
		.amdhsa_user_sgpr_dispatch_ptr 0
		.amdhsa_user_sgpr_queue_ptr 0
		.amdhsa_user_sgpr_kernarg_segment_ptr 1
		.amdhsa_user_sgpr_dispatch_id 0
		.amdhsa_user_sgpr_flat_scratch_init 0
		.amdhsa_user_sgpr_kernarg_preload_length 0
		.amdhsa_user_sgpr_kernarg_preload_offset 0
		.amdhsa_user_sgpr_private_segment_size 0
		.amdhsa_uses_dynamic_stack 0
		.amdhsa_system_sgpr_private_segment_wavefront_offset 0
		.amdhsa_system_sgpr_workgroup_id_x 1
		.amdhsa_system_sgpr_workgroup_id_y 0
		.amdhsa_system_sgpr_workgroup_id_z 0
		.amdhsa_system_sgpr_workgroup_info 0
		.amdhsa_system_vgpr_workitem_id 0
		.amdhsa_next_free_vgpr 5
		.amdhsa_next_free_sgpr 18
		.amdhsa_accum_offset 8
		.amdhsa_reserve_vcc 1
		.amdhsa_reserve_flat_scratch 0
		.amdhsa_float_round_mode_32 0
		.amdhsa_float_round_mode_16_64 0
		.amdhsa_float_denorm_mode_32 3
		.amdhsa_float_denorm_mode_16_64 3
		.amdhsa_dx10_clamp 1
		.amdhsa_ieee_mode 1
		.amdhsa_fp16_overflow 0
		.amdhsa_tg_split 0
		.amdhsa_exception_fp_ieee_invalid_op 0
		.amdhsa_exception_fp_denorm_src 0
		.amdhsa_exception_fp_ieee_div_zero 0
		.amdhsa_exception_fp_ieee_overflow 0
		.amdhsa_exception_fp_ieee_underflow 0
		.amdhsa_exception_fp_ieee_inexact 0
		.amdhsa_exception_int_div_zero 0
	.end_amdhsa_kernel
	.section	.text._ZN7rocprim6detail31init_lookback_scan_state_kernelINS0_19lookback_scan_stateINS_5tupleIJmbEEELb1ELb0EEEEEvT_jjPNS6_10value_typeE,"axG",@progbits,_ZN7rocprim6detail31init_lookback_scan_state_kernelINS0_19lookback_scan_stateINS_5tupleIJmbEEELb1ELb0EEEEEvT_jjPNS6_10value_typeE,comdat
.Lfunc_end63:
	.size	_ZN7rocprim6detail31init_lookback_scan_state_kernelINS0_19lookback_scan_stateINS_5tupleIJmbEEELb1ELb0EEEEEvT_jjPNS6_10value_typeE, .Lfunc_end63-_ZN7rocprim6detail31init_lookback_scan_state_kernelINS0_19lookback_scan_stateINS_5tupleIJmbEEELb1ELb0EEEEEvT_jjPNS6_10value_typeE
                                        ; -- End function
	.section	.AMDGPU.csdata,"",@progbits
; Kernel info:
; codeLenInByte = 380
; NumSgprs: 22
; NumVgprs: 5
; NumAgprs: 0
; TotalNumVgprs: 5
; ScratchSize: 0
; MemoryBound: 0
; FloatMode: 240
; IeeeMode: 1
; LDSByteSize: 0 bytes/workgroup (compile time only)
; SGPRBlocks: 2
; VGPRBlocks: 0
; NumSGPRsForWavesPerEU: 22
; NumVGPRsForWavesPerEU: 5
; AccumOffset: 8
; Occupancy: 8
; WaveLimiterHint : 0
; COMPUTE_PGM_RSRC2:SCRATCH_EN: 0
; COMPUTE_PGM_RSRC2:USER_SGPR: 6
; COMPUTE_PGM_RSRC2:TRAP_HANDLER: 0
; COMPUTE_PGM_RSRC2:TGID_X_EN: 1
; COMPUTE_PGM_RSRC2:TGID_Y_EN: 0
; COMPUTE_PGM_RSRC2:TGID_Z_EN: 0
; COMPUTE_PGM_RSRC2:TIDIG_COMP_CNT: 0
; COMPUTE_PGM_RSRC3_GFX90A:ACCUM_OFFSET: 1
; COMPUTE_PGM_RSRC3_GFX90A:TG_SPLIT: 0
	.section	.text._ZN7rocprim6detail31init_lookback_scan_state_kernelINS0_19lookback_scan_stateINS_5tupleIJmbEEELb0ELb0EEEEEvT_jjPNS6_10value_typeE,"axG",@progbits,_ZN7rocprim6detail31init_lookback_scan_state_kernelINS0_19lookback_scan_stateINS_5tupleIJmbEEELb0ELb0EEEEEvT_jjPNS6_10value_typeE,comdat
	.protected	_ZN7rocprim6detail31init_lookback_scan_state_kernelINS0_19lookback_scan_stateINS_5tupleIJmbEEELb0ELb0EEEEEvT_jjPNS6_10value_typeE ; -- Begin function _ZN7rocprim6detail31init_lookback_scan_state_kernelINS0_19lookback_scan_stateINS_5tupleIJmbEEELb0ELb0EEEEEvT_jjPNS6_10value_typeE
	.globl	_ZN7rocprim6detail31init_lookback_scan_state_kernelINS0_19lookback_scan_stateINS_5tupleIJmbEEELb0ELb0EEEEEvT_jjPNS6_10value_typeE
	.p2align	8
	.type	_ZN7rocprim6detail31init_lookback_scan_state_kernelINS0_19lookback_scan_stateINS_5tupleIJmbEEELb0ELb0EEEEEvT_jjPNS6_10value_typeE,@function
_ZN7rocprim6detail31init_lookback_scan_state_kernelINS0_19lookback_scan_stateINS_5tupleIJmbEEELb0ELb0EEEEEvT_jjPNS6_10value_typeE: ; @_ZN7rocprim6detail31init_lookback_scan_state_kernelINS0_19lookback_scan_stateINS_5tupleIJmbEEELb0ELb0EEEEEvT_jjPNS6_10value_typeE
; %bb.0:
	s_load_dword s7, s[4:5], 0x34
	s_load_dwordx2 s[8:9], s[4:5], 0x20
	s_load_dwordx4 s[0:3], s[4:5], 0x10
	s_waitcnt lgkmcnt(0)
	s_and_b32 s7, s7, 0xffff
	s_mul_i32 s6, s6, s7
	s_cmp_eq_u64 s[8:9], 0
	v_add_u32_e32 v0, s6, v0
	s_cbranch_scc1 .LBB64_7
; %bb.1:
	s_cmp_lt_u32 s3, s2
	s_cselect_b32 s6, s3, 0
	s_mov_b32 s13, 0
	v_cmp_eq_u32_e32 vcc, s6, v0
	s_and_saveexec_b64 s[10:11], vcc
	s_cbranch_execz .LBB64_6
; %bb.2:
	s_add_i32 s12, s3, 64
	v_mov_b32_e32 v1, s12
	global_load_ubyte v1, v1, s[0:1] glc
	s_load_dwordx4 s[4:7], s[4:5], 0x0
	s_add_u32 s14, s0, s12
	s_addc_u32 s15, s1, 0
	s_waitcnt vmcnt(0)
	v_cmp_ne_u16_e32 vcc, 0, v1
	v_readfirstlane_b32 s3, v1
	s_cbranch_vccnz .LBB64_5
; %bb.3:
	v_mov_b32_e32 v1, 0
.LBB64_4:                               ; =>This Inner Loop Header: Depth=1
	global_load_ubyte v2, v1, s[14:15] glc
	s_waitcnt vmcnt(0)
	v_cmp_eq_u16_e32 vcc, 0, v2
	v_readfirstlane_b32 s3, v2
	s_cbranch_vccnz .LBB64_4
.LBB64_5:
	s_and_b32 s3, 0xffff, s3
	s_cmp_eq_u32 s3, 1
	s_waitcnt lgkmcnt(0)
	s_cselect_b32 s3, s5, s7
	s_cselect_b32 s6, s4, s6
	s_lshl_b64 s[4:5], s[12:13], 4
	s_add_u32 s4, s6, s4
	s_addc_u32 s5, s3, s5
	v_mov_b32_e32 v1, 0
	buffer_wbinvl1_vol
	global_load_dwordx2 v[2:3], v1, s[4:5]
	global_load_ubyte v4, v1, s[4:5] offset:8
	s_waitcnt vmcnt(1)
	global_store_dwordx2 v1, v[2:3], s[8:9]
	s_waitcnt vmcnt(1)
	global_store_byte v1, v4, s[8:9] offset:8
.LBB64_6:
	s_or_b64 exec, exec, s[10:11]
.LBB64_7:
	v_cmp_gt_u32_e32 vcc, s2, v0
	s_and_saveexec_b64 s[2:3], vcc
	s_cbranch_execnz .LBB64_10
; %bb.8:
	s_or_b64 exec, exec, s[2:3]
	v_cmp_gt_u32_e32 vcc, 64, v0
	s_and_saveexec_b64 s[2:3], vcc
	s_cbranch_execnz .LBB64_11
.LBB64_9:
	s_endpgm
.LBB64_10:
	v_add_u32_e32 v1, 64, v0
	v_mov_b32_e32 v2, 0
	global_store_byte v1, v2, s[0:1]
	s_or_b64 exec, exec, s[2:3]
	v_cmp_gt_u32_e32 vcc, 64, v0
	s_and_saveexec_b64 s[2:3], vcc
	s_cbranch_execz .LBB64_9
.LBB64_11:
	v_mov_b32_e32 v1, 0xff
	global_store_byte v0, v1, s[0:1]
	s_endpgm
	.section	.rodata,"a",@progbits
	.p2align	6, 0x0
	.amdhsa_kernel _ZN7rocprim6detail31init_lookback_scan_state_kernelINS0_19lookback_scan_stateINS_5tupleIJmbEEELb0ELb0EEEEEvT_jjPNS6_10value_typeE
		.amdhsa_group_segment_fixed_size 0
		.amdhsa_private_segment_fixed_size 0
		.amdhsa_kernarg_size 296
		.amdhsa_user_sgpr_count 6
		.amdhsa_user_sgpr_private_segment_buffer 1
		.amdhsa_user_sgpr_dispatch_ptr 0
		.amdhsa_user_sgpr_queue_ptr 0
		.amdhsa_user_sgpr_kernarg_segment_ptr 1
		.amdhsa_user_sgpr_dispatch_id 0
		.amdhsa_user_sgpr_flat_scratch_init 0
		.amdhsa_user_sgpr_kernarg_preload_length 0
		.amdhsa_user_sgpr_kernarg_preload_offset 0
		.amdhsa_user_sgpr_private_segment_size 0
		.amdhsa_uses_dynamic_stack 0
		.amdhsa_system_sgpr_private_segment_wavefront_offset 0
		.amdhsa_system_sgpr_workgroup_id_x 1
		.amdhsa_system_sgpr_workgroup_id_y 0
		.amdhsa_system_sgpr_workgroup_id_z 0
		.amdhsa_system_sgpr_workgroup_info 0
		.amdhsa_system_vgpr_workitem_id 0
		.amdhsa_next_free_vgpr 5
		.amdhsa_next_free_sgpr 16
		.amdhsa_accum_offset 8
		.amdhsa_reserve_vcc 1
		.amdhsa_reserve_flat_scratch 0
		.amdhsa_float_round_mode_32 0
		.amdhsa_float_round_mode_16_64 0
		.amdhsa_float_denorm_mode_32 3
		.amdhsa_float_denorm_mode_16_64 3
		.amdhsa_dx10_clamp 1
		.amdhsa_ieee_mode 1
		.amdhsa_fp16_overflow 0
		.amdhsa_tg_split 0
		.amdhsa_exception_fp_ieee_invalid_op 0
		.amdhsa_exception_fp_denorm_src 0
		.amdhsa_exception_fp_ieee_div_zero 0
		.amdhsa_exception_fp_ieee_overflow 0
		.amdhsa_exception_fp_ieee_underflow 0
		.amdhsa_exception_fp_ieee_inexact 0
		.amdhsa_exception_int_div_zero 0
	.end_amdhsa_kernel
	.section	.text._ZN7rocprim6detail31init_lookback_scan_state_kernelINS0_19lookback_scan_stateINS_5tupleIJmbEEELb0ELb0EEEEEvT_jjPNS6_10value_typeE,"axG",@progbits,_ZN7rocprim6detail31init_lookback_scan_state_kernelINS0_19lookback_scan_stateINS_5tupleIJmbEEELb0ELb0EEEEEvT_jjPNS6_10value_typeE,comdat
.Lfunc_end64:
	.size	_ZN7rocprim6detail31init_lookback_scan_state_kernelINS0_19lookback_scan_stateINS_5tupleIJmbEEELb0ELb0EEEEEvT_jjPNS6_10value_typeE, .Lfunc_end64-_ZN7rocprim6detail31init_lookback_scan_state_kernelINS0_19lookback_scan_stateINS_5tupleIJmbEEELb0ELb0EEEEEvT_jjPNS6_10value_typeE
                                        ; -- End function
	.section	.AMDGPU.csdata,"",@progbits
; Kernel info:
; codeLenInByte = 328
; NumSgprs: 20
; NumVgprs: 5
; NumAgprs: 0
; TotalNumVgprs: 5
; ScratchSize: 0
; MemoryBound: 0
; FloatMode: 240
; IeeeMode: 1
; LDSByteSize: 0 bytes/workgroup (compile time only)
; SGPRBlocks: 2
; VGPRBlocks: 0
; NumSGPRsForWavesPerEU: 20
; NumVGPRsForWavesPerEU: 5
; AccumOffset: 8
; Occupancy: 8
; WaveLimiterHint : 0
; COMPUTE_PGM_RSRC2:SCRATCH_EN: 0
; COMPUTE_PGM_RSRC2:USER_SGPR: 6
; COMPUTE_PGM_RSRC2:TRAP_HANDLER: 0
; COMPUTE_PGM_RSRC2:TGID_X_EN: 1
; COMPUTE_PGM_RSRC2:TGID_Y_EN: 0
; COMPUTE_PGM_RSRC2:TGID_Z_EN: 0
; COMPUTE_PGM_RSRC2:TIDIG_COMP_CNT: 0
; COMPUTE_PGM_RSRC3_GFX90A:ACCUM_OFFSET: 1
; COMPUTE_PGM_RSRC3_GFX90A:TG_SPLIT: 0
	.section	.text._ZN7rocprim6detail25device_scan_by_key_kernelILNS0_25lookback_scan_determinismE0ELb0ENS0_26wrapped_scan_by_key_configINS_14default_configEimEEPiN6hipcub22TransformInputIteratorImNS7_6CastOpImEEPmlEESB_mNS7_8EqualityENS7_3SumENS0_19lookback_scan_stateINS_5tupleIJmbEEELb1ELb0EEEmEEvT2_T3_T4_T5_T6_T7_T8_mmmPKNSG_IJT9_bEEE,"axG",@progbits,_ZN7rocprim6detail25device_scan_by_key_kernelILNS0_25lookback_scan_determinismE0ELb0ENS0_26wrapped_scan_by_key_configINS_14default_configEimEEPiN6hipcub22TransformInputIteratorImNS7_6CastOpImEEPmlEESB_mNS7_8EqualityENS7_3SumENS0_19lookback_scan_stateINS_5tupleIJmbEEELb1ELb0EEEmEEvT2_T3_T4_T5_T6_T7_T8_mmmPKNSG_IJT9_bEEE,comdat
	.protected	_ZN7rocprim6detail25device_scan_by_key_kernelILNS0_25lookback_scan_determinismE0ELb0ENS0_26wrapped_scan_by_key_configINS_14default_configEimEEPiN6hipcub22TransformInputIteratorImNS7_6CastOpImEEPmlEESB_mNS7_8EqualityENS7_3SumENS0_19lookback_scan_stateINS_5tupleIJmbEEELb1ELb0EEEmEEvT2_T3_T4_T5_T6_T7_T8_mmmPKNSG_IJT9_bEEE ; -- Begin function _ZN7rocprim6detail25device_scan_by_key_kernelILNS0_25lookback_scan_determinismE0ELb0ENS0_26wrapped_scan_by_key_configINS_14default_configEimEEPiN6hipcub22TransformInputIteratorImNS7_6CastOpImEEPmlEESB_mNS7_8EqualityENS7_3SumENS0_19lookback_scan_stateINS_5tupleIJmbEEELb1ELb0EEEmEEvT2_T3_T4_T5_T6_T7_T8_mmmPKNSG_IJT9_bEEE
	.globl	_ZN7rocprim6detail25device_scan_by_key_kernelILNS0_25lookback_scan_determinismE0ELb0ENS0_26wrapped_scan_by_key_configINS_14default_configEimEEPiN6hipcub22TransformInputIteratorImNS7_6CastOpImEEPmlEESB_mNS7_8EqualityENS7_3SumENS0_19lookback_scan_stateINS_5tupleIJmbEEELb1ELb0EEEmEEvT2_T3_T4_T5_T6_T7_T8_mmmPKNSG_IJT9_bEEE
	.p2align	8
	.type	_ZN7rocprim6detail25device_scan_by_key_kernelILNS0_25lookback_scan_determinismE0ELb0ENS0_26wrapped_scan_by_key_configINS_14default_configEimEEPiN6hipcub22TransformInputIteratorImNS7_6CastOpImEEPmlEESB_mNS7_8EqualityENS7_3SumENS0_19lookback_scan_stateINS_5tupleIJmbEEELb1ELb0EEEmEEvT2_T3_T4_T5_T6_T7_T8_mmmPKNSG_IJT9_bEEE,@function
_ZN7rocprim6detail25device_scan_by_key_kernelILNS0_25lookback_scan_determinismE0ELb0ENS0_26wrapped_scan_by_key_configINS_14default_configEimEEPiN6hipcub22TransformInputIteratorImNS7_6CastOpImEEPmlEESB_mNS7_8EqualityENS7_3SumENS0_19lookback_scan_stateINS_5tupleIJmbEEELb1ELb0EEEmEEvT2_T3_T4_T5_T6_T7_T8_mmmPKNSG_IJT9_bEEE: ; @_ZN7rocprim6detail25device_scan_by_key_kernelILNS0_25lookback_scan_determinismE0ELb0ENS0_26wrapped_scan_by_key_configINS_14default_configEimEEPiN6hipcub22TransformInputIteratorImNS7_6CastOpImEEPmlEESB_mNS7_8EqualityENS7_3SumENS0_19lookback_scan_stateINS_5tupleIJmbEEELb1ELb0EEEmEEvT2_T3_T4_T5_T6_T7_T8_mmmPKNSG_IJT9_bEEE
; %bb.0:
	s_endpgm
	.section	.rodata,"a",@progbits
	.p2align	6, 0x0
	.amdhsa_kernel _ZN7rocprim6detail25device_scan_by_key_kernelILNS0_25lookback_scan_determinismE0ELb0ENS0_26wrapped_scan_by_key_configINS_14default_configEimEEPiN6hipcub22TransformInputIteratorImNS7_6CastOpImEEPmlEESB_mNS7_8EqualityENS7_3SumENS0_19lookback_scan_stateINS_5tupleIJmbEEELb1ELb0EEEmEEvT2_T3_T4_T5_T6_T7_T8_mmmPKNSG_IJT9_bEEE
		.amdhsa_group_segment_fixed_size 0
		.amdhsa_private_segment_fixed_size 0
		.amdhsa_kernarg_size 104
		.amdhsa_user_sgpr_count 6
		.amdhsa_user_sgpr_private_segment_buffer 1
		.amdhsa_user_sgpr_dispatch_ptr 0
		.amdhsa_user_sgpr_queue_ptr 0
		.amdhsa_user_sgpr_kernarg_segment_ptr 1
		.amdhsa_user_sgpr_dispatch_id 0
		.amdhsa_user_sgpr_flat_scratch_init 0
		.amdhsa_user_sgpr_kernarg_preload_length 0
		.amdhsa_user_sgpr_kernarg_preload_offset 0
		.amdhsa_user_sgpr_private_segment_size 0
		.amdhsa_uses_dynamic_stack 0
		.amdhsa_system_sgpr_private_segment_wavefront_offset 0
		.amdhsa_system_sgpr_workgroup_id_x 1
		.amdhsa_system_sgpr_workgroup_id_y 0
		.amdhsa_system_sgpr_workgroup_id_z 0
		.amdhsa_system_sgpr_workgroup_info 0
		.amdhsa_system_vgpr_workitem_id 0
		.amdhsa_next_free_vgpr 1
		.amdhsa_next_free_sgpr 0
		.amdhsa_accum_offset 4
		.amdhsa_reserve_vcc 0
		.amdhsa_reserve_flat_scratch 0
		.amdhsa_float_round_mode_32 0
		.amdhsa_float_round_mode_16_64 0
		.amdhsa_float_denorm_mode_32 3
		.amdhsa_float_denorm_mode_16_64 3
		.amdhsa_dx10_clamp 1
		.amdhsa_ieee_mode 1
		.amdhsa_fp16_overflow 0
		.amdhsa_tg_split 0
		.amdhsa_exception_fp_ieee_invalid_op 0
		.amdhsa_exception_fp_denorm_src 0
		.amdhsa_exception_fp_ieee_div_zero 0
		.amdhsa_exception_fp_ieee_overflow 0
		.amdhsa_exception_fp_ieee_underflow 0
		.amdhsa_exception_fp_ieee_inexact 0
		.amdhsa_exception_int_div_zero 0
	.end_amdhsa_kernel
	.section	.text._ZN7rocprim6detail25device_scan_by_key_kernelILNS0_25lookback_scan_determinismE0ELb0ENS0_26wrapped_scan_by_key_configINS_14default_configEimEEPiN6hipcub22TransformInputIteratorImNS7_6CastOpImEEPmlEESB_mNS7_8EqualityENS7_3SumENS0_19lookback_scan_stateINS_5tupleIJmbEEELb1ELb0EEEmEEvT2_T3_T4_T5_T6_T7_T8_mmmPKNSG_IJT9_bEEE,"axG",@progbits,_ZN7rocprim6detail25device_scan_by_key_kernelILNS0_25lookback_scan_determinismE0ELb0ENS0_26wrapped_scan_by_key_configINS_14default_configEimEEPiN6hipcub22TransformInputIteratorImNS7_6CastOpImEEPmlEESB_mNS7_8EqualityENS7_3SumENS0_19lookback_scan_stateINS_5tupleIJmbEEELb1ELb0EEEmEEvT2_T3_T4_T5_T6_T7_T8_mmmPKNSG_IJT9_bEEE,comdat
.Lfunc_end65:
	.size	_ZN7rocprim6detail25device_scan_by_key_kernelILNS0_25lookback_scan_determinismE0ELb0ENS0_26wrapped_scan_by_key_configINS_14default_configEimEEPiN6hipcub22TransformInputIteratorImNS7_6CastOpImEEPmlEESB_mNS7_8EqualityENS7_3SumENS0_19lookback_scan_stateINS_5tupleIJmbEEELb1ELb0EEEmEEvT2_T3_T4_T5_T6_T7_T8_mmmPKNSG_IJT9_bEEE, .Lfunc_end65-_ZN7rocprim6detail25device_scan_by_key_kernelILNS0_25lookback_scan_determinismE0ELb0ENS0_26wrapped_scan_by_key_configINS_14default_configEimEEPiN6hipcub22TransformInputIteratorImNS7_6CastOpImEEPmlEESB_mNS7_8EqualityENS7_3SumENS0_19lookback_scan_stateINS_5tupleIJmbEEELb1ELb0EEEmEEvT2_T3_T4_T5_T6_T7_T8_mmmPKNSG_IJT9_bEEE
                                        ; -- End function
	.section	.AMDGPU.csdata,"",@progbits
; Kernel info:
; codeLenInByte = 4
; NumSgprs: 4
; NumVgprs: 0
; NumAgprs: 0
; TotalNumVgprs: 0
; ScratchSize: 0
; MemoryBound: 0
; FloatMode: 240
; IeeeMode: 1
; LDSByteSize: 0 bytes/workgroup (compile time only)
; SGPRBlocks: 0
; VGPRBlocks: 0
; NumSGPRsForWavesPerEU: 4
; NumVGPRsForWavesPerEU: 1
; AccumOffset: 4
; Occupancy: 8
; WaveLimiterHint : 0
; COMPUTE_PGM_RSRC2:SCRATCH_EN: 0
; COMPUTE_PGM_RSRC2:USER_SGPR: 6
; COMPUTE_PGM_RSRC2:TRAP_HANDLER: 0
; COMPUTE_PGM_RSRC2:TGID_X_EN: 1
; COMPUTE_PGM_RSRC2:TGID_Y_EN: 0
; COMPUTE_PGM_RSRC2:TGID_Z_EN: 0
; COMPUTE_PGM_RSRC2:TIDIG_COMP_CNT: 0
; COMPUTE_PGM_RSRC3_GFX90A:ACCUM_OFFSET: 0
; COMPUTE_PGM_RSRC3_GFX90A:TG_SPLIT: 0
	.section	.text._ZN7rocprim6detail25device_scan_by_key_kernelILNS0_25lookback_scan_determinismE0ELb0ENS0_26wrapped_scan_by_key_configINS_14default_configEimEEPiN6hipcub22TransformInputIteratorImNS7_6CastOpImEEPmlEESB_mNS7_8EqualityENS7_3SumENS0_19lookback_scan_stateINS_5tupleIJmbEEELb0ELb0EEEmEEvT2_T3_T4_T5_T6_T7_T8_mmmPKNSG_IJT9_bEEE,"axG",@progbits,_ZN7rocprim6detail25device_scan_by_key_kernelILNS0_25lookback_scan_determinismE0ELb0ENS0_26wrapped_scan_by_key_configINS_14default_configEimEEPiN6hipcub22TransformInputIteratorImNS7_6CastOpImEEPmlEESB_mNS7_8EqualityENS7_3SumENS0_19lookback_scan_stateINS_5tupleIJmbEEELb0ELb0EEEmEEvT2_T3_T4_T5_T6_T7_T8_mmmPKNSG_IJT9_bEEE,comdat
	.protected	_ZN7rocprim6detail25device_scan_by_key_kernelILNS0_25lookback_scan_determinismE0ELb0ENS0_26wrapped_scan_by_key_configINS_14default_configEimEEPiN6hipcub22TransformInputIteratorImNS7_6CastOpImEEPmlEESB_mNS7_8EqualityENS7_3SumENS0_19lookback_scan_stateINS_5tupleIJmbEEELb0ELb0EEEmEEvT2_T3_T4_T5_T6_T7_T8_mmmPKNSG_IJT9_bEEE ; -- Begin function _ZN7rocprim6detail25device_scan_by_key_kernelILNS0_25lookback_scan_determinismE0ELb0ENS0_26wrapped_scan_by_key_configINS_14default_configEimEEPiN6hipcub22TransformInputIteratorImNS7_6CastOpImEEPmlEESB_mNS7_8EqualityENS7_3SumENS0_19lookback_scan_stateINS_5tupleIJmbEEELb0ELb0EEEmEEvT2_T3_T4_T5_T6_T7_T8_mmmPKNSG_IJT9_bEEE
	.globl	_ZN7rocprim6detail25device_scan_by_key_kernelILNS0_25lookback_scan_determinismE0ELb0ENS0_26wrapped_scan_by_key_configINS_14default_configEimEEPiN6hipcub22TransformInputIteratorImNS7_6CastOpImEEPmlEESB_mNS7_8EqualityENS7_3SumENS0_19lookback_scan_stateINS_5tupleIJmbEEELb0ELb0EEEmEEvT2_T3_T4_T5_T6_T7_T8_mmmPKNSG_IJT9_bEEE
	.p2align	8
	.type	_ZN7rocprim6detail25device_scan_by_key_kernelILNS0_25lookback_scan_determinismE0ELb0ENS0_26wrapped_scan_by_key_configINS_14default_configEimEEPiN6hipcub22TransformInputIteratorImNS7_6CastOpImEEPmlEESB_mNS7_8EqualityENS7_3SumENS0_19lookback_scan_stateINS_5tupleIJmbEEELb0ELb0EEEmEEvT2_T3_T4_T5_T6_T7_T8_mmmPKNSG_IJT9_bEEE,@function
_ZN7rocprim6detail25device_scan_by_key_kernelILNS0_25lookback_scan_determinismE0ELb0ENS0_26wrapped_scan_by_key_configINS_14default_configEimEEPiN6hipcub22TransformInputIteratorImNS7_6CastOpImEEPmlEESB_mNS7_8EqualityENS7_3SumENS0_19lookback_scan_stateINS_5tupleIJmbEEELb0ELb0EEEmEEvT2_T3_T4_T5_T6_T7_T8_mmmPKNSG_IJT9_bEEE: ; @_ZN7rocprim6detail25device_scan_by_key_kernelILNS0_25lookback_scan_determinismE0ELb0ENS0_26wrapped_scan_by_key_configINS_14default_configEimEEPiN6hipcub22TransformInputIteratorImNS7_6CastOpImEEPmlEESB_mNS7_8EqualityENS7_3SumENS0_19lookback_scan_stateINS_5tupleIJmbEEELb0ELb0EEEmEEvT2_T3_T4_T5_T6_T7_T8_mmmPKNSG_IJT9_bEEE
; %bb.0:
	s_load_dwordx4 s[0:3], s[4:5], 0x0
	s_load_dwordx8 s[68:75], s[4:5], 0x30
	s_load_dwordx2 s[92:93], s[4:5], 0x60
	s_load_dwordx4 s[52:55], s[4:5], 0x50
	s_mul_i32 s8, s6, 0x540
	s_mov_b32 s9, 0
	s_lshl_b64 s[10:11], s[8:9], 2
	s_waitcnt lgkmcnt(0)
	s_add_u32 s56, s0, s10
	s_addc_u32 s57, s1, s11
	s_lshl_b64 s[90:91], s[8:9], 3
	s_add_u32 s50, s2, s90
	s_addc_u32 s51, s3, s91
	s_add_u32 s0, s6, s52
	s_addc_u32 s1, 0, s53
	s_add_u32 s2, s54, -1
	s_addc_u32 s3, s55, -1
	v_pk_mov_b32 v[2:3], s[2:3], s[2:3] op_sel:[0,1]
	v_cmp_ge_u64_e64 s[0:1], s[0:1], v[2:3]
	s_mov_b64 s[12:13], -1
	s_and_b64 vcc, exec, s[0:1]
	s_mul_i32 s33, s2, 0xfffffac0
	v_lshlrev_b32_e32 v82, 2, v0
	s_cbranch_vccz .LBB66_65
; %bb.1:
	s_load_dword s7, s[56:57], 0x0
	s_add_i32 s64, s33, s74
	v_mov_b32_e32 v1, s57
	v_add_co_u32_e32 v2, vcc, s56, v82
	v_addc_co_u32_e32 v3, vcc, 0, v1, vcc
	v_cmp_gt_u32_e64 s[2:3], s64, v0
	s_waitcnt lgkmcnt(0)
	v_mov_b32_e32 v1, s7
	s_and_saveexec_b64 s[8:9], s[2:3]
	s_cbranch_execz .LBB66_3
; %bb.2:
	global_load_dword v1, v[2:3], off
.LBB66_3:
	s_or_b64 exec, exec, s[8:9]
	v_or_b32_e32 v4, 64, v0
	v_cmp_gt_u32_e64 s[8:9], s64, v4
	v_mov_b32_e32 v4, s7
	s_and_saveexec_b64 s[10:11], s[8:9]
	s_cbranch_execz .LBB66_5
; %bb.4:
	global_load_dword v4, v[2:3], off offset:256
.LBB66_5:
	s_or_b64 exec, exec, s[10:11]
	v_or_b32_e32 v5, 0x80, v0
	v_cmp_gt_u32_e64 s[14:15], s64, v5
	v_mov_b32_e32 v5, s7
	s_and_saveexec_b64 s[10:11], s[14:15]
	s_cbranch_execz .LBB66_7
; %bb.6:
	global_load_dword v5, v[2:3], off offset:512
.LBB66_7:
	s_or_b64 exec, exec, s[10:11]
	v_or_b32_e32 v6, 0xc0, v0
	v_cmp_gt_u32_e64 s[20:21], s64, v6
	v_mov_b32_e32 v6, s7
	s_and_saveexec_b64 s[10:11], s[20:21]
	s_cbranch_execz .LBB66_9
; %bb.8:
	global_load_dword v6, v[2:3], off offset:768
.LBB66_9:
	s_or_b64 exec, exec, s[10:11]
	v_or_b32_e32 v7, 0x100, v0
	v_cmp_gt_u32_e64 s[28:29], s64, v7
	v_mov_b32_e32 v7, s7
	s_and_saveexec_b64 s[10:11], s[28:29]
	s_cbranch_execz .LBB66_11
; %bb.10:
	global_load_dword v7, v[2:3], off offset:1024
.LBB66_11:
	s_or_b64 exec, exec, s[10:11]
	v_or_b32_e32 v8, 0x140, v0
	v_cmp_gt_u32_e64 s[34:35], s64, v8
	v_mov_b32_e32 v8, s7
	s_and_saveexec_b64 s[10:11], s[34:35]
	s_cbranch_execz .LBB66_13
; %bb.12:
	global_load_dword v8, v[2:3], off offset:1280
.LBB66_13:
	s_or_b64 exec, exec, s[10:11]
	v_or_b32_e32 v9, 0x180, v0
	v_cmp_gt_u32_e64 s[38:39], s64, v9
	v_mov_b32_e32 v9, s7
	s_and_saveexec_b64 s[10:11], s[38:39]
	s_cbranch_execz .LBB66_15
; %bb.14:
	global_load_dword v9, v[2:3], off offset:1536
.LBB66_15:
	s_or_b64 exec, exec, s[10:11]
	v_or_b32_e32 v10, 0x1c0, v0
	v_cmp_gt_u32_e64 s[42:43], s64, v10
	v_mov_b32_e32 v10, s7
	s_and_saveexec_b64 s[10:11], s[42:43]
	s_cbranch_execz .LBB66_17
; %bb.16:
	global_load_dword v10, v[2:3], off offset:1792
.LBB66_17:
	s_or_b64 exec, exec, s[10:11]
	v_or_b32_e32 v11, 0x200, v0
	v_cmp_gt_u32_e64 s[46:47], s64, v11
	v_mov_b32_e32 v11, s7
	s_and_saveexec_b64 s[10:11], s[46:47]
	s_cbranch_execz .LBB66_19
; %bb.18:
	global_load_dword v11, v[2:3], off offset:2048
.LBB66_19:
	s_or_b64 exec, exec, s[10:11]
	v_or_b32_e32 v12, 0x240, v0
	v_cmp_gt_u32_e64 s[44:45], s64, v12
	v_mov_b32_e32 v12, s7
	s_and_saveexec_b64 s[10:11], s[44:45]
	s_cbranch_execz .LBB66_21
; %bb.20:
	global_load_dword v12, v[2:3], off offset:2304
.LBB66_21:
	s_or_b64 exec, exec, s[10:11]
	v_or_b32_e32 v13, 0x280, v0
	v_cmp_gt_u32_e64 s[40:41], s64, v13
	v_mov_b32_e32 v13, s7
	s_and_saveexec_b64 s[10:11], s[40:41]
	s_cbranch_execz .LBB66_23
; %bb.22:
	global_load_dword v13, v[2:3], off offset:2560
.LBB66_23:
	s_or_b64 exec, exec, s[10:11]
	v_or_b32_e32 v14, 0x2c0, v0
	v_cmp_gt_u32_e64 s[36:37], s64, v14
	v_mov_b32_e32 v14, s7
	s_and_saveexec_b64 s[10:11], s[36:37]
	s_cbranch_execz .LBB66_25
; %bb.24:
	global_load_dword v14, v[2:3], off offset:2816
.LBB66_25:
	s_or_b64 exec, exec, s[10:11]
	v_or_b32_e32 v15, 0x300, v0
	v_cmp_gt_u32_e64 s[30:31], s64, v15
	v_mov_b32_e32 v15, s7
	s_and_saveexec_b64 s[10:11], s[30:31]
	s_cbranch_execz .LBB66_27
; %bb.26:
	global_load_dword v15, v[2:3], off offset:3072
.LBB66_27:
	s_or_b64 exec, exec, s[10:11]
	v_or_b32_e32 v16, 0x340, v0
	v_cmp_gt_u32_e64 s[22:23], s64, v16
	v_mov_b32_e32 v16, s7
	s_and_saveexec_b64 s[10:11], s[22:23]
	s_cbranch_execz .LBB66_29
; %bb.28:
	global_load_dword v16, v[2:3], off offset:3328
.LBB66_29:
	s_or_b64 exec, exec, s[10:11]
	v_or_b32_e32 v17, 0x380, v0
	v_cmp_gt_u32_e64 s[16:17], s64, v17
	v_mov_b32_e32 v17, s7
	s_and_saveexec_b64 s[10:11], s[16:17]
	s_cbranch_execz .LBB66_31
; %bb.30:
	global_load_dword v17, v[2:3], off offset:3584
.LBB66_31:
	s_or_b64 exec, exec, s[10:11]
	v_or_b32_e32 v18, 0x3c0, v0
	v_cmp_gt_u32_e64 s[10:11], s64, v18
	v_mov_b32_e32 v18, s7
	s_and_saveexec_b64 s[12:13], s[10:11]
	s_cbranch_execz .LBB66_33
; %bb.32:
	global_load_dword v18, v[2:3], off offset:3840
.LBB66_33:
	s_or_b64 exec, exec, s[12:13]
	v_or_b32_e32 v19, 0x400, v0
	v_cmp_gt_u32_e64 s[48:49], s64, v19
	v_mov_b32_e32 v19, s7
	s_and_saveexec_b64 s[12:13], s[48:49]
	s_cbranch_execz .LBB66_35
; %bb.34:
	v_add_co_u32_e32 v20, vcc, 0x1000, v2
	v_addc_co_u32_e32 v21, vcc, 0, v3, vcc
	global_load_dword v19, v[20:21], off
.LBB66_35:
	s_or_b64 exec, exec, s[12:13]
	v_or_b32_e32 v20, 0x440, v0
	v_cmp_gt_u32_e64 s[12:13], s64, v20
	v_mov_b32_e32 v20, s7
	s_and_saveexec_b64 s[18:19], s[12:13]
	s_cbranch_execz .LBB66_37
; %bb.36:
	v_add_co_u32_e32 v20, vcc, 0x1000, v2
	v_addc_co_u32_e32 v21, vcc, 0, v3, vcc
	global_load_dword v20, v[20:21], off offset:256
.LBB66_37:
	s_or_b64 exec, exec, s[18:19]
	v_or_b32_e32 v21, 0x480, v0
	v_cmp_gt_u32_e64 s[18:19], s64, v21
	v_mov_b32_e32 v21, s7
	s_and_saveexec_b64 s[24:25], s[18:19]
	s_cbranch_execz .LBB66_39
; %bb.38:
	v_add_co_u32_e32 v22, vcc, 0x1000, v2
	v_addc_co_u32_e32 v23, vcc, 0, v3, vcc
	global_load_dword v21, v[22:23], off offset:512
.LBB66_39:
	;; [unrolled: 11-line block ×4, first 2 shown]
	s_or_b64 exec, exec, s[54:55]
	s_sub_u32 s54, 0, s6
	s_subb_u32 s55, 0, 0
	s_cmp_eq_u64 s[54:55], s[52:53]
	s_movk_i32 s7, 0x50
	s_cselect_b32 s54, 0, -4
	v_mad_u32_u24 v2, v0, s7, v82
	s_cselect_b32 s7, 0, -1
	s_add_u32 s54, s56, s54
	s_addc_u32 s55, s57, s7
	s_waitcnt vmcnt(0)
	ds_write2st64_b32 v82, v1, v4 offset1:1
	ds_write2st64_b32 v82, v5, v6 offset0:2 offset1:3
	ds_write2st64_b32 v82, v7, v8 offset0:4 offset1:5
	;; [unrolled: 1-line block ×9, first 2 shown]
	ds_write_b32 v82, v23 offset:5120
	s_waitcnt lgkmcnt(0)
	; wave barrier
	s_waitcnt lgkmcnt(0)
	s_load_dword s7, s[54:55], 0x0
	ds_read2_b32 v[32:33], v2 offset0:4 offset1:9
	s_movk_i32 s54, 0xffb0
	v_mad_i32_i24 v1, v0, s54, v2
	v_cmp_ne_u32_e32 vcc, 0, v0
	s_waitcnt lgkmcnt(0)
	v_mov_b32_e32 v68, s7
	ds_read2_b32 v[4:5], v2 offset0:19 offset1:20
	ds_read2_b32 v[8:9], v2 offset0:17 offset1:18
	;; [unrolled: 1-line block ×3, first 2 shown]
	ds_read_b32 v72, v2 offset:56
	ds_read2_b32 v[16:17], v2 offset0:12 offset1:13
	ds_read2_b32 v[24:25], v2 offset0:10 offset1:11
	;; [unrolled: 1-line block ×5, first 2 shown]
	ds_read2_b32 v[36:37], v2 offset1:1
	s_waitcnt lgkmcnt(9)
	ds_write_b32 v1, v5 offset:5376
	s_waitcnt lgkmcnt(0)
	; wave barrier
	s_waitcnt lgkmcnt(0)
	s_and_saveexec_b64 s[54:55], vcc
	s_cbranch_execz .LBB66_45
; %bb.44:
	ds_read_b32 v68, v1 offset:5372
.LBB66_45:
	s_or_b64 exec, exec, s[54:55]
	v_lshlrev_b32_e32 v2, 3, v0
	v_mov_b32_e32 v3, s51
	v_add_co_u32_e32 v6, vcc, s50, v2
	v_addc_co_u32_e32 v7, vcc, 0, v3, vcc
	s_waitcnt lgkmcnt(0)
	; wave barrier
	s_waitcnt lgkmcnt(0)
                                        ; implicit-def: $vgpr2_vgpr3
	s_and_saveexec_b64 s[54:55], s[2:3]
	s_cbranch_execz .LBB66_66
; %bb.46:
	global_load_dwordx2 v[2:3], v[6:7], off
	s_or_b64 exec, exec, s[54:55]
                                        ; implicit-def: $vgpr10_vgpr11
	s_and_saveexec_b64 s[2:3], s[8:9]
	s_cbranch_execnz .LBB66_67
.LBB66_47:
	s_or_b64 exec, exec, s[2:3]
                                        ; implicit-def: $vgpr14_vgpr15
	s_and_saveexec_b64 s[2:3], s[14:15]
	s_cbranch_execz .LBB66_68
.LBB66_48:
	global_load_dwordx2 v[14:15], v[6:7], off offset:1024
	s_or_b64 exec, exec, s[2:3]
                                        ; implicit-def: $vgpr18_vgpr19
	s_and_saveexec_b64 s[2:3], s[20:21]
	s_cbranch_execnz .LBB66_69
.LBB66_49:
	s_or_b64 exec, exec, s[2:3]
                                        ; implicit-def: $vgpr20_vgpr21
	s_and_saveexec_b64 s[2:3], s[28:29]
	s_cbranch_execz .LBB66_70
.LBB66_50:
	global_load_dwordx2 v[20:21], v[6:7], off offset:2048
	s_or_b64 exec, exec, s[2:3]
                                        ; implicit-def: $vgpr22_vgpr23
	s_and_saveexec_b64 s[2:3], s[34:35]
	s_cbranch_execnz .LBB66_71
.LBB66_51:
	s_or_b64 exec, exec, s[2:3]
                                        ; implicit-def: $vgpr26_vgpr27
	s_and_saveexec_b64 s[2:3], s[38:39]
	s_cbranch_execz .LBB66_72
.LBB66_52:
	global_load_dwordx2 v[26:27], v[6:7], off offset:3072
	s_or_b64 exec, exec, s[2:3]
                                        ; implicit-def: $vgpr30_vgpr31
	s_and_saveexec_b64 s[2:3], s[42:43]
	s_cbranch_execnz .LBB66_73
.LBB66_53:
	s_or_b64 exec, exec, s[2:3]
                                        ; implicit-def: $vgpr34_vgpr35
	s_and_saveexec_b64 s[2:3], s[46:47]
	s_cbranch_execz .LBB66_74
.LBB66_54:
	v_add_co_u32_e32 v34, vcc, 0x1000, v6
	v_addc_co_u32_e32 v35, vcc, 0, v7, vcc
	global_load_dwordx2 v[34:35], v[34:35], off
	s_or_b64 exec, exec, s[2:3]
                                        ; implicit-def: $vgpr38_vgpr39
	s_and_saveexec_b64 s[2:3], s[44:45]
	s_cbranch_execnz .LBB66_75
.LBB66_55:
	s_or_b64 exec, exec, s[2:3]
                                        ; implicit-def: $vgpr42_vgpr43
	s_and_saveexec_b64 s[2:3], s[40:41]
	s_cbranch_execz .LBB66_76
.LBB66_56:
	v_add_co_u32_e32 v42, vcc, 0x1000, v6
	v_addc_co_u32_e32 v43, vcc, 0, v7, vcc
	global_load_dwordx2 v[42:43], v[42:43], off offset:1024
	s_or_b64 exec, exec, s[2:3]
                                        ; implicit-def: $vgpr46_vgpr47
	s_and_saveexec_b64 s[2:3], s[36:37]
	s_cbranch_execnz .LBB66_77
.LBB66_57:
	s_or_b64 exec, exec, s[2:3]
                                        ; implicit-def: $vgpr48_vgpr49
	s_and_saveexec_b64 s[2:3], s[30:31]
	s_cbranch_execz .LBB66_78
.LBB66_58:
	v_add_co_u32_e32 v48, vcc, 0x1000, v6
	v_addc_co_u32_e32 v49, vcc, 0, v7, vcc
	global_load_dwordx2 v[48:49], v[48:49], off offset:2048
	s_or_b64 exec, exec, s[2:3]
                                        ; implicit-def: $vgpr50_vgpr51
	s_and_saveexec_b64 s[2:3], s[22:23]
	s_cbranch_execnz .LBB66_79
.LBB66_59:
	s_or_b64 exec, exec, s[2:3]
                                        ; implicit-def: $vgpr52_vgpr53
	s_and_saveexec_b64 s[2:3], s[16:17]
	s_cbranch_execz .LBB66_80
.LBB66_60:
	v_add_co_u32_e32 v52, vcc, 0x1000, v6
	v_addc_co_u32_e32 v53, vcc, 0, v7, vcc
	global_load_dwordx2 v[52:53], v[52:53], off offset:3072
	s_or_b64 exec, exec, s[2:3]
                                        ; implicit-def: $vgpr54_vgpr55
	s_and_saveexec_b64 s[2:3], s[10:11]
	s_cbranch_execnz .LBB66_81
.LBB66_61:
	s_or_b64 exec, exec, s[2:3]
                                        ; implicit-def: $vgpr56_vgpr57
	s_and_saveexec_b64 s[2:3], s[48:49]
	s_cbranch_execz .LBB66_82
.LBB66_62:
	v_add_co_u32_e32 v56, vcc, 0x2000, v6
	v_addc_co_u32_e32 v57, vcc, 0, v7, vcc
	global_load_dwordx2 v[56:57], v[56:57], off
	s_or_b64 exec, exec, s[2:3]
                                        ; implicit-def: $vgpr58_vgpr59
	s_and_saveexec_b64 s[2:3], s[12:13]
	s_cbranch_execnz .LBB66_83
.LBB66_63:
	s_or_b64 exec, exec, s[2:3]
                                        ; implicit-def: $vgpr60_vgpr61
	s_and_saveexec_b64 s[2:3], s[18:19]
	s_cbranch_execz .LBB66_84
.LBB66_64:
	v_add_co_u32_e32 v60, vcc, 0x2000, v6
	v_addc_co_u32_e32 v61, vcc, 0, v7, vcc
	global_load_dwordx2 v[60:61], v[60:61], off offset:1024
	s_or_b64 exec, exec, s[2:3]
                                        ; implicit-def: $vgpr62_vgpr63
	s_and_saveexec_b64 s[2:3], s[24:25]
	s_cbranch_execz .LBB66_86
	s_branch .LBB66_85
.LBB66_65:
	s_mov_b64 s[10:11], 0
                                        ; implicit-def: $sgpr8_sgpr9
                                        ; implicit-def: $vgpr84
                                        ; implicit-def: $vgpr83
                                        ; implicit-def: $vgpr85
                                        ; implicit-def: $vgpr86
                                        ; implicit-def: $vgpr12_vgpr13
                                        ; implicit-def: $vgpr2_vgpr3
                                        ; implicit-def: $vgpr72_vgpr73
                                        ; implicit-def: $vgpr64_vgpr65
                                        ; implicit-def: $vgpr124
                                        ; implicit-def: $vgpr56_vgpr57
                                        ; implicit-def: $vgpr48_vgpr49
                                        ; implicit-def: $vgpr40_vgpr41
                                        ; implicit-def: $vgpr126
                                        ; implicit-def: $vgpr32_vgpr33
                                        ; implicit-def: $vgpr24_vgpr25
                                        ; implicit-def: $vgpr125
                                        ; implicit-def: $vgpr16_vgpr17
                                        ; implicit-def: $vgpr8_vgpr9
                                        ; implicit-def: $vgpr1
                                        ; implicit-def: $vgpr130
                                        ; implicit-def: $vgpr129
                                        ; implicit-def: $vgpr128
                                        ; implicit-def: $vgpr127
                                        ; implicit-def: $sgpr7
                                        ; implicit-def: $sgpr14_sgpr15
                                        ; implicit-def: $vgpr78_vgpr79
                                        ; implicit-def: $vgpr74_vgpr75
                                        ; implicit-def: $vgpr66_vgpr67
                                        ; implicit-def: $vgpr58_vgpr59
                                        ; implicit-def: $vgpr50_vgpr51
                                        ; implicit-def: $vgpr42_vgpr43
                                        ; implicit-def: $vgpr34_vgpr35
                                        ; implicit-def: $vgpr26_vgpr27
                                        ; implicit-def: $vgpr18_vgpr19
	s_and_b64 vcc, exec, s[12:13]
	v_cmp_ne_u32_e64 s[2:3], 0, v0
	s_cbranch_vccz .LBB66_132
	s_branch .LBB66_129
.LBB66_66:
	s_or_b64 exec, exec, s[54:55]
                                        ; implicit-def: $vgpr10_vgpr11
	s_and_saveexec_b64 s[2:3], s[8:9]
	s_cbranch_execz .LBB66_47
.LBB66_67:
	global_load_dwordx2 v[10:11], v[6:7], off offset:512
	s_or_b64 exec, exec, s[2:3]
                                        ; implicit-def: $vgpr14_vgpr15
	s_and_saveexec_b64 s[2:3], s[14:15]
	s_cbranch_execnz .LBB66_48
.LBB66_68:
	s_or_b64 exec, exec, s[2:3]
                                        ; implicit-def: $vgpr18_vgpr19
	s_and_saveexec_b64 s[2:3], s[20:21]
	s_cbranch_execz .LBB66_49
.LBB66_69:
	global_load_dwordx2 v[18:19], v[6:7], off offset:1536
	s_or_b64 exec, exec, s[2:3]
                                        ; implicit-def: $vgpr20_vgpr21
	s_and_saveexec_b64 s[2:3], s[28:29]
	s_cbranch_execnz .LBB66_50
.LBB66_70:
	s_or_b64 exec, exec, s[2:3]
                                        ; implicit-def: $vgpr22_vgpr23
	s_and_saveexec_b64 s[2:3], s[34:35]
	s_cbranch_execz .LBB66_51
.LBB66_71:
	global_load_dwordx2 v[22:23], v[6:7], off offset:2560
	s_or_b64 exec, exec, s[2:3]
                                        ; implicit-def: $vgpr26_vgpr27
	s_and_saveexec_b64 s[2:3], s[38:39]
	s_cbranch_execnz .LBB66_52
.LBB66_72:
	s_or_b64 exec, exec, s[2:3]
                                        ; implicit-def: $vgpr30_vgpr31
	s_and_saveexec_b64 s[2:3], s[42:43]
	s_cbranch_execz .LBB66_53
.LBB66_73:
	global_load_dwordx2 v[30:31], v[6:7], off offset:3584
	s_or_b64 exec, exec, s[2:3]
                                        ; implicit-def: $vgpr34_vgpr35
	s_and_saveexec_b64 s[2:3], s[46:47]
	s_cbranch_execnz .LBB66_54
.LBB66_74:
	s_or_b64 exec, exec, s[2:3]
                                        ; implicit-def: $vgpr38_vgpr39
	s_and_saveexec_b64 s[2:3], s[44:45]
	s_cbranch_execz .LBB66_55
.LBB66_75:
	v_add_co_u32_e32 v38, vcc, 0x1000, v6
	v_addc_co_u32_e32 v39, vcc, 0, v7, vcc
	global_load_dwordx2 v[38:39], v[38:39], off offset:512
	s_or_b64 exec, exec, s[2:3]
                                        ; implicit-def: $vgpr42_vgpr43
	s_and_saveexec_b64 s[2:3], s[40:41]
	s_cbranch_execnz .LBB66_56
.LBB66_76:
	s_or_b64 exec, exec, s[2:3]
                                        ; implicit-def: $vgpr46_vgpr47
	s_and_saveexec_b64 s[2:3], s[36:37]
	s_cbranch_execz .LBB66_57
.LBB66_77:
	v_add_co_u32_e32 v46, vcc, 0x1000, v6
	v_addc_co_u32_e32 v47, vcc, 0, v7, vcc
	global_load_dwordx2 v[46:47], v[46:47], off offset:1536
	s_or_b64 exec, exec, s[2:3]
                                        ; implicit-def: $vgpr48_vgpr49
	s_and_saveexec_b64 s[2:3], s[30:31]
	s_cbranch_execnz .LBB66_58
.LBB66_78:
	s_or_b64 exec, exec, s[2:3]
                                        ; implicit-def: $vgpr50_vgpr51
	s_and_saveexec_b64 s[2:3], s[22:23]
	s_cbranch_execz .LBB66_59
.LBB66_79:
	v_add_co_u32_e32 v50, vcc, 0x1000, v6
	v_addc_co_u32_e32 v51, vcc, 0, v7, vcc
	global_load_dwordx2 v[50:51], v[50:51], off offset:2560
	s_or_b64 exec, exec, s[2:3]
                                        ; implicit-def: $vgpr52_vgpr53
	s_and_saveexec_b64 s[2:3], s[16:17]
	s_cbranch_execnz .LBB66_60
.LBB66_80:
	s_or_b64 exec, exec, s[2:3]
                                        ; implicit-def: $vgpr54_vgpr55
	s_and_saveexec_b64 s[2:3], s[10:11]
	s_cbranch_execz .LBB66_61
.LBB66_81:
	v_add_co_u32_e32 v54, vcc, 0x1000, v6
	v_addc_co_u32_e32 v55, vcc, 0, v7, vcc
	global_load_dwordx2 v[54:55], v[54:55], off offset:3584
	s_or_b64 exec, exec, s[2:3]
                                        ; implicit-def: $vgpr56_vgpr57
	s_and_saveexec_b64 s[2:3], s[48:49]
	s_cbranch_execnz .LBB66_62
.LBB66_82:
	s_or_b64 exec, exec, s[2:3]
                                        ; implicit-def: $vgpr58_vgpr59
	s_and_saveexec_b64 s[2:3], s[12:13]
	s_cbranch_execz .LBB66_63
.LBB66_83:
	v_add_co_u32_e32 v58, vcc, 0x2000, v6
	v_addc_co_u32_e32 v59, vcc, 0, v7, vcc
	global_load_dwordx2 v[58:59], v[58:59], off offset:512
	s_or_b64 exec, exec, s[2:3]
                                        ; implicit-def: $vgpr60_vgpr61
	s_and_saveexec_b64 s[2:3], s[18:19]
	s_cbranch_execnz .LBB66_64
.LBB66_84:
	s_or_b64 exec, exec, s[2:3]
                                        ; implicit-def: $vgpr62_vgpr63
	s_and_saveexec_b64 s[2:3], s[24:25]
	s_cbranch_execz .LBB66_86
.LBB66_85:
	v_add_co_u32_e32 v62, vcc, 0x2000, v6
	v_addc_co_u32_e32 v63, vcc, 0, v7, vcc
	global_load_dwordx2 v[62:63], v[62:63], off offset:1536
.LBB66_86:
	s_or_b64 exec, exec, s[2:3]
	v_mul_u32_u24_e32 v73, 21, v0
                                        ; implicit-def: $vgpr64_vgpr65
	s_and_saveexec_b64 s[2:3], s[26:27]
	s_cbranch_execz .LBB66_88
; %bb.87:
	v_add_co_u32_e32 v6, vcc, 0x2000, v6
	v_addc_co_u32_e32 v7, vcc, 0, v7, vcc
	global_load_dwordx2 v[64:65], v[6:7], off offset:2048
.LBB66_88:
	s_or_b64 exec, exec, s[2:3]
	v_lshl_add_u32 v69, v0, 2, v1
	s_waitcnt vmcnt(0)
	ds_write2st64_b64 v69, v[2:3], v[10:11] offset1:1
	ds_write2st64_b64 v69, v[14:15], v[18:19] offset0:2 offset1:3
	ds_write2st64_b64 v69, v[20:21], v[22:23] offset0:4 offset1:5
	;; [unrolled: 1-line block ×9, first 2 shown]
	ds_write_b64 v69, v[64:65] offset:10240
	v_pk_mov_b32 v[2:3], 0, 0
	v_cmp_gt_u32_e32 vcc, s64, v73
	s_mov_b64 s[10:11], 0
	s_mov_b64 s[12:13], 0
	s_mov_b32 s7, 0
	v_mov_b32_e32 v130, 0
	v_mov_b32_e32 v124, 0
	;; [unrolled: 1-line block ×5, first 2 shown]
	v_pk_mov_b32 v[10:11], v[2:3], v[2:3] op_sel:[0,1]
	v_pk_mov_b32 v[70:71], v[2:3], v[2:3] op_sel:[0,1]
	;; [unrolled: 1-line block ×9, first 2 shown]
	v_mov_b32_e32 v126, 0
	v_pk_mov_b32 v[38:39], v[2:3], v[2:3] op_sel:[0,1]
	v_pk_mov_b32 v[50:51], v[2:3], v[2:3] op_sel:[0,1]
	;; [unrolled: 1-line block ×5, first 2 shown]
	v_mov_b32_e32 v125, 0
	v_pk_mov_b32 v[34:35], v[2:3], v[2:3] op_sel:[0,1]
	v_pk_mov_b32 v[14:15], v[2:3], v[2:3] op_sel:[0,1]
	;; [unrolled: 1-line block ×5, first 2 shown]
	v_mov_b32_e32 v1, 0
	s_waitcnt lgkmcnt(0)
	; wave barrier
	s_waitcnt lgkmcnt(0)
                                        ; implicit-def: $sgpr8_sgpr9
                                        ; implicit-def: $vgpr84
                                        ; implicit-def: $vgpr83
                                        ; implicit-def: $vgpr85
                                        ; implicit-def: $vgpr86
	s_and_saveexec_b64 s[14:15], vcc
	s_cbranch_execz .LBB66_128
; %bb.89:
	s_movk_i32 s2, 0xa0
	v_mad_u32_u24 v2, v0, s2, v69
	ds_read_b64 v[2:3], v2
	s_waitcnt lgkmcnt(12)
	v_cmp_ne_u32_e32 vcc, v68, v36
	v_add_u32_e32 v6, 1, v73
	v_pk_mov_b32 v[10:11], 0, 0
	v_cndmask_b32_e64 v1, 0, 1, vcc
	v_cmp_gt_u32_e32 vcc, s64, v6
	s_mov_b64 s[2:3], 0
	s_mov_b64 s[20:21], 0
	v_mov_b32_e32 v130, 0
	v_mov_b32_e32 v124, 0
	;; [unrolled: 1-line block ×5, first 2 shown]
	v_pk_mov_b32 v[70:71], v[10:11], v[10:11] op_sel:[0,1]
	v_pk_mov_b32 v[78:79], v[10:11], v[10:11] op_sel:[0,1]
	;; [unrolled: 1-line block ×8, first 2 shown]
	v_mov_b32_e32 v126, 0
	v_pk_mov_b32 v[38:39], v[10:11], v[10:11] op_sel:[0,1]
	v_pk_mov_b32 v[50:51], v[10:11], v[10:11] op_sel:[0,1]
	;; [unrolled: 1-line block ×5, first 2 shown]
	v_mov_b32_e32 v125, 0
	v_pk_mov_b32 v[34:35], v[10:11], v[10:11] op_sel:[0,1]
	v_pk_mov_b32 v[14:15], v[10:11], v[10:11] op_sel:[0,1]
	;; [unrolled: 1-line block ×5, first 2 shown]
                                        ; implicit-def: $sgpr8_sgpr9
                                        ; implicit-def: $vgpr84
                                        ; implicit-def: $vgpr83
                                        ; implicit-def: $vgpr85
                                        ; implicit-def: $vgpr86
	s_and_saveexec_b64 s[16:17], vcc
	s_cbranch_execz .LBB66_127
; %bb.90:
	v_mul_u32_u24_e32 v6, 0xa0, v0
	v_add_u32_e32 v48, v69, v6
	ds_read2_b64 v[18:21], v48 offset0:1 offset1:2
	v_add_u32_e32 v6, 2, v73
	v_cmp_ne_u32_e64 s[10:11], v36, v37
	v_pk_mov_b32 v[10:11], 0, 0
	v_cmp_ne_u32_e32 vcc, v28, v29
	v_cmp_ne_u32_e64 s[2:3], v29, v32
	v_cmp_ne_u32_e64 s[8:9], v37, v28
	v_cndmask_b32_e64 v130, 0, 1, s[10:11]
	v_cmp_gt_u32_e64 s[10:11], s64, v6
	s_mov_b64 s[22:23], 0
	v_mov_b32_e32 v129, 0
	v_mov_b32_e32 v124, 0
	;; [unrolled: 1-line block ×4, first 2 shown]
	v_pk_mov_b32 v[70:71], v[10:11], v[10:11] op_sel:[0,1]
	v_pk_mov_b32 v[78:79], v[10:11], v[10:11] op_sel:[0,1]
	;; [unrolled: 1-line block ×8, first 2 shown]
	v_mov_b32_e32 v126, 0
	v_pk_mov_b32 v[38:39], v[10:11], v[10:11] op_sel:[0,1]
	v_pk_mov_b32 v[50:51], v[10:11], v[10:11] op_sel:[0,1]
	;; [unrolled: 1-line block ×5, first 2 shown]
	v_mov_b32_e32 v125, 0
	v_pk_mov_b32 v[34:35], v[10:11], v[10:11] op_sel:[0,1]
	v_pk_mov_b32 v[14:15], v[10:11], v[10:11] op_sel:[0,1]
	;; [unrolled: 1-line block ×4, first 2 shown]
                                        ; implicit-def: $sgpr24_sgpr25
                                        ; implicit-def: $vgpr84
                                        ; implicit-def: $vgpr83
                                        ; implicit-def: $vgpr85
                                        ; implicit-def: $vgpr86
	s_and_saveexec_b64 s[18:19], s[10:11]
	s_cbranch_execz .LBB66_126
; %bb.91:
	v_cndmask_b32_e64 v6, 0, 1, s[8:9]
	v_cndmask_b32_e64 v7, 0, 1, s[2:3]
	v_lshlrev_b16_e32 v6, 8, v6
	v_lshlrev_b16_e32 v7, 8, v7
	v_cndmask_b32_e64 v10, 0, 1, vcc
	v_or_b32_e32 v6, v130, v6
	v_or_b32_sdwa v7, v10, v7 dst_sel:WORD_1 dst_unused:UNUSED_PAD src0_sel:DWORD src1_sel:DWORD
	v_add_u32_e32 v10, 3, v73
	v_or_b32_sdwa v84, v6, v7 dst_sel:DWORD dst_unused:UNUSED_PAD src0_sel:WORD_0 src1_sel:DWORD
	v_cmp_gt_u32_e32 vcc, s64, v10
	v_pk_mov_b32 v[10:11], 0, 0
	v_and_b32_e32 v130, 0xffff, v84
	s_waitcnt lgkmcnt(0)
	v_mov_b32_e32 v6, v20
	v_mov_b32_e32 v7, v21
	s_mov_b64 s[2:3], 0
	v_mov_b32_e32 v129, 0
	v_mov_b32_e32 v124, 0
	;; [unrolled: 1-line block ×4, first 2 shown]
	v_pk_mov_b32 v[70:71], v[10:11], v[10:11] op_sel:[0,1]
	v_pk_mov_b32 v[78:79], v[10:11], v[10:11] op_sel:[0,1]
	;; [unrolled: 1-line block ×8, first 2 shown]
	v_mov_b32_e32 v126, 0
	v_pk_mov_b32 v[38:39], v[10:11], v[10:11] op_sel:[0,1]
	v_pk_mov_b32 v[50:51], v[10:11], v[10:11] op_sel:[0,1]
	;; [unrolled: 1-line block ×5, first 2 shown]
	v_mov_b32_e32 v125, 0
	v_pk_mov_b32 v[34:35], v[10:11], v[10:11] op_sel:[0,1]
	v_pk_mov_b32 v[14:15], v[10:11], v[10:11] op_sel:[0,1]
	;; [unrolled: 1-line block ×3, first 2 shown]
                                        ; implicit-def: $sgpr8_sgpr9
                                        ; implicit-def: $vgpr83
                                        ; implicit-def: $vgpr85
                                        ; implicit-def: $vgpr86
	s_and_saveexec_b64 s[20:21], vcc
	s_cbranch_execz .LBB66_125
; %bb.92:
	ds_read2_b64 v[26:29], v48 offset0:3 offset1:4
	v_add_u32_e32 v10, 4, v73
	v_cmp_gt_u32_e32 vcc, s64, v10
	v_pk_mov_b32 v[10:11], 0, 0
	v_and_b32_e32 v130, 0xffffff, v84
	s_mov_b64 s[8:9], 0
	v_mov_b32_e32 v129, 0
	v_mov_b32_e32 v124, 0
	;; [unrolled: 1-line block ×4, first 2 shown]
	v_pk_mov_b32 v[70:71], v[10:11], v[10:11] op_sel:[0,1]
	v_pk_mov_b32 v[78:79], v[10:11], v[10:11] op_sel:[0,1]
	;; [unrolled: 1-line block ×8, first 2 shown]
	v_mov_b32_e32 v126, 0
	v_pk_mov_b32 v[38:39], v[10:11], v[10:11] op_sel:[0,1]
	v_pk_mov_b32 v[50:51], v[10:11], v[10:11] op_sel:[0,1]
	;; [unrolled: 1-line block ×5, first 2 shown]
	v_mov_b32_e32 v125, 0
	v_pk_mov_b32 v[34:35], v[10:11], v[10:11] op_sel:[0,1]
	v_pk_mov_b32 v[14:15], v[10:11], v[10:11] op_sel:[0,1]
                                        ; implicit-def: $sgpr10_sgpr11
                                        ; implicit-def: $vgpr83
                                        ; implicit-def: $vgpr85
                                        ; implicit-def: $vgpr86
	s_and_saveexec_b64 s[22:23], vcc
	s_cbranch_execz .LBB66_124
; %bb.93:
	v_add_u32_e32 v10, 5, v73
	v_cmp_gt_u32_e32 vcc, s64, v10
	v_pk_mov_b32 v[10:11], 0, 0
	s_waitcnt lgkmcnt(0)
	v_mov_b32_e32 v14, v28
	v_mov_b32_e32 v15, v29
	;; [unrolled: 1-line block ×6, first 2 shown]
	v_pk_mov_b32 v[70:71], v[10:11], v[10:11] op_sel:[0,1]
	v_pk_mov_b32 v[78:79], v[10:11], v[10:11] op_sel:[0,1]
	v_pk_mov_b32 v[62:63], v[10:11], v[10:11] op_sel:[0,1]
	v_pk_mov_b32 v[74:75], v[10:11], v[10:11] op_sel:[0,1]
	v_pk_mov_b32 v[54:55], v[10:11], v[10:11] op_sel:[0,1]
	v_pk_mov_b32 v[66:67], v[10:11], v[10:11] op_sel:[0,1]
	v_pk_mov_b32 v[46:47], v[10:11], v[10:11] op_sel:[0,1]
	v_pk_mov_b32 v[58:59], v[10:11], v[10:11] op_sel:[0,1]
	v_mov_b32_e32 v126, 0
	v_pk_mov_b32 v[38:39], v[10:11], v[10:11] op_sel:[0,1]
	v_pk_mov_b32 v[50:51], v[10:11], v[10:11] op_sel:[0,1]
	v_pk_mov_b32 v[30:31], v[10:11], v[10:11] op_sel:[0,1]
	v_pk_mov_b32 v[42:43], v[10:11], v[10:11] op_sel:[0,1]
	v_pk_mov_b32 v[22:23], v[10:11], v[10:11] op_sel:[0,1]
	v_mov_b32_e32 v125, 0
	v_pk_mov_b32 v[34:35], v[10:11], v[10:11] op_sel:[0,1]
                                        ; implicit-def: $sgpr10_sgpr11
                                        ; implicit-def: $vgpr83
                                        ; implicit-def: $vgpr85
                                        ; implicit-def: $vgpr86
	s_and_saveexec_b64 s[24:25], vcc
	s_cbranch_execz .LBB66_123
; %bb.94:
	ds_read2_b64 v[34:37], v48 offset0:5 offset1:6
	v_add_u32_e32 v10, 6, v73
	v_cmp_ne_u32_e32 vcc, v32, v44
	v_cndmask_b32_e64 v125, 0, 1, vcc
	v_cmp_gt_u32_e32 vcc, s64, v10
	v_pk_mov_b32 v[10:11], 0, 0
	s_mov_b64 s[30:31], 0
	v_mov_b32_e32 v129, 0
	v_mov_b32_e32 v124, 0
	;; [unrolled: 1-line block ×4, first 2 shown]
	v_pk_mov_b32 v[70:71], v[10:11], v[10:11] op_sel:[0,1]
	v_pk_mov_b32 v[78:79], v[10:11], v[10:11] op_sel:[0,1]
	;; [unrolled: 1-line block ×8, first 2 shown]
	v_mov_b32_e32 v126, 0
	v_pk_mov_b32 v[38:39], v[10:11], v[10:11] op_sel:[0,1]
	v_pk_mov_b32 v[50:51], v[10:11], v[10:11] op_sel:[0,1]
	;; [unrolled: 1-line block ×5, first 2 shown]
                                        ; implicit-def: $sgpr8_sgpr9
                                        ; implicit-def: $vgpr83
                                        ; implicit-def: $vgpr85
                                        ; implicit-def: $vgpr86
	s_and_saveexec_b64 s[26:27], vcc
	s_cbranch_execz .LBB66_122
; %bb.95:
	v_add_u32_e32 v10, 7, v73
	v_cmp_ne_u32_e64 s[10:11], v44, v45
	v_cndmask_b32_e64 v129, 0, 1, s[10:11]
	v_cmp_gt_u32_e64 s[10:11], s64, v10
	v_pk_mov_b32 v[10:11], 0, 0
	s_waitcnt lgkmcnt(0)
	v_mov_b32_e32 v22, v36
	v_mov_b32_e32 v23, v37
	v_cmp_ne_u32_e32 vcc, v40, v41
	v_cmp_ne_u32_e64 s[2:3], v41, v33
	v_cmp_ne_u32_e64 s[8:9], v45, v40
	s_mov_b64 s[34:35], 0
	v_mov_b32_e32 v128, 0
	v_mov_b32_e32 v124, 0
	;; [unrolled: 1-line block ×3, first 2 shown]
	v_pk_mov_b32 v[70:71], v[10:11], v[10:11] op_sel:[0,1]
	v_pk_mov_b32 v[78:79], v[10:11], v[10:11] op_sel:[0,1]
	;; [unrolled: 1-line block ×8, first 2 shown]
	v_mov_b32_e32 v126, 0
	v_pk_mov_b32 v[38:39], v[10:11], v[10:11] op_sel:[0,1]
	v_pk_mov_b32 v[50:51], v[10:11], v[10:11] op_sel:[0,1]
	;; [unrolled: 1-line block ×4, first 2 shown]
                                        ; implicit-def: $sgpr36_sgpr37
                                        ; implicit-def: $vgpr83
                                        ; implicit-def: $vgpr85
                                        ; implicit-def: $vgpr86
	s_and_saveexec_b64 s[28:29], s[10:11]
	s_cbranch_execz .LBB66_121
; %bb.96:
	v_cndmask_b32_e64 v10, 0, 1, s[8:9]
	v_cndmask_b32_e64 v11, 0, 1, s[2:3]
	v_lshlrev_b16_e32 v10, 8, v10
	v_lshlrev_b16_e32 v11, 8, v11
	v_cndmask_b32_e64 v20, 0, 1, vcc
	ds_read2_b64 v[42:45], v48 offset0:7 offset1:8
	v_or_b32_e32 v10, v129, v10
	v_or_b32_sdwa v11, v20, v11 dst_sel:WORD_1 dst_unused:UNUSED_PAD src0_sel:DWORD src1_sel:DWORD
	v_or_b32_sdwa v83, v10, v11 dst_sel:DWORD dst_unused:UNUSED_PAD src0_sel:WORD_0 src1_sel:DWORD
	v_add_u32_e32 v10, 8, v73
	v_cmp_gt_u32_e32 vcc, s64, v10
	v_pk_mov_b32 v[10:11], 0, 0
	v_and_b32_e32 v129, 0xffff, v83
	s_mov_b64 s[2:3], 0
	v_mov_b32_e32 v128, 0
	v_mov_b32_e32 v124, 0
	;; [unrolled: 1-line block ×3, first 2 shown]
	v_pk_mov_b32 v[70:71], v[10:11], v[10:11] op_sel:[0,1]
	v_pk_mov_b32 v[78:79], v[10:11], v[10:11] op_sel:[0,1]
	;; [unrolled: 1-line block ×8, first 2 shown]
	v_mov_b32_e32 v126, 0
	v_pk_mov_b32 v[38:39], v[10:11], v[10:11] op_sel:[0,1]
	v_pk_mov_b32 v[50:51], v[10:11], v[10:11] op_sel:[0,1]
	;; [unrolled: 1-line block ×3, first 2 shown]
                                        ; implicit-def: $sgpr8_sgpr9
                                        ; implicit-def: $vgpr85
                                        ; implicit-def: $vgpr86
	s_and_saveexec_b64 s[30:31], vcc
	s_cbranch_execz .LBB66_120
; %bb.97:
	v_add_u32_e32 v10, 9, v73
	v_cmp_gt_u32_e32 vcc, s64, v10
	v_pk_mov_b32 v[10:11], 0, 0
	s_waitcnt lgkmcnt(0)
	v_mov_b32_e32 v30, v44
	v_mov_b32_e32 v31, v45
	v_and_b32_e32 v129, 0xffffff, v83
	s_mov_b64 s[8:9], 0
	v_mov_b32_e32 v128, 0
	v_mov_b32_e32 v124, 0
	;; [unrolled: 1-line block ×3, first 2 shown]
	v_pk_mov_b32 v[70:71], v[10:11], v[10:11] op_sel:[0,1]
	v_pk_mov_b32 v[78:79], v[10:11], v[10:11] op_sel:[0,1]
	;; [unrolled: 1-line block ×8, first 2 shown]
	v_mov_b32_e32 v126, 0
	v_pk_mov_b32 v[38:39], v[10:11], v[10:11] op_sel:[0,1]
	v_pk_mov_b32 v[50:51], v[10:11], v[10:11] op_sel:[0,1]
                                        ; implicit-def: $sgpr10_sgpr11
                                        ; implicit-def: $vgpr85
                                        ; implicit-def: $vgpr86
	s_and_saveexec_b64 s[34:35], vcc
	s_cbranch_execz .LBB66_119
; %bb.98:
	ds_read2_b64 v[50:53], v48 offset0:9 offset1:10
	v_add_u32_e32 v10, 10, v73
	v_cmp_gt_u32_e32 vcc, s64, v10
	v_pk_mov_b32 v[10:11], 0, 0
	v_mov_b32_e32 v128, 0
	v_mov_b32_e32 v124, 0
	;; [unrolled: 1-line block ×3, first 2 shown]
	v_pk_mov_b32 v[70:71], v[10:11], v[10:11] op_sel:[0,1]
	v_pk_mov_b32 v[78:79], v[10:11], v[10:11] op_sel:[0,1]
	;; [unrolled: 1-line block ×8, first 2 shown]
	v_mov_b32_e32 v126, 0
	v_pk_mov_b32 v[38:39], v[10:11], v[10:11] op_sel:[0,1]
                                        ; implicit-def: $sgpr10_sgpr11
                                        ; implicit-def: $vgpr85
                                        ; implicit-def: $vgpr86
	s_and_saveexec_b64 s[36:37], vcc
	s_cbranch_execz .LBB66_118
; %bb.99:
	v_add_u32_e32 v10, 11, v73
	v_cmp_ne_u32_e32 vcc, v33, v24
	v_cndmask_b32_e64 v126, 0, 1, vcc
	v_cmp_gt_u32_e32 vcc, s64, v10
	v_pk_mov_b32 v[10:11], 0, 0
	s_waitcnt lgkmcnt(0)
	v_mov_b32_e32 v38, v52
	v_mov_b32_e32 v39, v53
	s_mov_b64 s[42:43], 0
	v_mov_b32_e32 v128, 0
	v_mov_b32_e32 v124, 0
	;; [unrolled: 1-line block ×3, first 2 shown]
	v_pk_mov_b32 v[70:71], v[10:11], v[10:11] op_sel:[0,1]
	v_pk_mov_b32 v[78:79], v[10:11], v[10:11] op_sel:[0,1]
	;; [unrolled: 1-line block ×8, first 2 shown]
                                        ; implicit-def: $sgpr8_sgpr9
                                        ; implicit-def: $vgpr85
                                        ; implicit-def: $vgpr86
	s_and_saveexec_b64 s[38:39], vcc
	s_cbranch_execz .LBB66_117
; %bb.100:
	ds_read2_b64 v[58:61], v48 offset0:11 offset1:12
	v_add_u32_e32 v10, 12, v73
	v_cmp_ne_u32_e64 s[10:11], v24, v25
	v_cndmask_b32_e64 v128, 0, 1, s[10:11]
	v_cmp_gt_u32_e64 s[10:11], s64, v10
	v_pk_mov_b32 v[10:11], 0, 0
	v_cmp_ne_u32_e32 vcc, v16, v17
	v_cmp_ne_u32_e64 s[2:3], v17, v72
	v_cmp_ne_u32_e64 s[8:9], v25, v16
	s_mov_b64 s[44:45], 0
	v_mov_b32_e32 v127, 0
	v_mov_b32_e32 v124, 0
	v_pk_mov_b32 v[70:71], v[10:11], v[10:11] op_sel:[0,1]
	v_pk_mov_b32 v[78:79], v[10:11], v[10:11] op_sel:[0,1]
	;; [unrolled: 1-line block ×7, first 2 shown]
                                        ; implicit-def: $sgpr46_sgpr47
                                        ; implicit-def: $vgpr85
                                        ; implicit-def: $vgpr86
	s_and_saveexec_b64 s[40:41], s[10:11]
	s_cbranch_execz .LBB66_116
; %bb.101:
	v_cndmask_b32_e64 v10, 0, 1, s[8:9]
	v_cndmask_b32_e64 v11, 0, 1, s[2:3]
	v_lshlrev_b16_e32 v10, 8, v10
	v_lshlrev_b16_e32 v11, 8, v11
	v_cndmask_b32_e64 v16, 0, 1, vcc
	v_or_b32_e32 v10, v128, v10
	v_or_b32_sdwa v11, v16, v11 dst_sel:WORD_1 dst_unused:UNUSED_PAD src0_sel:DWORD src1_sel:DWORD
	v_or_b32_sdwa v85, v10, v11 dst_sel:DWORD dst_unused:UNUSED_PAD src0_sel:WORD_0 src1_sel:DWORD
	v_add_u32_e32 v10, 13, v73
	v_cmp_gt_u32_e32 vcc, s64, v10
	v_pk_mov_b32 v[10:11], 0, 0
	v_and_b32_e32 v128, 0xffff, v85
	s_waitcnt lgkmcnt(0)
	v_mov_b32_e32 v46, v60
	v_mov_b32_e32 v47, v61
	s_mov_b64 s[2:3], 0
	v_mov_b32_e32 v127, 0
	v_mov_b32_e32 v124, 0
	v_pk_mov_b32 v[70:71], v[10:11], v[10:11] op_sel:[0,1]
	v_pk_mov_b32 v[78:79], v[10:11], v[10:11] op_sel:[0,1]
	;; [unrolled: 1-line block ×6, first 2 shown]
                                        ; implicit-def: $sgpr8_sgpr9
                                        ; implicit-def: $vgpr86
	s_and_saveexec_b64 s[42:43], vcc
	s_cbranch_execz .LBB66_115
; %bb.102:
	ds_read2_b64 v[66:69], v48 offset0:13 offset1:14
	v_add_u32_e32 v10, 14, v73
	v_cmp_gt_u32_e32 vcc, s64, v10
	v_pk_mov_b32 v[10:11], 0, 0
	v_and_b32_e32 v128, 0xffffff, v85
	s_mov_b64 s[8:9], 0
	v_mov_b32_e32 v127, 0
	v_mov_b32_e32 v124, 0
	v_pk_mov_b32 v[70:71], v[10:11], v[10:11] op_sel:[0,1]
	v_pk_mov_b32 v[78:79], v[10:11], v[10:11] op_sel:[0,1]
	;; [unrolled: 1-line block ×5, first 2 shown]
                                        ; implicit-def: $sgpr10_sgpr11
                                        ; implicit-def: $vgpr86
	s_and_saveexec_b64 s[44:45], vcc
	s_cbranch_execz .LBB66_114
; %bb.103:
	v_add_u32_e32 v10, 15, v73
	v_cmp_gt_u32_e32 vcc, s64, v10
	v_pk_mov_b32 v[10:11], 0, 0
	s_waitcnt lgkmcnt(0)
	v_mov_b32_e32 v54, v68
	v_mov_b32_e32 v55, v69
	;; [unrolled: 1-line block ×4, first 2 shown]
	v_pk_mov_b32 v[70:71], v[10:11], v[10:11] op_sel:[0,1]
	v_pk_mov_b32 v[78:79], v[10:11], v[10:11] op_sel:[0,1]
	v_pk_mov_b32 v[62:63], v[10:11], v[10:11] op_sel:[0,1]
	v_pk_mov_b32 v[74:75], v[10:11], v[10:11] op_sel:[0,1]
                                        ; implicit-def: $sgpr10_sgpr11
                                        ; implicit-def: $vgpr86
	s_and_saveexec_b64 s[46:47], vcc
	s_cbranch_execz .LBB66_113
; %bb.104:
	ds_read2_b64 v[74:77], v48 offset0:15 offset1:16
	v_add_u32_e32 v10, 16, v73
	v_cmp_ne_u32_e32 vcc, v72, v12
	v_cndmask_b32_e64 v124, 0, 1, vcc
	v_cmp_gt_u32_e32 vcc, s64, v10
	v_pk_mov_b32 v[10:11], 0, 0
	s_mov_b64 s[58:59], 0
	v_mov_b32_e32 v127, 0
	v_pk_mov_b32 v[70:71], v[10:11], v[10:11] op_sel:[0,1]
	v_pk_mov_b32 v[78:79], v[10:11], v[10:11] op_sel:[0,1]
	;; [unrolled: 1-line block ×3, first 2 shown]
                                        ; implicit-def: $sgpr8_sgpr9
                                        ; implicit-def: $vgpr86
	s_and_saveexec_b64 s[48:49], vcc
	s_cbranch_execz .LBB66_112
; %bb.105:
	v_add_u32_e32 v10, 17, v73
	v_cmp_ne_u32_e64 s[10:11], v12, v13
	v_cndmask_b32_e64 v127, 0, 1, s[10:11]
	v_cmp_gt_u32_e64 s[10:11], s64, v10
	v_pk_mov_b32 v[10:11], 0, 0
	s_waitcnt lgkmcnt(0)
	v_mov_b32_e32 v62, v76
	v_mov_b32_e32 v63, v77
	v_cmp_ne_u32_e32 vcc, v8, v9
	v_cmp_ne_u32_e64 s[2:3], v9, v4
	v_cmp_ne_u32_e64 s[8:9], v13, v8
	s_mov_b64 s[60:61], 0
	v_pk_mov_b32 v[70:71], v[10:11], v[10:11] op_sel:[0,1]
	v_pk_mov_b32 v[78:79], v[10:11], v[10:11] op_sel:[0,1]
                                        ; implicit-def: $sgpr62_sgpr63
                                        ; implicit-def: $vgpr86
	s_and_saveexec_b64 s[54:55], s[10:11]
	s_cbranch_execz .LBB66_111
; %bb.106:
	v_cndmask_b32_e64 v8, 0, 1, s[8:9]
	v_cndmask_b32_e64 v9, 0, 1, s[2:3]
	ds_read2_b64 v[78:81], v48 offset0:17 offset1:18
	v_lshlrev_b16_e32 v8, 8, v8
	v_lshlrev_b16_e32 v9, 8, v9
	v_cndmask_b32_e64 v10, 0, 1, vcc
	v_or_b32_e32 v8, v127, v8
	v_or_b32_sdwa v9, v10, v9 dst_sel:WORD_1 dst_unused:UNUSED_PAD src0_sel:DWORD src1_sel:DWORD
	v_or_b32_sdwa v86, v8, v9 dst_sel:DWORD dst_unused:UNUSED_PAD src0_sel:WORD_0 src1_sel:DWORD
	v_add_u32_e32 v8, 18, v73
	v_pk_mov_b32 v[10:11], 0, 0
	v_and_b32_e32 v127, 0xffff, v86
	v_cmp_gt_u32_e32 vcc, s64, v8
	s_mov_b64 s[2:3], 0
	v_pk_mov_b32 v[70:71], v[10:11], v[10:11] op_sel:[0,1]
                                        ; implicit-def: $sgpr10_sgpr11
	s_and_saveexec_b64 s[8:9], vcc
	s_cbranch_execz .LBB66_110
; %bb.107:
	v_add_u32_e32 v8, 19, v73
	s_waitcnt lgkmcnt(0)
	v_mov_b32_e32 v70, v80
	v_mov_b32_e32 v71, v81
	v_cmp_gt_u32_e32 vcc, s64, v8
	v_and_b32_e32 v127, 0xffffff, v86
	v_pk_mov_b32 v[10:11], 0, 0
                                        ; implicit-def: $sgpr10_sgpr11
	s_and_saveexec_b64 s[58:59], vcc
	s_xor_b64 s[58:59], exec, s[58:59]
	s_cbranch_execz .LBB66_109
; %bb.108:
	ds_read2_b64 v[10:13], v48 offset0:19 offset1:20
	v_add_u32_e32 v8, 20, v73
	v_cmp_ne_u32_e32 vcc, v4, v5
	v_cmp_gt_u32_e64 s[2:3], s64, v8
	s_and_b64 s[10:11], vcc, exec
	s_and_b64 s[2:3], s[2:3], exec
	s_waitcnt lgkmcnt(0)
	v_pk_mov_b32 v[72:73], v[10:11], v[10:11] op_sel:[0,1]
	v_mov_b32_e32 v127, v86
.LBB66_109:
	s_or_b64 exec, exec, s[58:59]
	s_and_b64 s[10:11], s[10:11], exec
	s_and_b64 s[60:61], s[2:3], exec
.LBB66_110:
	s_or_b64 exec, exec, s[8:9]
	s_and_b64 s[62:63], s[10:11], exec
	s_and_b64 s[58:59], s[60:61], exec
	s_waitcnt lgkmcnt(0)
	v_pk_mov_b32 v[64:65], v[78:79], v[78:79] op_sel:[0,1]
	v_pk_mov_b32 v[56:57], v[74:75], v[74:75] op_sel:[0,1]
	;; [unrolled: 1-line block ×9, first 2 shown]
.LBB66_111:
	s_or_b64 exec, exec, s[54:55]
	s_and_b64 s[8:9], s[62:63], exec
	s_and_b64 s[2:3], s[58:59], exec
.LBB66_112:
	s_or_b64 exec, exec, s[48:49]
	s_and_b64 s[10:11], s[8:9], exec
	s_and_b64 s[8:9], s[2:3], exec
.LBB66_113:
	s_or_b64 exec, exec, s[46:47]
	s_and_b64 s[10:11], s[10:11], exec
	s_and_b64 s[2:3], s[8:9], exec
	v_mov_b32_e32 v128, v85
.LBB66_114:
	s_or_b64 exec, exec, s[44:45]
	s_and_b64 s[8:9], s[10:11], exec
	s_and_b64 s[44:45], s[2:3], exec
.LBB66_115:
	s_or_b64 exec, exec, s[42:43]
	s_and_b64 s[46:47], s[8:9], exec
	s_and_b64 s[42:43], s[44:45], exec
.LBB66_116:
	s_or_b64 exec, exec, s[40:41]
	s_and_b64 s[8:9], s[46:47], exec
	s_and_b64 s[2:3], s[42:43], exec
.LBB66_117:
	s_or_b64 exec, exec, s[38:39]
	s_and_b64 s[10:11], s[8:9], exec
	s_and_b64 s[8:9], s[2:3], exec
.LBB66_118:
	s_or_b64 exec, exec, s[36:37]
	s_and_b64 s[10:11], s[10:11], exec
	s_and_b64 s[2:3], s[8:9], exec
	v_mov_b32_e32 v129, v83
.LBB66_119:
	s_or_b64 exec, exec, s[34:35]
	s_and_b64 s[8:9], s[10:11], exec
	s_and_b64 s[34:35], s[2:3], exec
.LBB66_120:
	s_or_b64 exec, exec, s[30:31]
	s_and_b64 s[36:37], s[8:9], exec
	s_and_b64 s[30:31], s[34:35], exec
.LBB66_121:
	s_or_b64 exec, exec, s[28:29]
	s_and_b64 s[8:9], s[36:37], exec
	s_and_b64 s[2:3], s[30:31], exec
.LBB66_122:
	s_or_b64 exec, exec, s[26:27]
	s_and_b64 s[10:11], s[8:9], exec
	s_and_b64 s[8:9], s[2:3], exec
.LBB66_123:
	s_or_b64 exec, exec, s[24:25]
	s_and_b64 s[10:11], s[10:11], exec
	s_and_b64 s[2:3], s[8:9], exec
	v_mov_b32_e32 v130, v84
.LBB66_124:
	s_or_b64 exec, exec, s[22:23]
	s_and_b64 s[8:9], s[10:11], exec
	s_and_b64 s[22:23], s[2:3], exec
.LBB66_125:
	s_or_b64 exec, exec, s[20:21]
	s_and_b64 s[24:25], s[8:9], exec
	s_and_b64 s[20:21], s[22:23], exec
.LBB66_126:
	s_or_b64 exec, exec, s[18:19]
	s_and_b64 s[8:9], s[24:25], exec
	s_and_b64 s[2:3], s[20:21], exec
.LBB66_127:
	s_or_b64 exec, exec, s[16:17]
	s_and_b64 s[8:9], s[8:9], exec
	s_and_b64 s[10:11], s[2:3], exec
.LBB66_128:
	s_or_b64 exec, exec, s[14:15]
	s_mov_b64 s[14:15], 0
	s_and_b64 vcc, exec, s[12:13]
	v_cmp_ne_u32_e64 s[2:3], 0, v0
	s_cbranch_vccz .LBB66_132
.LBB66_129:
	v_mov_b32_e32 v1, s57
	s_waitcnt lgkmcnt(0)
	v_add_co_u32_e32 v2, vcc, s56, v82
	v_addc_co_u32_e32 v1, vcc, 0, v1, vcc
	s_movk_i32 s7, 0x1000
	v_add_co_u32_e32 v2, vcc, s7, v2
	v_addc_co_u32_e32 v3, vcc, 0, v1, vcc
	global_load_dword v4, v82, s[56:57]
	global_load_dword v5, v82, s[56:57] offset:256
	global_load_dword v6, v82, s[56:57] offset:512
	global_load_dword v7, v82, s[56:57] offset:768
	global_load_dword v8, v82, s[56:57] offset:1024
	global_load_dword v9, v82, s[56:57] offset:1280
	global_load_dword v10, v82, s[56:57] offset:1536
	global_load_dword v11, v82, s[56:57] offset:1792
	global_load_dword v12, v82, s[56:57] offset:2048
	global_load_dword v13, v82, s[56:57] offset:2304
	global_load_dword v14, v82, s[56:57] offset:2560
	global_load_dword v15, v82, s[56:57] offset:2816
	global_load_dword v16, v82, s[56:57] offset:3072
	global_load_dword v17, v82, s[56:57] offset:3328
	global_load_dword v18, v82, s[56:57] offset:3584
	global_load_dword v19, v82, s[56:57] offset:3840
	global_load_dword v1, v[2:3], off
	global_load_dword v20, v[2:3], off offset:256
	global_load_dword v21, v[2:3], off offset:512
	global_load_dword v23, v[2:3], off offset:768
	global_load_dword v24, v[2:3], off offset:1024
	s_movk_i32 s9, 0x50
	s_sub_u32 s8, 0, s6
	v_mad_u32_u24 v25, v0, s9, v82
	s_subb_u32 s9, 0, 0
	s_cmp_eq_u64 s[8:9], s[52:53]
	s_cselect_b32 s8, 0, -4
	s_cselect_b32 s9, 0, -1
	s_add_u32 s8, s56, s8
	s_addc_u32 s9, s57, s9
	s_movk_i32 s10, 0xffb0
	v_mad_i32_i24 v22, v0, s10, v25
	s_waitcnt vmcnt(19)
	ds_write2st64_b32 v82, v4, v5 offset1:1
	s_waitcnt vmcnt(17)
	ds_write2st64_b32 v82, v6, v7 offset0:2 offset1:3
	s_waitcnt vmcnt(15)
	ds_write2st64_b32 v82, v8, v9 offset0:4 offset1:5
	;; [unrolled: 2-line block ×9, first 2 shown]
	s_waitcnt vmcnt(0)
	ds_write_b32 v82, v24 offset:5120
	s_waitcnt lgkmcnt(0)
	; wave barrier
	s_waitcnt lgkmcnt(0)
	s_load_dword s8, s[8:9], 0x0
	ds_read2_b32 v[2:3], v25 offset0:4 offset1:9
	ds_read2_b32 v[20:21], v25 offset0:19 offset1:20
	;; [unrolled: 1-line block ×4, first 2 shown]
	ds_read_b32 v23, v25 offset:56
	ds_read2_b32 v[14:15], v25 offset0:12 offset1:13
	ds_read2_b32 v[12:13], v25 offset0:10 offset1:11
	;; [unrolled: 1-line block ×5, first 2 shown]
	ds_read2_b32 v[10:11], v25 offset1:1
	s_waitcnt lgkmcnt(0)
	ds_write_b32 v22, v21 offset:5376
	s_waitcnt lgkmcnt(0)
	v_mov_b32_e32 v1, s8
	; wave barrier
	s_and_saveexec_b64 s[8:9], s[2:3]
	s_cbranch_execz .LBB66_131
; %bb.130:
	ds_read_b32 v1, v22 offset:5372
.LBB66_131:
	s_or_b64 exec, exec, s[8:9]
	v_lshlrev_b32_e32 v40, 3, v0
	v_mov_b32_e32 v24, s51
	v_add_co_u32_e32 v42, vcc, s50, v40
	v_addc_co_u32_e32 v43, vcc, 0, v24, vcc
	s_waitcnt lgkmcnt(0)
	; wave barrier
	s_waitcnt lgkmcnt(0)
	global_load_dwordx2 v[24:25], v40, s[50:51]
	global_load_dwordx2 v[26:27], v40, s[50:51] offset:512
	global_load_dwordx2 v[28:29], v40, s[50:51] offset:1024
	;; [unrolled: 1-line block ×7, first 2 shown]
	v_add_co_u32_e32 v40, vcc, s7, v42
	v_addc_co_u32_e32 v41, vcc, 0, v43, vcc
	s_movk_i32 s2, 0x2000
	v_add_co_u32_e32 v42, vcc, s2, v42
	v_addc_co_u32_e32 v43, vcc, 0, v43, vcc
	global_load_dwordx2 v[44:45], v[40:41], off offset:512
	global_load_dwordx2 v[46:47], v[40:41], off offset:1024
	;; [unrolled: 1-line block ×6, first 2 shown]
	global_load_dwordx2 v[56:57], v[42:43], off offset:-4096
	global_load_dwordx2 v[58:59], v[40:41], off offset:3584
	global_load_dwordx2 v[60:61], v[42:43], off
	global_load_dwordx2 v[62:63], v[42:43], off offset:512
	global_load_dwordx2 v[64:65], v[42:43], off offset:1024
	;; [unrolled: 1-line block ×4, first 2 shown]
	v_cmp_ne_u32_e32 vcc, v17, v18
	v_cmp_ne_u32_e64 s[8:9], v20, v21
	v_cndmask_b32_e64 v21, 0, 1, vcc
	v_cmp_ne_u32_e32 vcc, v16, v17
	v_cndmask_b32_e64 v17, 0, 1, vcc
	v_cmp_ne_u32_e32 vcc, v19, v20
	;; [unrolled: 2-line block ×6, first 2 shown]
	v_lshlrev_b16_e32 v16, 8, v16
	v_cndmask_b32_e64 v13, 0, 1, vcc
	v_cmp_ne_u32_e32 vcc, v15, v23
	v_or_b32_e32 v13, v13, v16
	v_cndmask_b32_e64 v16, 0, 1, vcc
	v_cmp_ne_u32_e32 vcc, v14, v15
	v_cndmask_b32_e64 v14, 0, 1, vcc
	v_cmp_ne_u32_e32 vcc, v3, v12
	;; [unrolled: 2-line block ×6, first 2 shown]
	v_lshlrev_b16_e32 v12, 8, v12
	v_lshlrev_b16_e32 v3, 8, v3
	v_cndmask_b32_e64 v8, 0, 1, vcc
	v_cmp_ne_u32_e32 vcc, v2, v6
	v_or_b32_e32 v7, v7, v12
	v_or_b32_sdwa v3, v8, v3 dst_sel:WORD_1 dst_unused:UNUSED_PAD src0_sel:DWORD src1_sel:DWORD
	v_cndmask_b32_e64 v125, 0, 1, vcc
	v_cmp_ne_u32_e32 vcc, v11, v4
	v_or_b32_sdwa v83, v7, v3 dst_sel:DWORD dst_unused:UNUSED_PAD src0_sel:WORD_0 src1_sel:DWORD
	v_cndmask_b32_e64 v3, 0, 1, vcc
	v_cmp_ne_u32_e32 vcc, v10, v11
	v_cndmask_b32_e64 v6, 0, 1, vcc
	v_cmp_ne_u32_e32 vcc, v5, v2
	v_lshlrev_b16_e32 v21, 8, v21
	v_lshlrev_b16_e32 v20, 8, v20
	;; [unrolled: 1-line block ×3, first 2 shown]
	v_cndmask_b32_e64 v2, 0, 1, vcc
	v_cmp_ne_u32_e32 vcc, v4, v5
	v_or_b32_e32 v17, v17, v21
	v_or_b32_sdwa v18, v18, v20 dst_sel:WORD_1 dst_unused:UNUSED_PAD src0_sel:DWORD src1_sel:DWORD
	v_or_b32_e32 v11, v6, v3
	v_lshlrev_b16_e32 v2, 8, v2
	v_cndmask_b32_e64 v3, 0, 1, vcc
	v_or_b32_sdwa v86, v17, v18 dst_sel:DWORD dst_unused:UNUSED_PAD src0_sel:WORD_0 src1_sel:DWORD
	v_lshlrev_b16_e32 v16, 8, v16
	v_or_b32_sdwa v18, v3, v2 dst_sel:WORD_1 dst_unused:UNUSED_PAD src0_sel:DWORD src1_sel:DWORD
	v_lshl_add_u32 v2, v0, 2, v22
	s_movk_i32 s2, 0xa0
	v_or_b32_sdwa v14, v14, v16 dst_sel:WORD_1 dst_unused:UNUSED_PAD src0_sel:DWORD src1_sel:DWORD
	v_mad_u32_u24 v12, v0, s2, v2
	v_or_b32_sdwa v85, v13, v14 dst_sel:DWORD dst_unused:UNUSED_PAD src0_sel:WORD_0 src1_sel:DWORD
	v_cmp_ne_u32_e32 vcc, v1, v10
	v_or_b32_sdwa v84, v11, v18 dst_sel:DWORD dst_unused:UNUSED_PAD src0_sel:WORD_0 src1_sel:DWORD
	v_cndmask_b32_e64 v1, 0, 1, vcc
	s_mov_b64 s[10:11], -1
                                        ; implicit-def: $vgpr130
                                        ; implicit-def: $vgpr129
                                        ; implicit-def: $vgpr128
                                        ; implicit-def: $vgpr127
                                        ; implicit-def: $sgpr7
                                        ; implicit-def: $sgpr14_sgpr15
                                        ; implicit-def: $vgpr78_vgpr79
                                        ; implicit-def: $vgpr74_vgpr75
                                        ; implicit-def: $vgpr42_vgpr43
                                        ; implicit-def: $vgpr18_vgpr19
	s_waitcnt vmcnt(19)
	ds_write2st64_b64 v2, v[24:25], v[26:27] offset1:1
	s_waitcnt vmcnt(17)
	ds_write2st64_b64 v2, v[28:29], v[30:31] offset0:2 offset1:3
	s_waitcnt vmcnt(15)
	ds_write2st64_b64 v2, v[32:33], v[34:35] offset0:4 offset1:5
	;; [unrolled: 2-line block ×4, first 2 shown]
	ds_write2st64_b64 v2, v[46:47], v[48:49] offset0:10 offset1:11
	ds_write2st64_b64 v2, v[50:51], v[52:53] offset0:12 offset1:13
	s_waitcnt vmcnt(5)
	ds_write2st64_b64 v2, v[54:55], v[58:59] offset0:14 offset1:15
	s_waitcnt vmcnt(3)
	;; [unrolled: 2-line block ×4, first 2 shown]
	ds_write_b64 v2, v[68:69] offset:10240
	s_waitcnt lgkmcnt(0)
	; wave barrier
	s_waitcnt lgkmcnt(0)
	ds_read2_b64 v[2:5], v12 offset1:1
	ds_read2_b64 v[6:9], v12 offset0:2 offset1:3
	ds_read2_b64 v[14:17], v12 offset0:4 offset1:5
	;; [unrolled: 1-line block ×9, first 2 shown]
	ds_read_b64 v[12:13], v12 offset:160
                                        ; implicit-def: $vgpr66_vgpr67
                                        ; implicit-def: $vgpr58_vgpr59
                                        ; implicit-def: $vgpr50_vgpr51
                                        ; implicit-def: $vgpr34_vgpr35
                                        ; implicit-def: $vgpr26_vgpr27
.LBB66_132:
	s_waitcnt lgkmcnt(0)
	v_pk_mov_b32 v[20:21], s[14:15], s[14:15] op_sel:[0,1]
	v_mov_b32_e32 v28, s7
	s_and_saveexec_b64 s[2:3], s[10:11]
	s_cbranch_execz .LBB66_134
; %bb.133:
	v_cndmask_b32_e64 v28, 0, 1, s[8:9]
	v_pk_mov_b32 v[18:19], v[4:5], v[4:5] op_sel:[0,1]
	v_pk_mov_b32 v[26:27], v[8:9], v[8:9] op_sel:[0,1]
	;; [unrolled: 1-line block ×11, first 2 shown]
	v_mov_b32_e32 v127, v86
	v_mov_b32_e32 v128, v85
	;; [unrolled: 1-line block ×4, first 2 shown]
.LBB66_134:
	s_or_b64 exec, exec, s[2:3]
	v_and_b32_e32 v131, 1, v125
	v_and_b32_e32 v40, 1, v126
	;; [unrolled: 1-line block ×4, first 2 shown]
	s_cmp_lg_u32 s6, 0
	v_lshrrev_b32_e32 v132, 8, v130
	v_cmp_eq_u32_e32 vcc, 1, v131
	v_lshrrev_b32_e32 v41, 8, v129
	v_cmp_eq_u32_e64 s[48:49], 1, v40
	v_lshrrev_b32_e32 v37, 8, v128
	v_cmp_eq_u32_e64 s[50:51], 1, v33
	;; [unrolled: 2-line block ×3, first 2 shown]
	v_mbcnt_lo_u32_b32 v29, -1, 0
	s_waitcnt lgkmcnt(0)
	; wave barrier
	s_cbranch_scc0 .LBB66_195
; %bb.135:
	v_and_b32_e32 v4, 1, v1
	v_cmp_eq_u32_e64 s[36:37], 1, v4
	v_mov_b32_e32 v4, 0
	v_cmp_eq_u16_sdwa s[2:3], v130, v4 src0_sel:BYTE_0 src1_sel:DWORD
	v_cndmask_b32_e64 v8, 0, v2, s[2:3]
	v_cndmask_b32_e64 v5, 0, v3, s[2:3]
	v_add_co_u32_e64 v8, s[8:9], v8, v18
	v_cmp_eq_u16_sdwa s[66:67], v132, v4 src0_sel:BYTE_0 src1_sel:DWORD
	v_addc_co_u32_e64 v5, s[8:9], v5, v19, s[8:9]
	v_and_b32_e32 v9, 1, v130
	v_cndmask_b32_e64 v8, 0, v8, s[66:67]
	s_movk_i32 s7, 0xff
	v_cmp_eq_u32_e64 s[52:53], 1, v9
	v_cndmask_b32_e64 v5, 0, v5, s[66:67]
	v_add_co_u32_e64 v8, s[8:9], v8, v6
	v_and_b32_e32 v9, 0x100, v130
	v_addc_co_u32_e64 v5, s[8:9], v5, v7, s[8:9]
	v_cmp_ne_u32_e64 s[56:57], 0, v9
	v_and_b32_sdwa v9, v130, s7 dst_sel:DWORD dst_unused:UNUSED_PAD src0_sel:WORD_1 src1_sel:DWORD
	v_cmp_eq_u16_e64 s[8:9], 0, v9
	v_cndmask_b32_e64 v8, 0, v8, s[8:9]
	v_cndmask_b32_e64 v5, 0, v5, s[8:9]
	v_add_co_u32_e64 v8, s[10:11], v8, v26
	v_addc_co_u32_e64 v5, s[10:11], v5, v27, s[10:11]
	v_cmp_eq_u16_sdwa s[10:11], v130, v4 src0_sel:BYTE_3 src1_sel:DWORD
	v_cndmask_b32_e64 v8, 0, v8, s[10:11]
	v_cndmask_b32_e64 v5, 0, v5, s[10:11]
	v_add_co_u32_e64 v8, s[12:13], v8, v14
	v_cmp_eq_u16_sdwa s[14:15], v125, v4 src0_sel:BYTE_0 src1_sel:DWORD
	v_addc_co_u32_e64 v5, s[12:13], v5, v15, s[12:13]
	v_cndmask_b32_e64 v8, 0, v8, s[14:15]
	v_cndmask_b32_e64 v5, 0, v5, s[14:15]
	v_add_co_u32_e64 v8, s[12:13], v8, v34
	v_addc_co_u32_e64 v5, s[12:13], v5, v35, s[12:13]
	v_cmp_eq_u16_sdwa s[12:13], v129, v4 src0_sel:BYTE_0 src1_sel:DWORD
	v_cndmask_b32_e64 v8, 0, v8, s[12:13]
	v_cndmask_b32_e64 v5, 0, v5, s[12:13]
	v_add_co_u32_e64 v8, s[16:17], v8, v22
	v_and_b32_e32 v9, 0x10000, v130
	v_addc_co_u32_e64 v5, s[16:17], v5, v23, s[16:17]
	v_cmp_ne_u32_e64 s[58:59], 0, v9
	v_and_b32_e32 v9, 0x1000000, v130
	v_cmp_eq_u16_sdwa s[16:17], v41, v4 src0_sel:BYTE_0 src1_sel:DWORD
	v_cmp_ne_u32_e64 s[60:61], 0, v9
	v_and_b32_e32 v9, 1, v129
	v_cndmask_b32_e64 v8, 0, v8, s[16:17]
	v_cmp_eq_u32_e64 s[62:63], 1, v9
	v_cndmask_b32_e64 v5, 0, v5, s[16:17]
	v_add_co_u32_e64 v8, s[18:19], v8, v42
	v_and_b32_e32 v9, 0x100, v129
	v_addc_co_u32_e64 v5, s[18:19], v5, v43, s[18:19]
	v_cmp_ne_u32_e64 s[64:65], 0, v9
	v_and_b32_sdwa v9, v129, s7 dst_sel:DWORD dst_unused:UNUSED_PAD src0_sel:WORD_1 src1_sel:DWORD
	v_cmp_eq_u16_e64 s[18:19], 0, v9
	v_cndmask_b32_e64 v8, 0, v8, s[18:19]
	v_cndmask_b32_e64 v5, 0, v5, s[18:19]
	v_add_co_u32_e64 v8, s[20:21], v8, v30
	v_addc_co_u32_e64 v5, s[20:21], v5, v31, s[20:21]
	v_cmp_eq_u16_sdwa s[20:21], v129, v4 src0_sel:BYTE_3 src1_sel:DWORD
	v_cndmask_b32_e64 v8, 0, v8, s[20:21]
	v_cndmask_b32_e64 v5, 0, v5, s[20:21]
	v_add_co_u32_e64 v8, s[22:23], v8, v50
	v_cmp_eq_u16_sdwa s[24:25], v126, v4 src0_sel:BYTE_0 src1_sel:DWORD
	v_addc_co_u32_e64 v5, s[22:23], v5, v51, s[22:23]
	v_cndmask_b32_e64 v8, 0, v8, s[24:25]
	v_cndmask_b32_e64 v5, 0, v5, s[24:25]
	v_add_co_u32_e64 v8, s[22:23], v8, v38
	v_addc_co_u32_e64 v5, s[22:23], v5, v39, s[22:23]
	v_cmp_eq_u16_sdwa s[22:23], v128, v4 src0_sel:BYTE_0 src1_sel:DWORD
	v_cndmask_b32_e64 v8, 0, v8, s[22:23]
	v_cndmask_b32_e64 v5, 0, v5, s[22:23]
	v_add_co_u32_e64 v8, s[26:27], v8, v58
	v_and_b32_e32 v9, 0x10000, v129
	v_addc_co_u32_e64 v5, s[26:27], v5, v59, s[26:27]
	v_cmp_ne_u32_e64 s[68:69], 0, v9
	v_and_b32_e32 v9, 0x1000000, v129
	v_cmp_eq_u16_sdwa s[26:27], v37, v4 src0_sel:BYTE_0 src1_sel:DWORD
	v_cmp_ne_u32_e64 s[70:71], 0, v9
	v_and_b32_e32 v9, 1, v128
	v_cndmask_b32_e64 v8, 0, v8, s[26:27]
	;; [unrolled: 34-line block ×3, first 2 shown]
	v_cmp_eq_u32_e64 s[80:81], 1, v9
	v_cndmask_b32_e64 v5, 0, v5, s[40:41]
	v_add_co_u32_e64 v8, s[42:43], v8, v78
	v_and_b32_e32 v9, 0x100, v127
	v_addc_co_u32_e64 v5, s[42:43], v5, v79, s[42:43]
	v_cmp_ne_u32_e64 s[82:83], 0, v9
	v_and_b32_sdwa v9, v127, s7 dst_sel:DWORD dst_unused:UNUSED_PAD src0_sel:WORD_1 src1_sel:DWORD
	v_cmp_eq_u16_e64 s[42:43], 0, v9
	v_and_b32_e32 v9, 0x10000, v127
	v_cmp_ne_u32_e64 s[84:85], 0, v9
	v_and_b32_e32 v9, 0x1000000, v127
	v_cmp_ne_u32_e64 s[86:87], 0, v9
	s_or_b64 s[54:55], s[54:55], s[86:87]
	s_or_b64 s[54:55], s[54:55], s[84:85]
	;; [unrolled: 1-line block ×10, first 2 shown]
	v_cndmask_b32_e64 v8, 0, v8, s[42:43]
	s_or_b64 s[48:49], s[48:49], s[70:71]
	v_cndmask_b32_e64 v5, 0, v5, s[42:43]
	v_add_co_u32_e64 v8, s[44:45], v8, v70
	s_or_b64 s[48:49], s[48:49], s[68:69]
	v_addc_co_u32_e64 v5, s[44:45], v5, v71, s[44:45]
	s_or_b64 s[48:49], s[48:49], s[64:65]
	v_cmp_eq_u16_sdwa s[44:45], v127, v4 src0_sel:BYTE_3 src1_sel:DWORD
	s_or_b64 s[48:49], s[48:49], s[62:63]
	v_cndmask_b32_e64 v8, 0, v8, s[44:45]
	s_or_b64 s[48:49], s[48:49], vcc
	v_cndmask_b32_e64 v5, 0, v5, s[44:45]
	v_add_co_u32_e64 v8, s[46:47], v8, v10
	s_or_b64 s[48:49], s[48:49], s[60:61]
	v_addc_co_u32_e64 v5, s[46:47], v5, v11, s[46:47]
	s_or_b64 s[48:49], s[48:49], s[58:59]
	v_cmp_eq_u16_sdwa s[46:47], v28, v4 src0_sel:BYTE_0 src1_sel:DWORD
	s_or_b64 s[48:49], s[48:49], s[56:57]
	v_cndmask_b32_e64 v4, 0, v8, s[46:47]
	s_or_b64 s[48:49], s[48:49], s[52:53]
	v_cndmask_b32_e64 v5, 0, v5, s[46:47]
	v_add_co_u32_e64 v4, s[88:89], v4, v20
	s_or_b64 s[50:51], s[48:49], s[36:37]
	v_mbcnt_hi_u32_b32 v9, -1, v29
	v_addc_co_u32_e64 v5, s[88:89], v5, v21, s[88:89]
	v_and_b32_e32 v13, 15, v9
	v_cndmask_b32_e64 v12, 0, 1, s[50:51]
	v_cndmask_b32_e64 v8, 0, 1, s[50:51]
	v_mov_b32_dpp v16, v4 row_shr:1 row_mask:0xf bank_mask:0xf
	v_mov_b32_dpp v17, v5 row_shr:1 row_mask:0xf bank_mask:0xf
	;; [unrolled: 1-line block ×3, first 2 shown]
	v_cmp_ne_u32_e32 vcc, 0, v13
	s_and_saveexec_b64 s[48:49], vcc
; %bb.136:
	v_and_b32_e32 v12, 1, v24
	v_cndmask_b32_e64 v16, v16, 0, s[50:51]
	v_or_b32_e32 v8, v12, v8
	v_cndmask_b32_e64 v12, v17, 0, s[50:51]
	v_add_co_u32_e32 v4, vcc, v16, v4
	v_addc_co_u32_e32 v5, vcc, v12, v5, vcc
	v_and_b32_e32 v12, 0xffff, v8
; %bb.137:
	s_or_b64 exec, exec, s[48:49]
	v_mov_b32_dpp v16, v4 row_shr:2 row_mask:0xf bank_mask:0xf
	v_mov_b32_dpp v17, v5 row_shr:2 row_mask:0xf bank_mask:0xf
	;; [unrolled: 1-line block ×3, first 2 shown]
	v_cmp_lt_u32_e32 vcc, 1, v13
	s_and_saveexec_b64 s[50:51], vcc
	s_cbranch_execz .LBB66_139
; %bb.138:
	v_and_b32_e32 v12, 1, v8
	v_cmp_eq_u32_e32 vcc, 1, v12
	v_and_b32_e32 v12, 1, v24
	v_cmp_eq_u32_e64 s[48:49], 1, v12
	s_or_b64 s[48:49], vcc, s[48:49]
	v_cmp_eq_u16_e32 vcc, 0, v8
	v_cndmask_b32_e32 v12, 0, v16, vcc
	v_cndmask_b32_e64 v24, 0, 1, s[48:49]
	v_cndmask_b32_e32 v8, 0, v17, vcc
	v_add_co_u32_e32 v4, vcc, v12, v4
	v_addc_co_u32_e32 v5, vcc, v8, v5, vcc
	v_cndmask_b32_e64 v12, 0, 1, s[48:49]
	v_mov_b32_e32 v8, v24
.LBB66_139:
	s_or_b64 exec, exec, s[50:51]
	v_mov_b32_dpp v16, v4 row_shr:4 row_mask:0xf bank_mask:0xf
	v_mov_b32_dpp v17, v5 row_shr:4 row_mask:0xf bank_mask:0xf
	v_mov_b32_dpp v24, v12 row_shr:4 row_mask:0xf bank_mask:0xf
	v_cmp_lt_u32_e32 vcc, 3, v13
	s_and_saveexec_b64 s[50:51], vcc
	s_load_dwordx8 s[68:75], s[4:5], 0x30
	s_cbranch_execz .LBB66_141
; %bb.140:
	v_and_b32_e32 v12, 1, v8
	v_cmp_eq_u32_e32 vcc, 1, v12
	v_and_b32_e32 v12, 1, v24
	v_cmp_eq_u32_e64 s[48:49], 1, v12
	s_or_b64 s[48:49], vcc, s[48:49]
	v_cmp_eq_u16_e32 vcc, 0, v8
	v_cndmask_b32_e32 v12, 0, v16, vcc
	v_cndmask_b32_e64 v24, 0, 1, s[48:49]
	v_cndmask_b32_e32 v8, 0, v17, vcc
	v_add_co_u32_e32 v4, vcc, v12, v4
	v_addc_co_u32_e32 v5, vcc, v8, v5, vcc
	v_cndmask_b32_e64 v12, 0, 1, s[48:49]
	v_mov_b32_e32 v8, v24
.LBB66_141:
	s_or_b64 exec, exec, s[50:51]
	v_mov_b32_dpp v16, v4 row_shr:8 row_mask:0xf bank_mask:0xf
	v_mov_b32_dpp v17, v5 row_shr:8 row_mask:0xf bank_mask:0xf
	;; [unrolled: 1-line block ×3, first 2 shown]
	v_cmp_lt_u32_e32 vcc, 7, v13
	s_and_saveexec_b64 s[50:51], vcc
	s_cbranch_execz .LBB66_143
; %bb.142:
	v_and_b32_e32 v12, 1, v8
	v_cmp_eq_u32_e32 vcc, 1, v12
	v_and_b32_e32 v12, 1, v24
	v_cmp_eq_u32_e64 s[48:49], 1, v12
	s_or_b64 s[48:49], vcc, s[48:49]
	v_cmp_eq_u16_e32 vcc, 0, v8
	v_cndmask_b32_e32 v12, 0, v16, vcc
	v_cndmask_b32_e64 v13, 0, 1, s[48:49]
	v_cndmask_b32_e32 v8, 0, v17, vcc
	v_add_co_u32_e32 v4, vcc, v12, v4
	v_addc_co_u32_e32 v5, vcc, v8, v5, vcc
	v_cndmask_b32_e64 v12, 0, 1, s[48:49]
	v_mov_b32_e32 v8, v13
.LBB66_143:
	s_or_b64 exec, exec, s[50:51]
	v_and_b32_e32 v24, 16, v9
	v_mov_b32_dpp v13, v4 row_bcast:15 row_mask:0xf bank_mask:0xf
	v_mov_b32_dpp v16, v5 row_bcast:15 row_mask:0xf bank_mask:0xf
	;; [unrolled: 1-line block ×3, first 2 shown]
	v_cmp_ne_u32_e32 vcc, 0, v24
	s_and_saveexec_b64 s[50:51], vcc
	s_cbranch_execz .LBB66_145
; %bb.144:
	v_and_b32_e32 v12, 1, v8
	v_cmp_eq_u32_e32 vcc, 1, v12
	v_and_b32_e32 v12, 1, v17
	v_cmp_eq_u32_e64 s[48:49], 1, v12
	s_or_b64 s[48:49], vcc, s[48:49]
	v_cmp_eq_u16_e32 vcc, 0, v8
	v_cndmask_b32_e32 v12, 0, v13, vcc
	v_cndmask_b32_e64 v17, 0, 1, s[48:49]
	v_cndmask_b32_e32 v8, 0, v16, vcc
	v_add_co_u32_e32 v4, vcc, v12, v4
	v_addc_co_u32_e32 v5, vcc, v8, v5, vcc
	v_cndmask_b32_e64 v12, 0, 1, s[48:49]
	v_mov_b32_e32 v8, v17
.LBB66_145:
	s_or_b64 exec, exec, s[50:51]
	v_mov_b32_dpp v13, v4 row_bcast:31 row_mask:0xf bank_mask:0xf
	v_mov_b32_dpp v16, v5 row_bcast:31 row_mask:0xf bank_mask:0xf
	;; [unrolled: 1-line block ×3, first 2 shown]
	v_cmp_lt_u32_e32 vcc, 31, v9
	s_and_saveexec_b64 s[50:51], vcc
	s_cbranch_execz .LBB66_147
; %bb.146:
	v_and_b32_e32 v17, 1, v8
	v_and_b32_e32 v12, 1, v12
	v_cmp_eq_u32_e32 vcc, 1, v17
	v_cmp_eq_u32_e64 s[48:49], 1, v12
	s_or_b64 s[48:49], vcc, s[48:49]
	v_cmp_eq_u16_e32 vcc, 0, v8
	v_cndmask_b32_e32 v13, 0, v13, vcc
	v_cndmask_b32_e64 v12, 0, 1, s[48:49]
	v_cndmask_b32_e32 v8, 0, v16, vcc
	v_add_co_u32_e32 v4, vcc, v13, v4
	v_addc_co_u32_e32 v5, vcc, v8, v5, vcc
	v_mov_b32_e32 v8, v12
.LBB66_147:
	s_or_b64 exec, exec, s[50:51]
	v_cmp_eq_u32_e32 vcc, 63, v0
	s_and_saveexec_b64 s[48:49], vcc
	s_cbranch_execz .LBB66_149
; %bb.148:
	v_mov_b32_e32 v12, 0
	ds_write_b64 v12, v[4:5]
	ds_write_b8 v12, v8 offset:8
.LBB66_149:
	s_or_b64 exec, exec, s[48:49]
	v_add_u32_e32 v12, -1, v9
	v_and_b32_e32 v13, 64, v9
	v_cmp_lt_i32_e32 vcc, v12, v13
	v_cndmask_b32_e32 v12, v12, v9, vcc
	v_lshlrev_b32_e32 v12, 2, v12
	ds_bpermute_b32 v45, v12, v4
	v_and_b32_e32 v4, 0xffff, v8
	ds_bpermute_b32 v48, v12, v5
	ds_bpermute_b32 v44, v12, v4
	v_cmp_gt_u32_e32 vcc, 64, v0
	s_waitcnt lgkmcnt(0)
	; wave barrier
	s_waitcnt lgkmcnt(0)
	s_and_saveexec_b64 s[52:53], vcc
	s_cbranch_execz .LBB66_192
; %bb.150:
	v_mov_b32_e32 v13, 0
	ds_read_b64 v[4:5], v13
	ds_read_u8 v49, v13 offset:8
	s_mov_b32 s55, 0
	v_cmp_eq_u32_e64 s[48:49], 0, v9
	s_and_saveexec_b64 s[50:51], s[48:49]
	s_cbranch_execz .LBB66_152
; %bb.151:
	s_add_i32 s54, s6, 64
	s_lshl_b64 s[56:57], s[54:55], 4
	s_add_u32 s56, s68, s56
	s_addc_u32 s57, s69, s57
	v_mov_b32_e32 v8, s54
	v_mov_b32_e32 v12, 1
	s_waitcnt lgkmcnt(1)
	global_store_dwordx2 v13, v[4:5], s[56:57]
	s_waitcnt lgkmcnt(0)
	global_store_byte v13, v49, s[56:57] offset:8
	s_waitcnt vmcnt(0)
	buffer_wbinvl1_vol
	global_store_byte v8, v12, s[72:73]
.LBB66_152:
	s_or_b64 exec, exec, s[50:51]
	v_xad_u32 v8, v9, -1, s6
	v_add_u32_e32 v12, 64, v8
	global_load_ubyte v52, v12, s[72:73] glc
	s_waitcnt vmcnt(0)
	v_cmp_eq_u16_e32 vcc, 0, v52
	s_and_saveexec_b64 s[50:51], vcc
	s_cbranch_execz .LBB66_156
; %bb.153:
	v_mov_b32_e32 v17, s73
	v_add_co_u32_e32 v16, vcc, s72, v12
	v_addc_co_u32_e32 v17, vcc, 0, v17, vcc
	s_mov_b64 s[54:55], 0
.LBB66_154:                             ; =>This Inner Loop Header: Depth=1
	global_load_ubyte v52, v[16:17], off glc
	s_waitcnt vmcnt(0)
	v_cmp_ne_u16_e32 vcc, 0, v52
	s_or_b64 s[54:55], vcc, s[54:55]
	s_andn2_b64 exec, exec, s[54:55]
	s_cbranch_execnz .LBB66_154
; %bb.155:
	s_or_b64 exec, exec, s[54:55]
.LBB66_156:
	s_or_b64 exec, exec, s[50:51]
	v_mov_b32_e32 v16, s71
	v_mov_b32_e32 v17, s69
	v_cmp_eq_u16_e32 vcc, 1, v52
	v_cndmask_b32_e32 v16, v16, v17, vcc
	v_mov_b32_e32 v17, s70
	v_mov_b32_e32 v24, s68
	v_cndmask_b32_e32 v17, v17, v24, vcc
	v_lshlrev_b64 v[12:13], 4, v[12:13]
	v_add_co_u32_e32 v12, vcc, v17, v12
	v_addc_co_u32_e32 v13, vcc, v16, v13, vcc
	s_waitcnt lgkmcnt(0)
	buffer_wbinvl1_vol
	global_load_dwordx2 v[24:25], v[12:13], off
	global_load_ubyte v81, v[12:13], off offset:8
	v_cmp_eq_u16_e32 vcc, 2, v52
	v_lshlrev_b64 v[12:13], v9, -1
	v_and_b32_e32 v16, 63, v9
	v_and_b32_e32 v17, vcc_hi, v13
	v_and_b32_e32 v56, vcc_lo, v12
	v_cmp_ne_u32_e32 vcc, 63, v16
	v_addc_co_u32_e32 v53, vcc, 0, v9, vcc
	v_lshlrev_b32_e32 v53, 2, v53
	v_or_b32_e32 v17, 0x80000000, v17
	v_ffbl_b32_e32 v17, v17
	v_add_u32_e32 v17, 32, v17
	v_ffbl_b32_e32 v56, v56
	v_min_u32_e32 v17, v56, v17
	v_add_u32_e32 v56, 1, v9
	v_cmp_le_u32_e32 vcc, v56, v17
	s_waitcnt vmcnt(1)
	ds_bpermute_b32 v60, v53, v24
	s_waitcnt vmcnt(0)
	v_and_b32_e32 v73, 1, v81
	ds_bpermute_b32 v61, v53, v25
	ds_bpermute_b32 v57, v53, v73
	s_and_saveexec_b64 s[50:51], vcc
	s_cbranch_execz .LBB66_158
; %bb.157:
	v_mov_b32_e32 v64, 0
	v_cmp_eq_u16_sdwa vcc, v81, v64 src0_sel:BYTE_0 src1_sel:DWORD
	s_waitcnt lgkmcnt(2)
	v_cndmask_b32_e32 v60, 0, v60, vcc
	s_waitcnt lgkmcnt(0)
	v_and_b32_e32 v57, 1, v57
	v_cndmask_b32_e32 v61, 0, v61, vcc
	v_add_co_u32_e32 v24, vcc, v60, v24
	v_or_b32_e32 v81, v57, v81
	v_addc_co_u32_e32 v25, vcc, v61, v25, vcc
	v_and_b32_e32 v73, 0xff, v81
.LBB66_158:
	s_or_b64 exec, exec, s[50:51]
	v_cmp_gt_u32_e32 vcc, 62, v16
	s_waitcnt lgkmcnt(0)
	v_cndmask_b32_e64 v57, 0, 1, vcc
	v_lshlrev_b32_e32 v57, 1, v57
	v_add_lshl_u32 v57, v57, v9, 2
	ds_bpermute_b32 v64, v57, v24
	ds_bpermute_b32 v65, v57, v25
	ds_bpermute_b32 v61, v57, v73
	v_add_u32_e32 v60, 2, v9
	v_cmp_le_u32_e32 vcc, v60, v17
	s_and_saveexec_b64 s[54:55], vcc
	s_cbranch_execz .LBB66_160
; %bb.159:
	v_mov_b32_e32 v68, 0
	v_cmp_eq_u16_sdwa vcc, v81, v68 src0_sel:BYTE_0 src1_sel:DWORD
	s_waitcnt lgkmcnt(2)
	v_cndmask_b32_e32 v64, 0, v64, vcc
	s_waitcnt lgkmcnt(1)
	v_cndmask_b32_e32 v65, 0, v65, vcc
	v_add_co_u32_e32 v24, vcc, v64, v24
	v_addc_co_u32_e32 v25, vcc, v65, v25, vcc
	v_and_b32_e32 v64, 1, v81
	s_waitcnt lgkmcnt(0)
	v_and_b32_e32 v61, 1, v61
	v_cmp_eq_u32_e32 vcc, 1, v64
	v_cmp_eq_u32_e64 s[50:51], 1, v61
	s_or_b64 s[50:51], vcc, s[50:51]
	v_cndmask_b32_e64 v81, 0, 1, s[50:51]
	v_cndmask_b32_e64 v73, 0, 1, s[50:51]
.LBB66_160:
	s_or_b64 exec, exec, s[54:55]
	v_cmp_gt_u32_e32 vcc, 60, v16
	s_waitcnt lgkmcnt(0)
	v_cndmask_b32_e64 v61, 0, 1, vcc
	v_lshlrev_b32_e32 v61, 2, v61
	v_add_lshl_u32 v61, v61, v9, 2
	ds_bpermute_b32 v68, v61, v24
	ds_bpermute_b32 v69, v61, v25
	ds_bpermute_b32 v65, v61, v73
	v_add_u32_e32 v64, 4, v9
	v_cmp_le_u32_e32 vcc, v64, v17
	s_and_saveexec_b64 s[54:55], vcc
	s_cbranch_execz .LBB66_162
; %bb.161:
	v_mov_b32_e32 v72, 0
	v_cmp_eq_u16_sdwa vcc, v81, v72 src0_sel:BYTE_0 src1_sel:DWORD
	s_waitcnt lgkmcnt(2)
	v_cndmask_b32_e32 v68, 0, v68, vcc
	s_waitcnt lgkmcnt(1)
	v_cndmask_b32_e32 v69, 0, v69, vcc
	v_add_co_u32_e32 v24, vcc, v68, v24
	v_addc_co_u32_e32 v25, vcc, v69, v25, vcc
	v_and_b32_e32 v68, 1, v81
	s_waitcnt lgkmcnt(0)
	v_and_b32_e32 v65, 1, v65
	v_cmp_eq_u32_e32 vcc, 1, v68
	v_cmp_eq_u32_e64 s[50:51], 1, v65
	s_or_b64 s[50:51], vcc, s[50:51]
	v_cndmask_b32_e64 v81, 0, 1, s[50:51]
	v_cndmask_b32_e64 v73, 0, 1, s[50:51]
.LBB66_162:
	;; [unrolled: 31-line block ×3, first 2 shown]
	s_or_b64 exec, exec, s[54:55]
	v_cmp_gt_u32_e32 vcc, 48, v16
	s_waitcnt lgkmcnt(0)
	v_cndmask_b32_e64 v69, 0, 1, vcc
	v_lshlrev_b32_e32 v69, 4, v69
	v_add_lshl_u32 v69, v69, v9, 2
	ds_bpermute_b32 v77, v69, v24
	ds_bpermute_b32 v80, v69, v25
	;; [unrolled: 1-line block ×3, first 2 shown]
	v_add_u32_e32 v72, 16, v9
	v_cmp_le_u32_e32 vcc, v72, v17
	s_and_saveexec_b64 s[54:55], vcc
	s_cbranch_execz .LBB66_166
; %bb.165:
	v_mov_b32_e32 v73, 0
	v_cmp_eq_u16_sdwa vcc, v81, v73 src0_sel:BYTE_0 src1_sel:DWORD
	s_waitcnt lgkmcnt(2)
	v_cndmask_b32_e32 v77, 0, v77, vcc
	s_waitcnt lgkmcnt(1)
	v_cndmask_b32_e32 v73, 0, v80, vcc
	v_add_co_u32_e32 v24, vcc, v77, v24
	v_addc_co_u32_e32 v25, vcc, v73, v25, vcc
	v_and_b32_e32 v73, 1, v81
	v_cmp_eq_u32_e32 vcc, 1, v73
	s_waitcnt lgkmcnt(0)
	v_and_b32_e32 v73, 1, v76
	v_cmp_eq_u32_e64 s[50:51], 1, v73
	s_or_b64 s[50:51], vcc, s[50:51]
	v_cndmask_b32_e64 v81, 0, 1, s[50:51]
	v_cndmask_b32_e64 v73, 0, 1, s[50:51]
.LBB66_166:
	s_or_b64 exec, exec, s[54:55]
	v_cmp_gt_u32_e32 vcc, 32, v16
	v_cndmask_b32_e64 v16, 0, 1, vcc
	v_lshlrev_b32_e32 v16, 5, v16
	s_waitcnt lgkmcnt(0)
	v_add_lshl_u32 v76, v16, v9, 2
	ds_bpermute_b32 v80, v76, v24
	ds_bpermute_b32 v82, v76, v25
	;; [unrolled: 1-line block ×3, first 2 shown]
	v_add_u32_e32 v77, 32, v9
	v_cmp_le_u32_e32 vcc, v77, v17
	s_and_saveexec_b64 s[54:55], vcc
	s_cbranch_execz .LBB66_168
; %bb.167:
	v_mov_b32_e32 v9, 0
	v_cmp_eq_u16_sdwa vcc, v81, v9 src0_sel:BYTE_0 src1_sel:DWORD
	s_waitcnt lgkmcnt(2)
	v_cndmask_b32_e32 v17, 0, v80, vcc
	s_waitcnt lgkmcnt(1)
	v_cndmask_b32_e32 v9, 0, v82, vcc
	v_add_co_u32_e32 v24, vcc, v17, v24
	v_addc_co_u32_e32 v25, vcc, v9, v25, vcc
	v_and_b32_e32 v9, 1, v81
	v_cmp_eq_u32_e32 vcc, 1, v9
	s_waitcnt lgkmcnt(0)
	v_and_b32_e32 v9, 1, v16
	v_cmp_eq_u32_e64 s[50:51], 1, v9
	s_or_b64 s[50:51], vcc, s[50:51]
	v_cndmask_b32_e64 v81, 0, 1, s[50:51]
.LBB66_168:
	s_or_b64 exec, exec, s[54:55]
	v_mov_b32_e32 v9, 0
	s_waitcnt lgkmcnt(2)
	v_mov_b32_e32 v80, 2
	s_branch .LBB66_170
.LBB66_169:                             ;   in Loop: Header=BB66_170 Depth=1
	s_or_b64 exec, exec, s[56:57]
	v_cmp_eq_u16_sdwa vcc, v73, v9 src0_sel:BYTE_0 src1_sel:DWORD
	v_cndmask_b32_e32 v24, 0, v24, vcc
	v_cndmask_b32_e32 v25, 0, v25, vcc
	v_add_co_u32_e32 v24, vcc, v24, v16
	v_addc_co_u32_e32 v25, vcc, v25, v17, vcc
	v_and_b32_e32 v81, 1, v73
	v_cmp_eq_u32_e32 vcc, 1, v81
	s_or_b64 s[50:51], vcc, s[54:55]
	v_subrev_u32_e32 v8, 64, v8
	v_cndmask_b32_e64 v81, 0, 1, s[50:51]
.LBB66_170:                             ; =>This Loop Header: Depth=1
                                        ;     Child Loop BB66_173 Depth 2
	v_cmp_ne_u16_sdwa s[50:51], v52, v80 src0_sel:BYTE_0 src1_sel:DWORD
	s_waitcnt lgkmcnt(0)
	v_cndmask_b32_e64 v16, 0, 1, s[50:51]
	;;#ASMSTART
	;;#ASMEND
	v_cmp_ne_u32_e32 vcc, 0, v16
	v_mov_b32_e32 v73, v81
	s_cmp_lg_u64 vcc, exec
	v_pk_mov_b32 v[16:17], v[24:25], v[24:25] op_sel:[0,1]
	s_cbranch_scc1 .LBB66_187
; %bb.171:                              ;   in Loop: Header=BB66_170 Depth=1
	global_load_ubyte v52, v8, s[72:73] glc
	s_waitcnt vmcnt(0)
	v_cmp_eq_u16_e32 vcc, 0, v52
	s_and_saveexec_b64 s[50:51], vcc
	s_cbranch_execz .LBB66_175
; %bb.172:                              ;   in Loop: Header=BB66_170 Depth=1
	v_mov_b32_e32 v25, s73
	v_add_co_u32_e32 v24, vcc, s72, v8
	v_addc_co_u32_e32 v25, vcc, 0, v25, vcc
	s_mov_b64 s[54:55], 0
.LBB66_173:                             ;   Parent Loop BB66_170 Depth=1
                                        ; =>  This Inner Loop Header: Depth=2
	global_load_ubyte v52, v[24:25], off glc
	s_waitcnt vmcnt(0)
	v_cmp_ne_u16_e32 vcc, 0, v52
	s_or_b64 s[54:55], vcc, s[54:55]
	s_andn2_b64 exec, exec, s[54:55]
	s_cbranch_execnz .LBB66_173
; %bb.174:                              ;   in Loop: Header=BB66_170 Depth=1
	s_or_b64 exec, exec, s[54:55]
.LBB66_175:                             ;   in Loop: Header=BB66_170 Depth=1
	s_or_b64 exec, exec, s[50:51]
	v_mov_b32_e32 v24, s71
	v_mov_b32_e32 v25, s69
	v_cmp_eq_u16_e32 vcc, 1, v52
	v_cndmask_b32_e32 v81, v24, v25, vcc
	v_mov_b32_e32 v24, s70
	v_mov_b32_e32 v25, s68
	v_cndmask_b32_e32 v82, v24, v25, vcc
	v_lshlrev_b64 v[24:25], 4, v[8:9]
	v_add_co_u32_e32 v82, vcc, v82, v24
	v_addc_co_u32_e32 v83, vcc, v81, v25, vcc
	buffer_wbinvl1_vol
	global_load_dwordx2 v[24:25], v[82:83], off
	global_load_ubyte v81, v[82:83], off offset:8
	v_cmp_eq_u16_e32 vcc, 2, v52
	v_and_b32_e32 v82, vcc_hi, v13
	v_or_b32_e32 v82, 0x80000000, v82
	v_and_b32_e32 v87, vcc_lo, v12
	v_ffbl_b32_e32 v82, v82
	v_add_u32_e32 v82, 32, v82
	v_ffbl_b32_e32 v87, v87
	v_min_u32_e32 v82, v87, v82
	v_cmp_le_u32_e32 vcc, v56, v82
	s_waitcnt vmcnt(1)
	ds_bpermute_b32 v85, v53, v24
	s_waitcnt vmcnt(0)
	v_and_b32_e32 v83, 1, v81
	ds_bpermute_b32 v86, v53, v25
	ds_bpermute_b32 v84, v53, v83
	v_cmp_eq_u32_e64 s[54:55], 1, v83
	s_and_saveexec_b64 s[50:51], vcc
	s_cbranch_execz .LBB66_177
; %bb.176:                              ;   in Loop: Header=BB66_170 Depth=1
	v_cmp_eq_u16_sdwa vcc, v81, v9 src0_sel:BYTE_0 src1_sel:DWORD
	s_waitcnt lgkmcnt(2)
	v_cndmask_b32_e32 v85, 0, v85, vcc
	s_waitcnt lgkmcnt(1)
	v_cndmask_b32_e32 v83, 0, v86, vcc
	v_add_co_u32_e32 v24, vcc, v85, v24
	v_addc_co_u32_e32 v25, vcc, v83, v25, vcc
	s_waitcnt lgkmcnt(0)
	v_and_b32_e32 v83, 1, v84
	v_or_b32_e32 v81, v83, v81
	v_and_b32_e32 v84, 1, v81
	v_cmp_eq_u32_e32 vcc, 1, v84
	s_andn2_b64 s[54:55], s[54:55], exec
	s_and_b64 s[56:57], vcc, exec
	v_and_b32_e32 v83, 0xff, v81
	s_or_b64 s[54:55], s[54:55], s[56:57]
.LBB66_177:                             ;   in Loop: Header=BB66_170 Depth=1
	s_or_b64 exec, exec, s[50:51]
	s_waitcnt lgkmcnt(2)
	ds_bpermute_b32 v85, v57, v24
	s_waitcnt lgkmcnt(2)
	ds_bpermute_b32 v86, v57, v25
	s_waitcnt lgkmcnt(2)
	ds_bpermute_b32 v84, v57, v83
	v_cmp_le_u32_e32 vcc, v60, v82
	s_and_saveexec_b64 s[56:57], vcc
	s_cbranch_execz .LBB66_179
; %bb.178:                              ;   in Loop: Header=BB66_170 Depth=1
	v_cmp_eq_u16_sdwa vcc, v81, v9 src0_sel:BYTE_0 src1_sel:DWORD
	s_waitcnt lgkmcnt(2)
	v_cndmask_b32_e32 v85, 0, v85, vcc
	s_waitcnt lgkmcnt(1)
	v_cndmask_b32_e32 v83, 0, v86, vcc
	v_add_co_u32_e32 v24, vcc, v85, v24
	v_addc_co_u32_e32 v25, vcc, v83, v25, vcc
	v_and_b32_e32 v81, 1, v81
	v_cmp_eq_u32_e32 vcc, 1, v81
	s_waitcnt lgkmcnt(0)
	v_and_b32_e32 v81, 1, v84
	v_cmp_eq_u32_e64 s[50:51], 1, v81
	s_or_b64 s[50:51], vcc, s[50:51]
	v_cndmask_b32_e64 v81, 0, 1, s[50:51]
	v_cndmask_b32_e64 v83, 0, 1, s[50:51]
	s_andn2_b64 s[54:55], s[54:55], exec
	s_and_b64 s[50:51], s[50:51], exec
	s_or_b64 s[54:55], s[54:55], s[50:51]
.LBB66_179:                             ;   in Loop: Header=BB66_170 Depth=1
	s_or_b64 exec, exec, s[56:57]
	s_waitcnt lgkmcnt(2)
	ds_bpermute_b32 v85, v61, v24
	s_waitcnt lgkmcnt(2)
	ds_bpermute_b32 v86, v61, v25
	s_waitcnt lgkmcnt(2)
	ds_bpermute_b32 v84, v61, v83
	v_cmp_le_u32_e32 vcc, v64, v82
	s_and_saveexec_b64 s[56:57], vcc
	s_cbranch_execz .LBB66_181
; %bb.180:                              ;   in Loop: Header=BB66_170 Depth=1
	v_cmp_eq_u16_sdwa vcc, v81, v9 src0_sel:BYTE_0 src1_sel:DWORD
	s_waitcnt lgkmcnt(2)
	v_cndmask_b32_e32 v85, 0, v85, vcc
	s_waitcnt lgkmcnt(1)
	v_cndmask_b32_e32 v83, 0, v86, vcc
	v_add_co_u32_e32 v24, vcc, v85, v24
	v_addc_co_u32_e32 v25, vcc, v83, v25, vcc
	v_and_b32_e32 v81, 1, v81
	v_cmp_eq_u32_e32 vcc, 1, v81
	s_waitcnt lgkmcnt(0)
	v_and_b32_e32 v81, 1, v84
	v_cmp_eq_u32_e64 s[50:51], 1, v81
	s_or_b64 s[50:51], vcc, s[50:51]
	v_cndmask_b32_e64 v81, 0, 1, s[50:51]
	v_cndmask_b32_e64 v83, 0, 1, s[50:51]
	s_andn2_b64 s[54:55], s[54:55], exec
	s_and_b64 s[50:51], s[50:51], exec
	s_or_b64 s[54:55], s[54:55], s[50:51]
.LBB66_181:                             ;   in Loop: Header=BB66_170 Depth=1
	;; [unrolled: 30-line block ×4, first 2 shown]
	s_or_b64 exec, exec, s[56:57]
	s_waitcnt lgkmcnt(0)
	ds_bpermute_b32 v84, v76, v24
	ds_bpermute_b32 v85, v76, v25
	;; [unrolled: 1-line block ×3, first 2 shown]
	v_cmp_le_u32_e32 vcc, v77, v82
	s_and_saveexec_b64 s[56:57], vcc
	s_cbranch_execz .LBB66_169
; %bb.186:                              ;   in Loop: Header=BB66_170 Depth=1
	v_cmp_eq_u16_sdwa vcc, v81, v9 src0_sel:BYTE_0 src1_sel:DWORD
	s_waitcnt lgkmcnt(2)
	v_cndmask_b32_e32 v84, 0, v84, vcc
	s_waitcnt lgkmcnt(1)
	v_cndmask_b32_e32 v82, 0, v85, vcc
	v_add_co_u32_e32 v24, vcc, v84, v24
	v_addc_co_u32_e32 v25, vcc, v82, v25, vcc
	v_and_b32_e32 v81, 1, v81
	v_cmp_eq_u32_e32 vcc, 1, v81
	s_waitcnt lgkmcnt(0)
	v_and_b32_e32 v81, 1, v83
	v_cmp_eq_u32_e64 s[50:51], 1, v81
	s_or_b64 s[50:51], vcc, s[50:51]
	s_andn2_b64 s[54:55], s[54:55], exec
	s_and_b64 s[50:51], s[50:51], exec
	s_or_b64 s[54:55], s[54:55], s[50:51]
	s_branch .LBB66_169
.LBB66_187:                             ;   in Loop: Header=BB66_170 Depth=1
                                        ; implicit-def: $vgpr81
                                        ; implicit-def: $vgpr24_vgpr25
                                        ; implicit-def: $vgpr52
	s_cbranch_execz .LBB66_170
; %bb.188:
	s_and_saveexec_b64 s[50:51], s[48:49]
	s_cbranch_execz .LBB66_190
; %bb.189:
	v_mov_b32_e32 v8, 0
	s_mov_b32 s7, 0
	v_cmp_eq_u16_sdwa vcc, v49, v8 src0_sel:BYTE_0 src1_sel:DWORD
	s_add_i32 s6, s6, 64
	v_cndmask_b32_e32 v12, 0, v16, vcc
	s_lshl_b64 s[48:49], s[6:7], 4
	v_cndmask_b32_e32 v9, 0, v17, vcc
	v_add_co_u32_e32 v4, vcc, v12, v4
	s_add_u32 s48, s70, s48
	v_addc_co_u32_e32 v5, vcc, v9, v5, vcc
	v_or_b32_e32 v9, v49, v73
	s_addc_u32 s49, s71, s49
	v_and_b32_e32 v9, 1, v9
	global_store_dwordx2 v8, v[4:5], s[48:49]
	global_store_byte v8, v9, s[48:49] offset:8
	v_mov_b32_e32 v4, s6
	v_mov_b32_e32 v5, 2
	s_waitcnt vmcnt(0) lgkmcnt(0)
	buffer_wbinvl1_vol
	global_store_byte v4, v5, s[72:73]
.LBB66_190:
	s_or_b64 exec, exec, s[50:51]
	v_cmp_eq_u32_e32 vcc, 0, v0
	s_and_b64 exec, exec, vcc
	s_cbranch_execz .LBB66_192
; %bb.191:
	v_mov_b32_e32 v4, 0
	ds_write_b64 v4, v[16:17]
	ds_write_b8 v4, v73 offset:8
.LBB66_192:
	s_or_b64 exec, exec, s[52:53]
	v_mov_b32_e32 v12, 0
	s_waitcnt lgkmcnt(0)
	; wave barrier
	s_waitcnt lgkmcnt(0)
	ds_read_b64 v[4:5], v12
	v_cmp_ne_u32_e32 vcc, 0, v0
	v_mov_b32_e32 v13, v1
	v_pk_mov_b32 v[8:9], v[2:3], v[2:3] op_sel:[0,1]
	s_and_saveexec_b64 s[6:7], vcc
; %bb.193:
	v_cmp_eq_u16_sdwa vcc, v1, v12 src0_sel:BYTE_0 src1_sel:DWORD
	v_cndmask_b32_e32 v8, 0, v45, vcc
	v_cndmask_b32_e32 v9, 0, v48, vcc
	v_add_co_u32_e32 v8, vcc, v8, v2
	v_addc_co_u32_e32 v9, vcc, v9, v3, vcc
	v_and_b32_e32 v13, 1, v44
	v_cmp_eq_u32_e32 vcc, 1, v13
	s_or_b64 s[36:37], s[36:37], vcc
	v_cndmask_b32_e64 v13, 0, 1, s[36:37]
; %bb.194:
	s_or_b64 exec, exec, s[6:7]
	v_cmp_eq_u16_sdwa vcc, v13, v12 src0_sel:BYTE_0 src1_sel:DWORD
	s_waitcnt lgkmcnt(0)
	v_cndmask_b32_e32 v4, 0, v4, vcc
	v_cndmask_b32_e32 v5, 0, v5, vcc
	v_add_co_u32_e32 v122, vcc, v4, v8
	v_addc_co_u32_e32 v123, vcc, v5, v9, vcc
	v_cndmask_b32_e64 v5, 0, v122, s[2:3]
	v_cndmask_b32_e64 v4, 0, v123, s[2:3]
	v_add_co_u32_e32 v82, vcc, v5, v18
	v_addc_co_u32_e32 v83, vcc, v4, v19, vcc
	v_cndmask_b32_e64 v5, 0, v82, s[66:67]
	v_cndmask_b32_e64 v4, 0, v83, s[66:67]
	;; [unrolled: 4-line block ×20, first 2 shown]
	v_add_co_u32_e32 v120, vcc, v5, v20
	v_addc_co_u32_e32 v121, vcc, v4, v21, vcc
	s_branch .LBB66_217
.LBB66_195:
                                        ; implicit-def: $vgpr122_vgpr123
                                        ; implicit-def: $vgpr120_vgpr121
                                        ; implicit-def: $vgpr76_vgpr77
                                        ; implicit-def: $vgpr72_vgpr73
                                        ; implicit-def: $vgpr68_vgpr69
                                        ; implicit-def: $vgpr64_vgpr65
                                        ; implicit-def: $vgpr60_vgpr61
                                        ; implicit-def: $vgpr56_vgpr57
                                        ; implicit-def: $vgpr52_vgpr53
                                        ; implicit-def: $vgpr48_vgpr49
                                        ; implicit-def: $vgpr44_vgpr45
                                        ; implicit-def: $vgpr116_vgpr117_vgpr118_vgpr119
                                        ; implicit-def: $vgpr112_vgpr113_vgpr114_vgpr115
                                        ; implicit-def: $vgpr108_vgpr109_vgpr110_vgpr111
                                        ; implicit-def: $vgpr104_vgpr105_vgpr106_vgpr107
                                        ; implicit-def: $vgpr100_vgpr101_vgpr102_vgpr103
                                        ; implicit-def: $vgpr96_vgpr97_vgpr98_vgpr99
                                        ; implicit-def: $vgpr92_vgpr93_vgpr94_vgpr95
                                        ; implicit-def: $vgpr88_vgpr89_vgpr90_vgpr91
                                        ; implicit-def: $vgpr84_vgpr85_vgpr86_vgpr87
                                        ; implicit-def: $vgpr80_vgpr81_vgpr82_vgpr83
	s_cbranch_execz .LBB66_217
; %bb.196:
	s_cmp_lg_u64 s[92:93], 0
	s_cselect_b64 s[6:7], -1, 0
	v_cmp_eq_u32_e32 vcc, 0, v0
	v_cmp_ne_u32_e64 s[2:3], 0, v0
	s_and_b64 s[6:7], vcc, s[6:7]
	s_and_saveexec_b64 s[8:9], s[6:7]
	s_cbranch_execz .LBB66_198
; %bb.197:
	v_mov_b32_e32 v4, 0
	global_load_ubyte v5, v4, s[92:93] offset:8
	s_load_dwordx2 s[10:11], s[92:93], 0x0
	v_cmp_eq_u16_sdwa s[6:7], v1, v4 src0_sel:BYTE_0 src1_sel:DWORD
	s_waitcnt lgkmcnt(0)
	v_mov_b32_e32 v8, s11
	v_cndmask_b32_e64 v4, 0, v8, s[6:7]
	v_mov_b32_e32 v8, s10
	v_cndmask_b32_e64 v8, 0, v8, s[6:7]
	v_add_co_u32_e64 v2, s[6:7], v8, v2
	v_addc_co_u32_e64 v3, s[6:7], v4, v3, s[6:7]
	s_waitcnt vmcnt(0)
	v_or_b32_e32 v1, v1, v5
	v_and_b32_e32 v1, 1, v1
.LBB66_198:
	s_or_b64 exec, exec, s[8:9]
	v_and_b32_e32 v4, 1, v1
	v_cmp_eq_u32_e64 s[48:49], 1, v4
	v_mov_b32_e32 v4, 0
	v_cmp_eq_u16_sdwa s[6:7], v130, v4 src0_sel:BYTE_0 src1_sel:DWORD
	v_cndmask_b32_e64 v8, 0, v2, s[6:7]
	v_cndmask_b32_e64 v5, 0, v3, s[6:7]
	v_add_co_u32_e64 v82, s[8:9], v8, v18
	v_addc_co_u32_e64 v83, s[8:9], v5, v19, s[8:9]
	v_cmp_eq_u16_sdwa s[8:9], v132, v4 src0_sel:BYTE_0 src1_sel:DWORD
	v_cndmask_b32_e64 v8, 0, v82, s[8:9]
	s_movk_i32 s44, 0xff
	v_cndmask_b32_e64 v5, 0, v83, s[8:9]
	v_add_co_u32_e64 v84, s[10:11], v8, v6
	v_addc_co_u32_e64 v85, s[10:11], v5, v7, s[10:11]
	v_and_b32_sdwa v5, v130, s44 dst_sel:DWORD dst_unused:UNUSED_PAD src0_sel:WORD_1 src1_sel:DWORD
	v_cmp_eq_u16_e64 s[10:11], 0, v5
	v_cndmask_b32_e64 v8, 0, v84, s[10:11]
	v_cndmask_b32_e64 v5, 0, v85, s[10:11]
	v_add_co_u32_e64 v44, s[12:13], v8, v26
	v_addc_co_u32_e64 v45, s[12:13], v5, v27, s[12:13]
	v_cmp_eq_u16_sdwa s[12:13], v130, v4 src0_sel:BYTE_3 src1_sel:DWORD
	v_cndmask_b32_e64 v8, 0, v44, s[12:13]
	v_cndmask_b32_e64 v5, 0, v45, s[12:13]
	v_add_co_u32_e64 v88, s[14:15], v8, v14
	v_addc_co_u32_e64 v89, s[14:15], v5, v15, s[14:15]
	v_cmp_eq_u16_sdwa s[14:15], v125, v4 src0_sel:BYTE_0 src1_sel:DWORD
	v_cndmask_b32_e64 v8, 0, v88, s[14:15]
	v_cndmask_b32_e64 v5, 0, v89, s[14:15]
	v_add_co_u32_e64 v48, s[16:17], v8, v34
	v_addc_co_u32_e64 v49, s[16:17], v5, v35, s[16:17]
	v_cmp_eq_u16_sdwa s[16:17], v129, v4 src0_sel:BYTE_0 src1_sel:DWORD
	v_cndmask_b32_e64 v8, 0, v48, s[16:17]
	v_cndmask_b32_e64 v5, 0, v49, s[16:17]
	v_add_co_u32_e64 v92, s[18:19], v8, v22
	v_addc_co_u32_e64 v93, s[18:19], v5, v23, s[18:19]
	v_cmp_eq_u16_sdwa s[18:19], v41, v4 src0_sel:BYTE_0 src1_sel:DWORD
	v_cndmask_b32_e64 v8, 0, v92, s[18:19]
	v_cndmask_b32_e64 v5, 0, v93, s[18:19]
	v_add_co_u32_e64 v52, s[20:21], v8, v42
	v_addc_co_u32_e64 v53, s[20:21], v5, v43, s[20:21]
	v_and_b32_sdwa v5, v129, s44 dst_sel:DWORD dst_unused:UNUSED_PAD src0_sel:WORD_1 src1_sel:DWORD
	v_cmp_eq_u16_e64 s[20:21], 0, v5
	v_cndmask_b32_e64 v8, 0, v52, s[20:21]
	v_cndmask_b32_e64 v5, 0, v53, s[20:21]
	v_add_co_u32_e64 v96, s[22:23], v8, v30
	v_addc_co_u32_e64 v97, s[22:23], v5, v31, s[22:23]
	v_cmp_eq_u16_sdwa s[22:23], v129, v4 src0_sel:BYTE_3 src1_sel:DWORD
	v_cndmask_b32_e64 v8, 0, v96, s[22:23]
	v_cndmask_b32_e64 v5, 0, v97, s[22:23]
	v_add_co_u32_e64 v56, s[24:25], v8, v50
	v_addc_co_u32_e64 v57, s[24:25], v5, v51, s[24:25]
	v_cmp_eq_u16_sdwa s[24:25], v126, v4 src0_sel:BYTE_0 src1_sel:DWORD
	v_cndmask_b32_e64 v8, 0, v56, s[24:25]
	v_cndmask_b32_e64 v5, 0, v57, s[24:25]
	v_add_co_u32_e64 v100, s[26:27], v8, v38
	v_addc_co_u32_e64 v101, s[26:27], v5, v39, s[26:27]
	v_cmp_eq_u16_sdwa s[26:27], v128, v4 src0_sel:BYTE_0 src1_sel:DWORD
	v_cndmask_b32_e64 v8, 0, v100, s[26:27]
	v_cndmask_b32_e64 v5, 0, v101, s[26:27]
	v_add_co_u32_e64 v60, s[28:29], v8, v58
	v_addc_co_u32_e64 v61, s[28:29], v5, v59, s[28:29]
	v_cmp_eq_u16_sdwa s[28:29], v37, v4 src0_sel:BYTE_0 src1_sel:DWORD
	v_cndmask_b32_e64 v8, 0, v60, s[28:29]
	v_cndmask_b32_e64 v5, 0, v61, s[28:29]
	v_add_co_u32_e64 v104, s[30:31], v8, v46
	v_addc_co_u32_e64 v105, s[30:31], v5, v47, s[30:31]
	v_and_b32_sdwa v5, v128, s44 dst_sel:DWORD dst_unused:UNUSED_PAD src0_sel:WORD_1 src1_sel:DWORD
	v_cmp_eq_u16_e64 s[30:31], 0, v5
	v_cndmask_b32_e64 v8, 0, v104, s[30:31]
	v_cndmask_b32_e64 v5, 0, v105, s[30:31]
	v_add_co_u32_e64 v64, s[34:35], v8, v66
	v_addc_co_u32_e64 v65, s[34:35], v5, v67, s[34:35]
	v_cmp_eq_u16_sdwa s[34:35], v128, v4 src0_sel:BYTE_3 src1_sel:DWORD
	v_cndmask_b32_e64 v8, 0, v64, s[34:35]
	v_cndmask_b32_e64 v5, 0, v65, s[34:35]
	v_add_co_u32_e64 v108, s[36:37], v8, v54
	v_addc_co_u32_e64 v109, s[36:37], v5, v55, s[36:37]
	v_cmp_eq_u16_sdwa s[36:37], v124, v4 src0_sel:BYTE_0 src1_sel:DWORD
	v_cndmask_b32_e64 v8, 0, v108, s[36:37]
	v_cndmask_b32_e64 v5, 0, v109, s[36:37]
	v_add_co_u32_e64 v68, s[38:39], v8, v74
	v_addc_co_u32_e64 v69, s[38:39], v5, v75, s[38:39]
	v_cmp_eq_u16_sdwa s[38:39], v127, v4 src0_sel:BYTE_0 src1_sel:DWORD
	v_cndmask_b32_e64 v8, 0, v68, s[38:39]
	v_cndmask_b32_e64 v5, 0, v69, s[38:39]
	v_add_co_u32_e64 v112, s[40:41], v8, v62
	v_addc_co_u32_e64 v113, s[40:41], v5, v63, s[40:41]
	v_cmp_eq_u16_sdwa s[40:41], v36, v4 src0_sel:BYTE_0 src1_sel:DWORD
	v_cndmask_b32_e64 v8, 0, v112, s[40:41]
	v_cndmask_b32_e64 v5, 0, v113, s[40:41]
	v_add_co_u32_e64 v72, s[42:43], v8, v78
	v_addc_co_u32_e64 v73, s[42:43], v5, v79, s[42:43]
	v_and_b32_sdwa v5, v127, s44 dst_sel:DWORD dst_unused:UNUSED_PAD src0_sel:WORD_1 src1_sel:DWORD
	v_cmp_eq_u16_e64 s[42:43], 0, v5
	v_cndmask_b32_e64 v8, 0, v72, s[42:43]
	v_cndmask_b32_e64 v5, 0, v73, s[42:43]
	v_add_co_u32_e64 v116, s[44:45], v8, v70
	v_addc_co_u32_e64 v117, s[44:45], v5, v71, s[44:45]
	v_cmp_eq_u16_sdwa s[44:45], v127, v4 src0_sel:BYTE_3 src1_sel:DWORD
	v_cndmask_b32_e64 v8, 0, v116, s[44:45]
	v_cndmask_b32_e64 v5, 0, v117, s[44:45]
	v_add_co_u32_e64 v76, s[46:47], v8, v10
	v_addc_co_u32_e64 v77, s[46:47], v5, v11, s[46:47]
	v_cmp_eq_u16_sdwa s[46:47], v28, v4 src0_sel:BYTE_0 src1_sel:DWORD
	v_cndmask_b32_e64 v5, 0, v76, s[46:47]
	v_cndmask_b32_e64 v4, 0, v77, s[46:47]
	v_add_co_u32_e64 v120, s[56:57], v5, v20
	v_addc_co_u32_e64 v121, s[56:57], v4, v21, s[56:57]
	v_or_b32_e32 v4, v127, v128
	v_or3_b32 v4, v4, v129, v130
	v_lshrrev_b16_e32 v8, 7, v4
	v_and_b32_e32 v5, 1, v4
	v_and_b32_e32 v8, 2, v8
	v_or_b32_e32 v5, v5, v8
	v_lshrrev_b32_e32 v8, 23, v4
	v_mov_b32_e32 v9, 1
	v_and_b32_e32 v8, 2, v8
	v_and_b32_sdwa v4, v4, v9 dst_sel:DWORD dst_unused:UNUSED_PAD src0_sel:WORD_1 src1_sel:DWORD
	v_or_b32_e32 v4, v4, v8
	v_lshlrev_b16_e32 v4, 2, v4
	v_or_b32_e32 v4, v5, v4
	v_cmp_eq_u32_e64 s[56:57], 1, v32
	v_cmp_ne_u16_e64 s[58:59], 0, v4
	v_cmp_eq_u32_e64 s[54:55], 1, v33
	s_or_b64 s[56:57], s[58:59], s[56:57]
	v_cmp_eq_u32_e64 s[52:53], 1, v40
	s_or_b64 s[54:55], s[56:57], s[54:55]
	;; [unrolled: 2-line block ×3, first 2 shown]
	s_or_b64 s[50:51], s[52:53], s[50:51]
	s_or_b64 s[50:51], s[50:51], s[48:49]
	v_mbcnt_hi_u32_b32 v12, -1, v29
	v_and_b32_e32 v17, 15, v12
	v_cndmask_b32_e64 v16, 0, 1, s[50:51]
	v_cndmask_b32_e64 v13, 0, 1, s[50:51]
	v_mov_b32_dpp v24, v120 row_shr:1 row_mask:0xf bank_mask:0xf
	v_mov_b32_dpp v25, v121 row_shr:1 row_mask:0xf bank_mask:0xf
	;; [unrolled: 1-line block ×3, first 2 shown]
	v_cmp_ne_u32_e64 s[48:49], 0, v17
	v_mov_b32_e32 v4, v120
	v_mov_b32_e32 v5, v121
	v_pk_mov_b32 v[8:9], v[120:121], v[120:121] op_sel:[0,1]
	s_and_saveexec_b64 s[52:53], s[48:49]
; %bb.199:
	v_and_b32_e32 v4, 1, v28
	v_or_b32_e32 v13, v4, v13
	v_cndmask_b32_e64 v4, v24, 0, s[50:51]
	v_cndmask_b32_e64 v5, v25, 0, s[50:51]
	v_add_co_u32_e64 v4, s[48:49], v120, v4
	v_addc_co_u32_e64 v5, s[48:49], v121, v5, s[48:49]
	v_and_b32_e32 v16, 0xffff, v13
	v_pk_mov_b32 v[8:9], v[4:5], v[4:5] op_sel:[0,1]
; %bb.200:
	s_or_b64 exec, exec, s[52:53]
	v_mov_b32_dpp v24, v4 row_shr:2 row_mask:0xf bank_mask:0xf
	v_mov_b32_dpp v25, v5 row_shr:2 row_mask:0xf bank_mask:0xf
	v_mov_b32_dpp v28, v16 row_shr:2 row_mask:0xf bank_mask:0xf
	v_cmp_lt_u32_e64 s[48:49], 1, v17
	s_and_saveexec_b64 s[52:53], s[48:49]
	s_cbranch_execz .LBB66_202
; %bb.201:
	v_and_b32_e32 v4, 1, v13
	v_cmp_eq_u32_e64 s[48:49], 1, v4
	v_and_b32_e32 v4, 1, v28
	v_cmp_eq_u32_e64 s[50:51], 1, v4
	s_or_b64 s[50:51], s[48:49], s[50:51]
	v_cmp_eq_u16_e64 s[48:49], 0, v13
	v_cndmask_b32_e64 v4, 0, v24, s[48:49]
	v_cndmask_b32_e64 v5, 0, v25, s[48:49]
	v_add_co_u32_e64 v4, s[48:49], v4, v8
	v_cndmask_b32_e64 v28, 0, 1, s[50:51]
	v_addc_co_u32_e64 v5, s[48:49], v5, v9, s[48:49]
	v_cndmask_b32_e64 v16, 0, 1, s[50:51]
	v_mov_b32_e32 v13, v28
	v_pk_mov_b32 v[8:9], v[4:5], v[4:5] op_sel:[0,1]
.LBB66_202:
	s_or_b64 exec, exec, s[52:53]
	v_mov_b32_dpp v24, v4 row_shr:4 row_mask:0xf bank_mask:0xf
	v_mov_b32_dpp v25, v5 row_shr:4 row_mask:0xf bank_mask:0xf
	v_mov_b32_dpp v28, v16 row_shr:4 row_mask:0xf bank_mask:0xf
	v_cmp_lt_u32_e64 s[48:49], 3, v17
	s_and_saveexec_b64 s[52:53], s[48:49]
	s_cbranch_execz .LBB66_204
; %bb.203:
	v_and_b32_e32 v4, 1, v13
	v_cmp_eq_u32_e64 s[48:49], 1, v4
	v_and_b32_e32 v4, 1, v28
	v_cmp_eq_u32_e64 s[50:51], 1, v4
	s_or_b64 s[50:51], s[48:49], s[50:51]
	v_cmp_eq_u16_e64 s[48:49], 0, v13
	v_cndmask_b32_e64 v4, 0, v24, s[48:49]
	v_cndmask_b32_e64 v5, 0, v25, s[48:49]
	v_add_co_u32_e64 v4, s[48:49], v4, v8
	v_cndmask_b32_e64 v28, 0, 1, s[50:51]
	v_addc_co_u32_e64 v5, s[48:49], v5, v9, s[48:49]
	v_cndmask_b32_e64 v16, 0, 1, s[50:51]
	v_mov_b32_e32 v13, v28
	v_pk_mov_b32 v[8:9], v[4:5], v[4:5] op_sel:[0,1]
.LBB66_204:
	s_or_b64 exec, exec, s[52:53]
	v_mov_b32_dpp v24, v4 row_shr:8 row_mask:0xf bank_mask:0xf
	v_mov_b32_dpp v25, v5 row_shr:8 row_mask:0xf bank_mask:0xf
	v_mov_b32_dpp v28, v16 row_shr:8 row_mask:0xf bank_mask:0xf
	v_cmp_lt_u32_e64 s[48:49], 7, v17
	s_and_saveexec_b64 s[52:53], s[48:49]
	s_cbranch_execz .LBB66_206
; %bb.205:
	v_and_b32_e32 v4, 1, v13
	v_cmp_eq_u32_e64 s[48:49], 1, v4
	v_and_b32_e32 v4, 1, v28
	v_cmp_eq_u32_e64 s[50:51], 1, v4
	s_or_b64 s[50:51], s[48:49], s[50:51]
	v_cmp_eq_u16_e64 s[48:49], 0, v13
	v_cndmask_b32_e64 v4, 0, v24, s[48:49]
	v_cndmask_b32_e64 v5, 0, v25, s[48:49]
	v_add_co_u32_e64 v4, s[48:49], v4, v8
	v_cndmask_b32_e64 v17, 0, 1, s[50:51]
	v_addc_co_u32_e64 v5, s[48:49], v5, v9, s[48:49]
	v_cndmask_b32_e64 v16, 0, 1, s[50:51]
	v_mov_b32_e32 v13, v17
	v_pk_mov_b32 v[8:9], v[4:5], v[4:5] op_sel:[0,1]
.LBB66_206:
	s_or_b64 exec, exec, s[52:53]
	v_and_b32_e32 v28, 16, v12
	v_mov_b32_dpp v17, v4 row_bcast:15 row_mask:0xf bank_mask:0xf
	v_mov_b32_dpp v24, v5 row_bcast:15 row_mask:0xf bank_mask:0xf
	v_mov_b32_dpp v25, v16 row_bcast:15 row_mask:0xf bank_mask:0xf
	v_cmp_ne_u32_e64 s[48:49], 0, v28
	s_and_saveexec_b64 s[52:53], s[48:49]
	s_cbranch_execz .LBB66_208
; %bb.207:
	v_and_b32_e32 v4, 1, v13
	v_cmp_eq_u32_e64 s[48:49], 1, v4
	v_and_b32_e32 v4, 1, v25
	v_cmp_eq_u32_e64 s[50:51], 1, v4
	s_or_b64 s[50:51], s[48:49], s[50:51]
	v_cmp_eq_u16_e64 s[48:49], 0, v13
	v_cndmask_b32_e64 v4, 0, v17, s[48:49]
	v_cndmask_b32_e64 v5, 0, v24, s[48:49]
	v_add_co_u32_e64 v4, s[48:49], v4, v8
	v_cndmask_b32_e64 v25, 0, 1, s[50:51]
	v_addc_co_u32_e64 v5, s[48:49], v5, v9, s[48:49]
	v_cndmask_b32_e64 v16, 0, 1, s[50:51]
	v_mov_b32_e32 v13, v25
	v_pk_mov_b32 v[8:9], v[4:5], v[4:5] op_sel:[0,1]
.LBB66_208:
	s_or_b64 exec, exec, s[52:53]
	v_mov_b32_dpp v17, v4 row_bcast:31 row_mask:0xf bank_mask:0xf
	v_mov_b32_dpp v24, v5 row_bcast:31 row_mask:0xf bank_mask:0xf
	;; [unrolled: 1-line block ×3, first 2 shown]
	v_cmp_lt_u32_e64 s[48:49], 31, v12
	s_and_saveexec_b64 s[52:53], s[48:49]
	s_cbranch_execz .LBB66_210
; %bb.209:
	v_and_b32_e32 v4, 1, v13
	v_cmp_eq_u32_e64 s[48:49], 1, v4
	v_and_b32_e32 v4, 1, v16
	v_cmp_eq_u32_e64 s[50:51], 1, v4
	s_or_b64 s[48:49], s[48:49], s[50:51]
	v_cndmask_b32_e64 v16, 0, 1, s[48:49]
	v_cmp_eq_u16_e64 s[48:49], 0, v13
	v_cndmask_b32_e64 v4, 0, v17, s[48:49]
	v_cndmask_b32_e64 v5, 0, v24, s[48:49]
	v_add_co_u32_e64 v4, s[48:49], v4, v8
	v_addc_co_u32_e64 v5, s[48:49], v5, v9, s[48:49]
	v_mov_b32_e32 v13, v16
	v_pk_mov_b32 v[8:9], v[4:5], v[4:5] op_sel:[0,1]
.LBB66_210:
	s_or_b64 exec, exec, s[52:53]
	v_cmp_eq_u32_e64 s[48:49], 63, v0
	s_and_saveexec_b64 s[50:51], s[48:49]
	s_cbranch_execz .LBB66_212
; %bb.211:
	v_mov_b32_e32 v16, 0
	ds_write_b64 v16, v[8:9]
	ds_write_b8 v16, v13 offset:8
.LBB66_212:
	s_or_b64 exec, exec, s[50:51]
	v_add_u32_e32 v8, -1, v12
	v_and_b32_e32 v9, 64, v12
	v_cmp_lt_i32_e64 s[48:49], v8, v9
	v_cndmask_b32_e64 v8, v8, v12, s[48:49]
	v_lshlrev_b32_e32 v8, 2, v8
	ds_bpermute_b32 v4, v8, v4
	ds_bpermute_b32 v5, v8, v5
	s_waitcnt lgkmcnt(0)
	; wave barrier
	s_waitcnt lgkmcnt(0)
	s_and_saveexec_b64 s[48:49], s[2:3]
	s_cbranch_execz .LBB66_214
; %bb.213:
	v_mov_b32_e32 v8, 0
	v_cmp_eq_u16_sdwa s[2:3], v1, v8 src0_sel:BYTE_0 src1_sel:DWORD
	v_cndmask_b32_e64 v4, 0, v4, s[2:3]
	v_cndmask_b32_e64 v1, 0, v5, s[2:3]
	v_add_co_u32_e64 v2, s[2:3], v4, v2
	v_addc_co_u32_e64 v3, s[2:3], v1, v3, s[2:3]
	v_cndmask_b32_e64 v4, 0, v2, s[6:7]
	v_cndmask_b32_e64 v1, 0, v3, s[6:7]
	v_add_co_u32_e64 v82, s[2:3], v4, v18
	v_addc_co_u32_e64 v83, s[2:3], v1, v19, s[2:3]
	;; [unrolled: 4-line block ×21, first 2 shown]
.LBB66_214:
	s_or_b64 exec, exec, s[48:49]
	s_and_saveexec_b64 s[2:3], vcc
	s_cbranch_execz .LBB66_216
; %bb.215:
	v_mov_b32_e32 v1, 0
	ds_read_b64 v[4:5], v1
	ds_read_u8 v6, v1 offset:8
	v_mov_b32_e32 v7, 2
	s_waitcnt lgkmcnt(1)
	global_store_dwordx2 v1, v[4:5], s[70:71] offset:1024
	s_waitcnt lgkmcnt(0)
	global_store_byte v1, v6, s[70:71] offset:1032
	s_waitcnt vmcnt(0)
	buffer_wbinvl1_vol
	global_store_byte v1, v7, s[72:73] offset:64
.LBB66_216:
	s_or_b64 exec, exec, s[2:3]
	v_pk_mov_b32 v[122:123], v[2:3], v[2:3] op_sel:[0,1]
.LBB66_217:
	s_load_dwordx2 s[2:3], s[4:5], 0x18
	v_lshlrev_b32_e32 v46, 3, v0
	s_waitcnt lgkmcnt(0)
	s_add_u32 s2, s2, s90
	s_addc_u32 s3, s3, s91
	s_and_b64 vcc, exec, s[0:1]
	s_cbranch_vccz .LBB66_259
; %bb.218:
	s_movk_i32 s0, 0xa8
	v_mul_i32_i24_e32 v50, 0xffffff60, v0
	v_mul_u32_u24_e32 v47, 0xa8, v0
	v_mad_u32_u24 v2, v0, s0, v50
	s_waitcnt lgkmcnt(0)
	; wave barrier
	ds_write2_b64 v47, v[122:123], v[82:83] offset1:1
	ds_write2_b64 v47, v[84:85], v[44:45] offset0:2 offset1:3
	ds_write2_b64 v47, v[88:89], v[48:49] offset0:4 offset1:5
	;; [unrolled: 1-line block ×9, first 2 shown]
	ds_write_b64 v47, v[120:121] offset:160
	s_waitcnt lgkmcnt(0)
	; wave barrier
	s_waitcnt lgkmcnt(0)
	ds_read2st64_b64 v[38:41], v2 offset0:1 offset1:2
	ds_read2st64_b64 v[34:37], v2 offset0:3 offset1:4
	;; [unrolled: 1-line block ×10, first 2 shown]
	v_mov_b32_e32 v43, s3
	v_add_co_u32_e32 v42, vcc, s2, v46
	s_add_i32 s33, s33, s74
	v_addc_co_u32_e32 v43, vcc, 0, v43, vcc
	v_mov_b32_e32 v1, 0
	v_cmp_gt_u32_e32 vcc, s33, v0
	s_and_saveexec_b64 s[0:1], vcc
	s_cbranch_execz .LBB66_220
; %bb.219:
	v_add_u32_e32 v47, v47, v50
	ds_read_b64 v[50:51], v47
	s_waitcnt lgkmcnt(0)
	global_store_dwordx2 v[42:43], v[50:51], off
.LBB66_220:
	s_or_b64 exec, exec, s[0:1]
	v_or_b32_e32 v47, 64, v0
	v_cmp_gt_u32_e32 vcc, s33, v47
	s_and_saveexec_b64 s[0:1], vcc
	s_cbranch_execz .LBB66_222
; %bb.221:
	s_waitcnt lgkmcnt(9)
	global_store_dwordx2 v[42:43], v[38:39], off offset:512
.LBB66_222:
	s_or_b64 exec, exec, s[0:1]
	s_waitcnt lgkmcnt(9)
	v_or_b32_e32 v38, 0x80, v0
	v_cmp_gt_u32_e32 vcc, s33, v38
	s_and_saveexec_b64 s[0:1], vcc
	s_cbranch_execz .LBB66_224
; %bb.223:
	global_store_dwordx2 v[42:43], v[40:41], off offset:1024
.LBB66_224:
	s_or_b64 exec, exec, s[0:1]
	v_or_b32_e32 v38, 0xc0, v0
	v_cmp_gt_u32_e32 vcc, s33, v38
	s_and_saveexec_b64 s[0:1], vcc
	s_cbranch_execz .LBB66_226
; %bb.225:
	s_waitcnt lgkmcnt(8)
	global_store_dwordx2 v[42:43], v[34:35], off offset:1536
.LBB66_226:
	s_or_b64 exec, exec, s[0:1]
	s_waitcnt lgkmcnt(8)
	v_or_b32_e32 v34, 0x100, v0
	v_cmp_gt_u32_e32 vcc, s33, v34
	s_and_saveexec_b64 s[0:1], vcc
	s_cbranch_execz .LBB66_228
; %bb.227:
	global_store_dwordx2 v[42:43], v[36:37], off offset:2048
.LBB66_228:
	;; [unrolled: 18-line block ×3, first 2 shown]
	s_or_b64 exec, exec, s[0:1]
	v_or_b32_e32 v30, 0x1c0, v0
	v_cmp_gt_u32_e32 vcc, s33, v30
	s_and_saveexec_b64 s[0:1], vcc
	s_cbranch_execz .LBB66_234
; %bb.233:
	s_waitcnt lgkmcnt(6)
	global_store_dwordx2 v[42:43], v[26:27], off offset:3584
.LBB66_234:
	s_or_b64 exec, exec, s[0:1]
	s_waitcnt lgkmcnt(6)
	v_or_b32_e32 v26, 0x200, v0
	v_cmp_gt_u32_e32 vcc, s33, v26
	s_and_saveexec_b64 s[0:1], vcc
	s_cbranch_execz .LBB66_236
; %bb.235:
	v_add_co_u32_e32 v26, vcc, 0x1000, v42
	v_addc_co_u32_e32 v27, vcc, 0, v43, vcc
	global_store_dwordx2 v[26:27], v[28:29], off
.LBB66_236:
	s_or_b64 exec, exec, s[0:1]
	v_or_b32_e32 v26, 0x240, v0
	v_cmp_gt_u32_e32 vcc, s33, v26
	s_and_saveexec_b64 s[0:1], vcc
	s_cbranch_execz .LBB66_238
; %bb.237:
	v_add_co_u32_e32 v26, vcc, 0x1000, v42
	v_addc_co_u32_e32 v27, vcc, 0, v43, vcc
	s_waitcnt lgkmcnt(5)
	global_store_dwordx2 v[26:27], v[22:23], off offset:512
.LBB66_238:
	s_or_b64 exec, exec, s[0:1]
	s_waitcnt lgkmcnt(5)
	v_or_b32_e32 v22, 0x280, v0
	v_cmp_gt_u32_e32 vcc, s33, v22
	s_and_saveexec_b64 s[0:1], vcc
	s_cbranch_execz .LBB66_240
; %bb.239:
	v_add_co_u32_e32 v22, vcc, 0x1000, v42
	v_addc_co_u32_e32 v23, vcc, 0, v43, vcc
	global_store_dwordx2 v[22:23], v[24:25], off offset:1024
.LBB66_240:
	s_or_b64 exec, exec, s[0:1]
	v_or_b32_e32 v22, 0x2c0, v0
	v_cmp_gt_u32_e32 vcc, s33, v22
	s_and_saveexec_b64 s[0:1], vcc
	s_cbranch_execz .LBB66_242
; %bb.241:
	v_add_co_u32_e32 v22, vcc, 0x1000, v42
	v_addc_co_u32_e32 v23, vcc, 0, v43, vcc
	s_waitcnt lgkmcnt(4)
	global_store_dwordx2 v[22:23], v[18:19], off offset:1536
.LBB66_242:
	s_or_b64 exec, exec, s[0:1]
	s_waitcnt lgkmcnt(4)
	v_or_b32_e32 v18, 0x300, v0
	v_cmp_gt_u32_e32 vcc, s33, v18
	s_and_saveexec_b64 s[0:1], vcc
	s_cbranch_execz .LBB66_244
; %bb.243:
	v_add_co_u32_e32 v18, vcc, 0x1000, v42
	v_addc_co_u32_e32 v19, vcc, 0, v43, vcc
	global_store_dwordx2 v[18:19], v[20:21], off offset:2048
.LBB66_244:
	;; [unrolled: 22-line block ×3, first 2 shown]
	s_or_b64 exec, exec, s[0:1]
	v_or_b32_e32 v14, 0x3c0, v0
	v_cmp_gt_u32_e32 vcc, s33, v14
	s_and_saveexec_b64 s[0:1], vcc
	s_cbranch_execz .LBB66_250
; %bb.249:
	v_add_co_u32_e32 v14, vcc, 0x1000, v42
	v_addc_co_u32_e32 v15, vcc, 0, v43, vcc
	s_waitcnt lgkmcnt(2)
	global_store_dwordx2 v[14:15], v[10:11], off offset:3584
.LBB66_250:
	s_or_b64 exec, exec, s[0:1]
	s_waitcnt lgkmcnt(2)
	v_or_b32_e32 v10, 0x400, v0
	v_cmp_gt_u32_e32 vcc, s33, v10
	s_and_saveexec_b64 s[0:1], vcc
	s_cbranch_execz .LBB66_252
; %bb.251:
	v_add_co_u32_e32 v10, vcc, 0x2000, v42
	v_addc_co_u32_e32 v11, vcc, 0, v43, vcc
	global_store_dwordx2 v[10:11], v[12:13], off
.LBB66_252:
	s_or_b64 exec, exec, s[0:1]
	v_or_b32_e32 v10, 0x440, v0
	v_cmp_gt_u32_e32 vcc, s33, v10
	s_and_saveexec_b64 s[0:1], vcc
	s_cbranch_execz .LBB66_254
; %bb.253:
	v_add_co_u32_e32 v10, vcc, 0x2000, v42
	v_addc_co_u32_e32 v11, vcc, 0, v43, vcc
	s_waitcnt lgkmcnt(1)
	global_store_dwordx2 v[10:11], v[6:7], off offset:512
.LBB66_254:
	s_or_b64 exec, exec, s[0:1]
	s_waitcnt lgkmcnt(1)
	v_or_b32_e32 v6, 0x480, v0
	v_cmp_gt_u32_e32 vcc, s33, v6
	s_and_saveexec_b64 s[0:1], vcc
	s_cbranch_execz .LBB66_256
; %bb.255:
	v_add_co_u32_e32 v6, vcc, 0x2000, v42
	v_addc_co_u32_e32 v7, vcc, 0, v43, vcc
	global_store_dwordx2 v[6:7], v[8:9], off offset:1024
.LBB66_256:
	s_or_b64 exec, exec, s[0:1]
	v_or_b32_e32 v6, 0x4c0, v0
	v_cmp_gt_u32_e32 vcc, s33, v6
	s_and_saveexec_b64 s[0:1], vcc
	s_cbranch_execz .LBB66_258
; %bb.257:
	v_add_co_u32_e32 v6, vcc, 0x2000, v42
	v_addc_co_u32_e32 v7, vcc, 0, v43, vcc
	s_waitcnt lgkmcnt(0)
	global_store_dwordx2 v[6:7], v[2:3], off offset:1536
.LBB66_258:
	s_or_b64 exec, exec, s[0:1]
	s_waitcnt lgkmcnt(0)
	v_or_b32_e32 v2, 0x500, v0
	v_cmp_gt_u32_e64 s[0:1], s33, v2
	s_branch .LBB66_261
.LBB66_259:
	s_mov_b64 s[0:1], 0
                                        ; implicit-def: $vgpr4_vgpr5
	s_cbranch_execz .LBB66_261
; %bb.260:
	s_movk_i32 s4, 0xa8
	v_mul_i32_i24_e32 v2, 0xffffff60, v0
	v_mul_u32_u24_e32 v1, 0xa8, v0
	v_mad_u32_u24 v2, v0, s4, v2
	s_waitcnt lgkmcnt(0)
	; wave barrier
	ds_write2_b64 v1, v[122:123], v[82:83] offset1:1
	ds_write2_b64 v1, v[84:85], v[44:45] offset0:2 offset1:3
	ds_write2_b64 v1, v[88:89], v[48:49] offset0:4 offset1:5
	;; [unrolled: 1-line block ×9, first 2 shown]
	ds_write_b64 v1, v[120:121] offset:160
	s_waitcnt lgkmcnt(0)
	; wave barrier
	s_waitcnt lgkmcnt(0)
	ds_read2st64_b64 v[6:9], v2 offset1:1
	ds_read2st64_b64 v[10:13], v2 offset0:2 offset1:3
	ds_read2st64_b64 v[14:17], v2 offset0:4 offset1:5
	;; [unrolled: 1-line block ×9, first 2 shown]
	ds_read_b64 v[4:5], v2 offset:10240
	v_mov_b32_e32 v2, s3
	v_add_co_u32_e32 v47, vcc, s2, v46
	v_addc_co_u32_e32 v48, vcc, 0, v2, vcc
	s_movk_i32 s4, 0x1000
	v_add_co_u32_e32 v2, vcc, s4, v47
	v_addc_co_u32_e32 v3, vcc, 0, v48, vcc
	s_waitcnt lgkmcnt(10)
	global_store_dwordx2 v46, v[6:7], s[2:3]
	global_store_dwordx2 v46, v[8:9], s[2:3] offset:512
	s_waitcnt lgkmcnt(9)
	global_store_dwordx2 v46, v[10:11], s[2:3] offset:1024
	global_store_dwordx2 v46, v[12:13], s[2:3] offset:1536
	s_waitcnt lgkmcnt(8)
	global_store_dwordx2 v46, v[14:15], s[2:3] offset:2048
	;; [unrolled: 3-line block ×3, first 2 shown]
	global_store_dwordx2 v46, v[20:21], s[2:3] offset:3584
	s_waitcnt lgkmcnt(6)
	global_store_dwordx2 v[2:3], v[22:23], off
	global_store_dwordx2 v[2:3], v[24:25], off offset:512
	s_waitcnt lgkmcnt(5)
	global_store_dwordx2 v[2:3], v[26:27], off offset:1024
	global_store_dwordx2 v[2:3], v[28:29], off offset:1536
	s_waitcnt lgkmcnt(4)
	global_store_dwordx2 v[2:3], v[30:31], off offset:2048
	;; [unrolled: 3-line block ×3, first 2 shown]
	global_store_dwordx2 v[2:3], v[36:37], off offset:3584
	v_add_co_u32_e32 v2, vcc, 0x2000, v47
	v_mov_b32_e32 v1, 0
	v_addc_co_u32_e32 v3, vcc, 0, v48, vcc
	s_or_b64 s[0:1], s[0:1], exec
	s_waitcnt lgkmcnt(2)
	global_store_dwordx2 v[2:3], v[38:39], off
	global_store_dwordx2 v[2:3], v[40:41], off offset:512
	s_waitcnt lgkmcnt(1)
	global_store_dwordx2 v[2:3], v[42:43], off offset:1024
	global_store_dwordx2 v[2:3], v[44:45], off offset:1536
.LBB66_261:
	s_and_saveexec_b64 s[4:5], s[0:1]
	s_cbranch_execz .LBB66_263
; %bb.262:
	v_lshlrev_b64 v[0:1], 3, v[0:1]
	v_mov_b32_e32 v2, s3
	v_add_co_u32_e32 v0, vcc, s2, v0
	v_addc_co_u32_e32 v1, vcc, v2, v1, vcc
	v_add_co_u32_e32 v0, vcc, 0x2000, v0
	v_addc_co_u32_e32 v1, vcc, 0, v1, vcc
	s_waitcnt lgkmcnt(0)
	global_store_dwordx2 v[0:1], v[4:5], off offset:2048
	s_endpgm
.LBB66_263:
	s_endpgm
	.section	.rodata,"a",@progbits
	.p2align	6, 0x0
	.amdhsa_kernel _ZN7rocprim6detail25device_scan_by_key_kernelILNS0_25lookback_scan_determinismE0ELb0ENS0_26wrapped_scan_by_key_configINS_14default_configEimEEPiN6hipcub22TransformInputIteratorImNS7_6CastOpImEEPmlEESB_mNS7_8EqualityENS7_3SumENS0_19lookback_scan_stateINS_5tupleIJmbEEELb0ELb0EEEmEEvT2_T3_T4_T5_T6_T7_T8_mmmPKNSG_IJT9_bEEE
		.amdhsa_group_segment_fixed_size 10752
		.amdhsa_private_segment_fixed_size 0
		.amdhsa_kernarg_size 104
		.amdhsa_user_sgpr_count 6
		.amdhsa_user_sgpr_private_segment_buffer 1
		.amdhsa_user_sgpr_dispatch_ptr 0
		.amdhsa_user_sgpr_queue_ptr 0
		.amdhsa_user_sgpr_kernarg_segment_ptr 1
		.amdhsa_user_sgpr_dispatch_id 0
		.amdhsa_user_sgpr_flat_scratch_init 0
		.amdhsa_user_sgpr_kernarg_preload_length 0
		.amdhsa_user_sgpr_kernarg_preload_offset 0
		.amdhsa_user_sgpr_private_segment_size 0
		.amdhsa_uses_dynamic_stack 0
		.amdhsa_system_sgpr_private_segment_wavefront_offset 0
		.amdhsa_system_sgpr_workgroup_id_x 1
		.amdhsa_system_sgpr_workgroup_id_y 0
		.amdhsa_system_sgpr_workgroup_id_z 0
		.amdhsa_system_sgpr_workgroup_info 0
		.amdhsa_system_vgpr_workitem_id 0
		.amdhsa_next_free_vgpr 133
		.amdhsa_next_free_sgpr 94
		.amdhsa_accum_offset 136
		.amdhsa_reserve_vcc 1
		.amdhsa_reserve_flat_scratch 0
		.amdhsa_float_round_mode_32 0
		.amdhsa_float_round_mode_16_64 0
		.amdhsa_float_denorm_mode_32 3
		.amdhsa_float_denorm_mode_16_64 3
		.amdhsa_dx10_clamp 1
		.amdhsa_ieee_mode 1
		.amdhsa_fp16_overflow 0
		.amdhsa_tg_split 0
		.amdhsa_exception_fp_ieee_invalid_op 0
		.amdhsa_exception_fp_denorm_src 0
		.amdhsa_exception_fp_ieee_div_zero 0
		.amdhsa_exception_fp_ieee_overflow 0
		.amdhsa_exception_fp_ieee_underflow 0
		.amdhsa_exception_fp_ieee_inexact 0
		.amdhsa_exception_int_div_zero 0
	.end_amdhsa_kernel
	.section	.text._ZN7rocprim6detail25device_scan_by_key_kernelILNS0_25lookback_scan_determinismE0ELb0ENS0_26wrapped_scan_by_key_configINS_14default_configEimEEPiN6hipcub22TransformInputIteratorImNS7_6CastOpImEEPmlEESB_mNS7_8EqualityENS7_3SumENS0_19lookback_scan_stateINS_5tupleIJmbEEELb0ELb0EEEmEEvT2_T3_T4_T5_T6_T7_T8_mmmPKNSG_IJT9_bEEE,"axG",@progbits,_ZN7rocprim6detail25device_scan_by_key_kernelILNS0_25lookback_scan_determinismE0ELb0ENS0_26wrapped_scan_by_key_configINS_14default_configEimEEPiN6hipcub22TransformInputIteratorImNS7_6CastOpImEEPmlEESB_mNS7_8EqualityENS7_3SumENS0_19lookback_scan_stateINS_5tupleIJmbEEELb0ELb0EEEmEEvT2_T3_T4_T5_T6_T7_T8_mmmPKNSG_IJT9_bEEE,comdat
.Lfunc_end66:
	.size	_ZN7rocprim6detail25device_scan_by_key_kernelILNS0_25lookback_scan_determinismE0ELb0ENS0_26wrapped_scan_by_key_configINS_14default_configEimEEPiN6hipcub22TransformInputIteratorImNS7_6CastOpImEEPmlEESB_mNS7_8EqualityENS7_3SumENS0_19lookback_scan_stateINS_5tupleIJmbEEELb0ELb0EEEmEEvT2_T3_T4_T5_T6_T7_T8_mmmPKNSG_IJT9_bEEE, .Lfunc_end66-_ZN7rocprim6detail25device_scan_by_key_kernelILNS0_25lookback_scan_determinismE0ELb0ENS0_26wrapped_scan_by_key_configINS_14default_configEimEEPiN6hipcub22TransformInputIteratorImNS7_6CastOpImEEPmlEESB_mNS7_8EqualityENS7_3SumENS0_19lookback_scan_stateINS_5tupleIJmbEEELb0ELb0EEEmEEvT2_T3_T4_T5_T6_T7_T8_mmmPKNSG_IJT9_bEEE
                                        ; -- End function
	.section	.AMDGPU.csdata,"",@progbits
; Kernel info:
; codeLenInByte = 16756
; NumSgprs: 98
; NumVgprs: 133
; NumAgprs: 0
; TotalNumVgprs: 133
; ScratchSize: 0
; MemoryBound: 0
; FloatMode: 240
; IeeeMode: 1
; LDSByteSize: 10752 bytes/workgroup (compile time only)
; SGPRBlocks: 12
; VGPRBlocks: 16
; NumSGPRsForWavesPerEU: 98
; NumVGPRsForWavesPerEU: 133
; AccumOffset: 136
; Occupancy: 2
; WaveLimiterHint : 1
; COMPUTE_PGM_RSRC2:SCRATCH_EN: 0
; COMPUTE_PGM_RSRC2:USER_SGPR: 6
; COMPUTE_PGM_RSRC2:TRAP_HANDLER: 0
; COMPUTE_PGM_RSRC2:TGID_X_EN: 1
; COMPUTE_PGM_RSRC2:TGID_Y_EN: 0
; COMPUTE_PGM_RSRC2:TGID_Z_EN: 0
; COMPUTE_PGM_RSRC2:TIDIG_COMP_CNT: 0
; COMPUTE_PGM_RSRC3_GFX90A:ACCUM_OFFSET: 33
; COMPUTE_PGM_RSRC3_GFX90A:TG_SPLIT: 0
	.section	.text._ZN7rocprim6detail31init_lookback_scan_state_kernelINS0_19lookback_scan_stateINS_5tupleIJybEEELb1ELb0EEEEEvT_jjPNS6_10value_typeE,"axG",@progbits,_ZN7rocprim6detail31init_lookback_scan_state_kernelINS0_19lookback_scan_stateINS_5tupleIJybEEELb1ELb0EEEEEvT_jjPNS6_10value_typeE,comdat
	.protected	_ZN7rocprim6detail31init_lookback_scan_state_kernelINS0_19lookback_scan_stateINS_5tupleIJybEEELb1ELb0EEEEEvT_jjPNS6_10value_typeE ; -- Begin function _ZN7rocprim6detail31init_lookback_scan_state_kernelINS0_19lookback_scan_stateINS_5tupleIJybEEELb1ELb0EEEEEvT_jjPNS6_10value_typeE
	.globl	_ZN7rocprim6detail31init_lookback_scan_state_kernelINS0_19lookback_scan_stateINS_5tupleIJybEEELb1ELb0EEEEEvT_jjPNS6_10value_typeE
	.p2align	8
	.type	_ZN7rocprim6detail31init_lookback_scan_state_kernelINS0_19lookback_scan_stateINS_5tupleIJybEEELb1ELb0EEEEEvT_jjPNS6_10value_typeE,@function
_ZN7rocprim6detail31init_lookback_scan_state_kernelINS0_19lookback_scan_stateINS_5tupleIJybEEELb1ELb0EEEEEvT_jjPNS6_10value_typeE: ; @_ZN7rocprim6detail31init_lookback_scan_state_kernelINS0_19lookback_scan_stateINS_5tupleIJybEEELb1ELb0EEEEEvT_jjPNS6_10value_typeE
; %bb.0:
	s_load_dword s7, s[4:5], 0x34
	s_load_dwordx2 s[8:9], s[4:5], 0x20
	s_load_dwordx4 s[0:3], s[4:5], 0x10
	s_waitcnt lgkmcnt(0)
	s_and_b32 s7, s7, 0xffff
	s_mul_i32 s6, s6, s7
	s_cmp_eq_u64 s[8:9], 0
	v_add_u32_e32 v0, s6, v0
	s_cbranch_scc1 .LBB67_11
; %bb.1:
	s_cmp_lt_u32 s3, s2
	s_cselect_b32 s6, s3, 0
	s_mov_b32 s13, 0
	v_cmp_eq_u32_e32 vcc, s6, v0
	s_and_saveexec_b64 s[10:11], vcc
	s_cbranch_execz .LBB67_10
; %bb.2:
	s_add_i32 s12, s3, 64
	v_mov_b32_e32 v1, s12
	global_load_ubyte v1, v1, s[0:1] glc
	s_load_dwordx4 s[4:7], s[4:5], 0x0
	s_add_u32 s14, s0, s12
	s_addc_u32 s15, s1, 0
	s_waitcnt vmcnt(0)
	v_cmp_ne_u16_e32 vcc, 0, v1
	v_readfirstlane_b32 s3, v1
	s_cbranch_vccz .LBB67_4
; %bb.3:
	s_and_b32 s3, 0xffff, s3
	s_branch .LBB67_9
.LBB67_4:
	s_mov_b32 s3, 1
	v_mov_b32_e32 v1, 0
.LBB67_5:                               ; =>This Loop Header: Depth=1
                                        ;     Child Loop BB67_6 Depth 2
	s_max_u32 s16, s3, 1
.LBB67_6:                               ;   Parent Loop BB67_5 Depth=1
                                        ; =>  This Inner Loop Header: Depth=2
	s_add_i32 s16, s16, -1
	s_cmp_eq_u32 s16, 0
	s_sleep 1
	s_cbranch_scc0 .LBB67_6
; %bb.7:                                ;   in Loop: Header=BB67_5 Depth=1
	global_load_ubyte v2, v1, s[14:15] glc
	s_cmp_lt_u32 s3, 32
	s_cselect_b64 s[16:17], -1, 0
	s_cmp_lg_u64 s[16:17], 0
	s_addc_u32 s3, s3, 0
	s_waitcnt vmcnt(0)
	v_cmp_ne_u16_e32 vcc, 0, v2
	v_readfirstlane_b32 s16, v2
	s_cbranch_vccz .LBB67_5
; %bb.8:
	s_and_b32 s3, 0xffff, s16
.LBB67_9:
	s_cmp_eq_u32 s3, 1
	s_waitcnt lgkmcnt(0)
	s_cselect_b32 s3, s5, s7
	s_cselect_b32 s6, s4, s6
	s_lshl_b64 s[4:5], s[12:13], 4
	s_add_u32 s4, s6, s4
	s_addc_u32 s5, s3, s5
	v_mov_b32_e32 v1, 0
	buffer_wbinvl1_vol
	global_load_dwordx2 v[2:3], v1, s[4:5]
	global_load_ubyte v4, v1, s[4:5] offset:8
	s_waitcnt vmcnt(1)
	global_store_dwordx2 v1, v[2:3], s[8:9]
	s_waitcnt vmcnt(1)
	global_store_byte v1, v4, s[8:9] offset:8
.LBB67_10:
	s_or_b64 exec, exec, s[10:11]
.LBB67_11:
	v_cmp_gt_u32_e32 vcc, s2, v0
	s_and_saveexec_b64 s[2:3], vcc
	s_cbranch_execnz .LBB67_14
; %bb.12:
	s_or_b64 exec, exec, s[2:3]
	v_cmp_gt_u32_e32 vcc, 64, v0
	s_and_saveexec_b64 s[2:3], vcc
	s_cbranch_execnz .LBB67_15
.LBB67_13:
	s_endpgm
.LBB67_14:
	v_add_u32_e32 v1, 64, v0
	v_mov_b32_e32 v2, 0
	global_store_byte v1, v2, s[0:1]
	s_or_b64 exec, exec, s[2:3]
	v_cmp_gt_u32_e32 vcc, 64, v0
	s_and_saveexec_b64 s[2:3], vcc
	s_cbranch_execz .LBB67_13
.LBB67_15:
	v_mov_b32_e32 v1, 0xff
	global_store_byte v0, v1, s[0:1]
	s_endpgm
	.section	.rodata,"a",@progbits
	.p2align	6, 0x0
	.amdhsa_kernel _ZN7rocprim6detail31init_lookback_scan_state_kernelINS0_19lookback_scan_stateINS_5tupleIJybEEELb1ELb0EEEEEvT_jjPNS6_10value_typeE
		.amdhsa_group_segment_fixed_size 0
		.amdhsa_private_segment_fixed_size 0
		.amdhsa_kernarg_size 296
		.amdhsa_user_sgpr_count 6
		.amdhsa_user_sgpr_private_segment_buffer 1
		.amdhsa_user_sgpr_dispatch_ptr 0
		.amdhsa_user_sgpr_queue_ptr 0
		.amdhsa_user_sgpr_kernarg_segment_ptr 1
		.amdhsa_user_sgpr_dispatch_id 0
		.amdhsa_user_sgpr_flat_scratch_init 0
		.amdhsa_user_sgpr_kernarg_preload_length 0
		.amdhsa_user_sgpr_kernarg_preload_offset 0
		.amdhsa_user_sgpr_private_segment_size 0
		.amdhsa_uses_dynamic_stack 0
		.amdhsa_system_sgpr_private_segment_wavefront_offset 0
		.amdhsa_system_sgpr_workgroup_id_x 1
		.amdhsa_system_sgpr_workgroup_id_y 0
		.amdhsa_system_sgpr_workgroup_id_z 0
		.amdhsa_system_sgpr_workgroup_info 0
		.amdhsa_system_vgpr_workitem_id 0
		.amdhsa_next_free_vgpr 5
		.amdhsa_next_free_sgpr 18
		.amdhsa_accum_offset 8
		.amdhsa_reserve_vcc 1
		.amdhsa_reserve_flat_scratch 0
		.amdhsa_float_round_mode_32 0
		.amdhsa_float_round_mode_16_64 0
		.amdhsa_float_denorm_mode_32 3
		.amdhsa_float_denorm_mode_16_64 3
		.amdhsa_dx10_clamp 1
		.amdhsa_ieee_mode 1
		.amdhsa_fp16_overflow 0
		.amdhsa_tg_split 0
		.amdhsa_exception_fp_ieee_invalid_op 0
		.amdhsa_exception_fp_denorm_src 0
		.amdhsa_exception_fp_ieee_div_zero 0
		.amdhsa_exception_fp_ieee_overflow 0
		.amdhsa_exception_fp_ieee_underflow 0
		.amdhsa_exception_fp_ieee_inexact 0
		.amdhsa_exception_int_div_zero 0
	.end_amdhsa_kernel
	.section	.text._ZN7rocprim6detail31init_lookback_scan_state_kernelINS0_19lookback_scan_stateINS_5tupleIJybEEELb1ELb0EEEEEvT_jjPNS6_10value_typeE,"axG",@progbits,_ZN7rocprim6detail31init_lookback_scan_state_kernelINS0_19lookback_scan_stateINS_5tupleIJybEEELb1ELb0EEEEEvT_jjPNS6_10value_typeE,comdat
.Lfunc_end67:
	.size	_ZN7rocprim6detail31init_lookback_scan_state_kernelINS0_19lookback_scan_stateINS_5tupleIJybEEELb1ELb0EEEEEvT_jjPNS6_10value_typeE, .Lfunc_end67-_ZN7rocprim6detail31init_lookback_scan_state_kernelINS0_19lookback_scan_stateINS_5tupleIJybEEELb1ELb0EEEEEvT_jjPNS6_10value_typeE
                                        ; -- End function
	.section	.AMDGPU.csdata,"",@progbits
; Kernel info:
; codeLenInByte = 380
; NumSgprs: 22
; NumVgprs: 5
; NumAgprs: 0
; TotalNumVgprs: 5
; ScratchSize: 0
; MemoryBound: 0
; FloatMode: 240
; IeeeMode: 1
; LDSByteSize: 0 bytes/workgroup (compile time only)
; SGPRBlocks: 2
; VGPRBlocks: 0
; NumSGPRsForWavesPerEU: 22
; NumVGPRsForWavesPerEU: 5
; AccumOffset: 8
; Occupancy: 8
; WaveLimiterHint : 0
; COMPUTE_PGM_RSRC2:SCRATCH_EN: 0
; COMPUTE_PGM_RSRC2:USER_SGPR: 6
; COMPUTE_PGM_RSRC2:TRAP_HANDLER: 0
; COMPUTE_PGM_RSRC2:TGID_X_EN: 1
; COMPUTE_PGM_RSRC2:TGID_Y_EN: 0
; COMPUTE_PGM_RSRC2:TGID_Z_EN: 0
; COMPUTE_PGM_RSRC2:TIDIG_COMP_CNT: 0
; COMPUTE_PGM_RSRC3_GFX90A:ACCUM_OFFSET: 1
; COMPUTE_PGM_RSRC3_GFX90A:TG_SPLIT: 0
	.section	.text._ZN7rocprim6detail31init_lookback_scan_state_kernelINS0_19lookback_scan_stateINS_5tupleIJybEEELb0ELb0EEEEEvT_jjPNS6_10value_typeE,"axG",@progbits,_ZN7rocprim6detail31init_lookback_scan_state_kernelINS0_19lookback_scan_stateINS_5tupleIJybEEELb0ELb0EEEEEvT_jjPNS6_10value_typeE,comdat
	.protected	_ZN7rocprim6detail31init_lookback_scan_state_kernelINS0_19lookback_scan_stateINS_5tupleIJybEEELb0ELb0EEEEEvT_jjPNS6_10value_typeE ; -- Begin function _ZN7rocprim6detail31init_lookback_scan_state_kernelINS0_19lookback_scan_stateINS_5tupleIJybEEELb0ELb0EEEEEvT_jjPNS6_10value_typeE
	.globl	_ZN7rocprim6detail31init_lookback_scan_state_kernelINS0_19lookback_scan_stateINS_5tupleIJybEEELb0ELb0EEEEEvT_jjPNS6_10value_typeE
	.p2align	8
	.type	_ZN7rocprim6detail31init_lookback_scan_state_kernelINS0_19lookback_scan_stateINS_5tupleIJybEEELb0ELb0EEEEEvT_jjPNS6_10value_typeE,@function
_ZN7rocprim6detail31init_lookback_scan_state_kernelINS0_19lookback_scan_stateINS_5tupleIJybEEELb0ELb0EEEEEvT_jjPNS6_10value_typeE: ; @_ZN7rocprim6detail31init_lookback_scan_state_kernelINS0_19lookback_scan_stateINS_5tupleIJybEEELb0ELb0EEEEEvT_jjPNS6_10value_typeE
; %bb.0:
	s_load_dword s7, s[4:5], 0x34
	s_load_dwordx2 s[8:9], s[4:5], 0x20
	s_load_dwordx4 s[0:3], s[4:5], 0x10
	s_waitcnt lgkmcnt(0)
	s_and_b32 s7, s7, 0xffff
	s_mul_i32 s6, s6, s7
	s_cmp_eq_u64 s[8:9], 0
	v_add_u32_e32 v0, s6, v0
	s_cbranch_scc1 .LBB68_7
; %bb.1:
	s_cmp_lt_u32 s3, s2
	s_cselect_b32 s6, s3, 0
	s_mov_b32 s13, 0
	v_cmp_eq_u32_e32 vcc, s6, v0
	s_and_saveexec_b64 s[10:11], vcc
	s_cbranch_execz .LBB68_6
; %bb.2:
	s_add_i32 s12, s3, 64
	v_mov_b32_e32 v1, s12
	global_load_ubyte v1, v1, s[0:1] glc
	s_load_dwordx4 s[4:7], s[4:5], 0x0
	s_add_u32 s14, s0, s12
	s_addc_u32 s15, s1, 0
	s_waitcnt vmcnt(0)
	v_cmp_ne_u16_e32 vcc, 0, v1
	v_readfirstlane_b32 s3, v1
	s_cbranch_vccnz .LBB68_5
; %bb.3:
	v_mov_b32_e32 v1, 0
.LBB68_4:                               ; =>This Inner Loop Header: Depth=1
	global_load_ubyte v2, v1, s[14:15] glc
	s_waitcnt vmcnt(0)
	v_cmp_eq_u16_e32 vcc, 0, v2
	v_readfirstlane_b32 s3, v2
	s_cbranch_vccnz .LBB68_4
.LBB68_5:
	s_and_b32 s3, 0xffff, s3
	s_cmp_eq_u32 s3, 1
	s_waitcnt lgkmcnt(0)
	s_cselect_b32 s3, s5, s7
	s_cselect_b32 s6, s4, s6
	s_lshl_b64 s[4:5], s[12:13], 4
	s_add_u32 s4, s6, s4
	s_addc_u32 s5, s3, s5
	v_mov_b32_e32 v1, 0
	buffer_wbinvl1_vol
	global_load_dwordx2 v[2:3], v1, s[4:5]
	global_load_ubyte v4, v1, s[4:5] offset:8
	s_waitcnt vmcnt(1)
	global_store_dwordx2 v1, v[2:3], s[8:9]
	s_waitcnt vmcnt(1)
	global_store_byte v1, v4, s[8:9] offset:8
.LBB68_6:
	s_or_b64 exec, exec, s[10:11]
.LBB68_7:
	v_cmp_gt_u32_e32 vcc, s2, v0
	s_and_saveexec_b64 s[2:3], vcc
	s_cbranch_execnz .LBB68_10
; %bb.8:
	s_or_b64 exec, exec, s[2:3]
	v_cmp_gt_u32_e32 vcc, 64, v0
	s_and_saveexec_b64 s[2:3], vcc
	s_cbranch_execnz .LBB68_11
.LBB68_9:
	s_endpgm
.LBB68_10:
	v_add_u32_e32 v1, 64, v0
	v_mov_b32_e32 v2, 0
	global_store_byte v1, v2, s[0:1]
	s_or_b64 exec, exec, s[2:3]
	v_cmp_gt_u32_e32 vcc, 64, v0
	s_and_saveexec_b64 s[2:3], vcc
	s_cbranch_execz .LBB68_9
.LBB68_11:
	v_mov_b32_e32 v1, 0xff
	global_store_byte v0, v1, s[0:1]
	s_endpgm
	.section	.rodata,"a",@progbits
	.p2align	6, 0x0
	.amdhsa_kernel _ZN7rocprim6detail31init_lookback_scan_state_kernelINS0_19lookback_scan_stateINS_5tupleIJybEEELb0ELb0EEEEEvT_jjPNS6_10value_typeE
		.amdhsa_group_segment_fixed_size 0
		.amdhsa_private_segment_fixed_size 0
		.amdhsa_kernarg_size 296
		.amdhsa_user_sgpr_count 6
		.amdhsa_user_sgpr_private_segment_buffer 1
		.amdhsa_user_sgpr_dispatch_ptr 0
		.amdhsa_user_sgpr_queue_ptr 0
		.amdhsa_user_sgpr_kernarg_segment_ptr 1
		.amdhsa_user_sgpr_dispatch_id 0
		.amdhsa_user_sgpr_flat_scratch_init 0
		.amdhsa_user_sgpr_kernarg_preload_length 0
		.amdhsa_user_sgpr_kernarg_preload_offset 0
		.amdhsa_user_sgpr_private_segment_size 0
		.amdhsa_uses_dynamic_stack 0
		.amdhsa_system_sgpr_private_segment_wavefront_offset 0
		.amdhsa_system_sgpr_workgroup_id_x 1
		.amdhsa_system_sgpr_workgroup_id_y 0
		.amdhsa_system_sgpr_workgroup_id_z 0
		.amdhsa_system_sgpr_workgroup_info 0
		.amdhsa_system_vgpr_workitem_id 0
		.amdhsa_next_free_vgpr 5
		.amdhsa_next_free_sgpr 16
		.amdhsa_accum_offset 8
		.amdhsa_reserve_vcc 1
		.amdhsa_reserve_flat_scratch 0
		.amdhsa_float_round_mode_32 0
		.amdhsa_float_round_mode_16_64 0
		.amdhsa_float_denorm_mode_32 3
		.amdhsa_float_denorm_mode_16_64 3
		.amdhsa_dx10_clamp 1
		.amdhsa_ieee_mode 1
		.amdhsa_fp16_overflow 0
		.amdhsa_tg_split 0
		.amdhsa_exception_fp_ieee_invalid_op 0
		.amdhsa_exception_fp_denorm_src 0
		.amdhsa_exception_fp_ieee_div_zero 0
		.amdhsa_exception_fp_ieee_overflow 0
		.amdhsa_exception_fp_ieee_underflow 0
		.amdhsa_exception_fp_ieee_inexact 0
		.amdhsa_exception_int_div_zero 0
	.end_amdhsa_kernel
	.section	.text._ZN7rocprim6detail31init_lookback_scan_state_kernelINS0_19lookback_scan_stateINS_5tupleIJybEEELb0ELb0EEEEEvT_jjPNS6_10value_typeE,"axG",@progbits,_ZN7rocprim6detail31init_lookback_scan_state_kernelINS0_19lookback_scan_stateINS_5tupleIJybEEELb0ELb0EEEEEvT_jjPNS6_10value_typeE,comdat
.Lfunc_end68:
	.size	_ZN7rocprim6detail31init_lookback_scan_state_kernelINS0_19lookback_scan_stateINS_5tupleIJybEEELb0ELb0EEEEEvT_jjPNS6_10value_typeE, .Lfunc_end68-_ZN7rocprim6detail31init_lookback_scan_state_kernelINS0_19lookback_scan_stateINS_5tupleIJybEEELb0ELb0EEEEEvT_jjPNS6_10value_typeE
                                        ; -- End function
	.section	.AMDGPU.csdata,"",@progbits
; Kernel info:
; codeLenInByte = 328
; NumSgprs: 20
; NumVgprs: 5
; NumAgprs: 0
; TotalNumVgprs: 5
; ScratchSize: 0
; MemoryBound: 0
; FloatMode: 240
; IeeeMode: 1
; LDSByteSize: 0 bytes/workgroup (compile time only)
; SGPRBlocks: 2
; VGPRBlocks: 0
; NumSGPRsForWavesPerEU: 20
; NumVGPRsForWavesPerEU: 5
; AccumOffset: 8
; Occupancy: 8
; WaveLimiterHint : 0
; COMPUTE_PGM_RSRC2:SCRATCH_EN: 0
; COMPUTE_PGM_RSRC2:USER_SGPR: 6
; COMPUTE_PGM_RSRC2:TRAP_HANDLER: 0
; COMPUTE_PGM_RSRC2:TGID_X_EN: 1
; COMPUTE_PGM_RSRC2:TGID_Y_EN: 0
; COMPUTE_PGM_RSRC2:TGID_Z_EN: 0
; COMPUTE_PGM_RSRC2:TIDIG_COMP_CNT: 0
; COMPUTE_PGM_RSRC3_GFX90A:ACCUM_OFFSET: 1
; COMPUTE_PGM_RSRC3_GFX90A:TG_SPLIT: 0
	.section	.text._ZN7rocprim6detail25device_scan_by_key_kernelILNS0_25lookback_scan_determinismE0ELb0ENS0_26wrapped_scan_by_key_configINS_14default_configEiyEEPiN6hipcub22TransformInputIteratorIyNS7_6CastOpIyEEPylEESB_yNS7_8EqualityENS7_3SumENS0_19lookback_scan_stateINS_5tupleIJybEEELb1ELb0EEEyEEvT2_T3_T4_T5_T6_T7_T8_mmmPKNSG_IJT9_bEEE,"axG",@progbits,_ZN7rocprim6detail25device_scan_by_key_kernelILNS0_25lookback_scan_determinismE0ELb0ENS0_26wrapped_scan_by_key_configINS_14default_configEiyEEPiN6hipcub22TransformInputIteratorIyNS7_6CastOpIyEEPylEESB_yNS7_8EqualityENS7_3SumENS0_19lookback_scan_stateINS_5tupleIJybEEELb1ELb0EEEyEEvT2_T3_T4_T5_T6_T7_T8_mmmPKNSG_IJT9_bEEE,comdat
	.protected	_ZN7rocprim6detail25device_scan_by_key_kernelILNS0_25lookback_scan_determinismE0ELb0ENS0_26wrapped_scan_by_key_configINS_14default_configEiyEEPiN6hipcub22TransformInputIteratorIyNS7_6CastOpIyEEPylEESB_yNS7_8EqualityENS7_3SumENS0_19lookback_scan_stateINS_5tupleIJybEEELb1ELb0EEEyEEvT2_T3_T4_T5_T6_T7_T8_mmmPKNSG_IJT9_bEEE ; -- Begin function _ZN7rocprim6detail25device_scan_by_key_kernelILNS0_25lookback_scan_determinismE0ELb0ENS0_26wrapped_scan_by_key_configINS_14default_configEiyEEPiN6hipcub22TransformInputIteratorIyNS7_6CastOpIyEEPylEESB_yNS7_8EqualityENS7_3SumENS0_19lookback_scan_stateINS_5tupleIJybEEELb1ELb0EEEyEEvT2_T3_T4_T5_T6_T7_T8_mmmPKNSG_IJT9_bEEE
	.globl	_ZN7rocprim6detail25device_scan_by_key_kernelILNS0_25lookback_scan_determinismE0ELb0ENS0_26wrapped_scan_by_key_configINS_14default_configEiyEEPiN6hipcub22TransformInputIteratorIyNS7_6CastOpIyEEPylEESB_yNS7_8EqualityENS7_3SumENS0_19lookback_scan_stateINS_5tupleIJybEEELb1ELb0EEEyEEvT2_T3_T4_T5_T6_T7_T8_mmmPKNSG_IJT9_bEEE
	.p2align	8
	.type	_ZN7rocprim6detail25device_scan_by_key_kernelILNS0_25lookback_scan_determinismE0ELb0ENS0_26wrapped_scan_by_key_configINS_14default_configEiyEEPiN6hipcub22TransformInputIteratorIyNS7_6CastOpIyEEPylEESB_yNS7_8EqualityENS7_3SumENS0_19lookback_scan_stateINS_5tupleIJybEEELb1ELb0EEEyEEvT2_T3_T4_T5_T6_T7_T8_mmmPKNSG_IJT9_bEEE,@function
_ZN7rocprim6detail25device_scan_by_key_kernelILNS0_25lookback_scan_determinismE0ELb0ENS0_26wrapped_scan_by_key_configINS_14default_configEiyEEPiN6hipcub22TransformInputIteratorIyNS7_6CastOpIyEEPylEESB_yNS7_8EqualityENS7_3SumENS0_19lookback_scan_stateINS_5tupleIJybEEELb1ELb0EEEyEEvT2_T3_T4_T5_T6_T7_T8_mmmPKNSG_IJT9_bEEE: ; @_ZN7rocprim6detail25device_scan_by_key_kernelILNS0_25lookback_scan_determinismE0ELb0ENS0_26wrapped_scan_by_key_configINS_14default_configEiyEEPiN6hipcub22TransformInputIteratorIyNS7_6CastOpIyEEPylEESB_yNS7_8EqualityENS7_3SumENS0_19lookback_scan_stateINS_5tupleIJybEEELb1ELb0EEEyEEvT2_T3_T4_T5_T6_T7_T8_mmmPKNSG_IJT9_bEEE
; %bb.0:
	s_endpgm
	.section	.rodata,"a",@progbits
	.p2align	6, 0x0
	.amdhsa_kernel _ZN7rocprim6detail25device_scan_by_key_kernelILNS0_25lookback_scan_determinismE0ELb0ENS0_26wrapped_scan_by_key_configINS_14default_configEiyEEPiN6hipcub22TransformInputIteratorIyNS7_6CastOpIyEEPylEESB_yNS7_8EqualityENS7_3SumENS0_19lookback_scan_stateINS_5tupleIJybEEELb1ELb0EEEyEEvT2_T3_T4_T5_T6_T7_T8_mmmPKNSG_IJT9_bEEE
		.amdhsa_group_segment_fixed_size 0
		.amdhsa_private_segment_fixed_size 0
		.amdhsa_kernarg_size 104
		.amdhsa_user_sgpr_count 6
		.amdhsa_user_sgpr_private_segment_buffer 1
		.amdhsa_user_sgpr_dispatch_ptr 0
		.amdhsa_user_sgpr_queue_ptr 0
		.amdhsa_user_sgpr_kernarg_segment_ptr 1
		.amdhsa_user_sgpr_dispatch_id 0
		.amdhsa_user_sgpr_flat_scratch_init 0
		.amdhsa_user_sgpr_kernarg_preload_length 0
		.amdhsa_user_sgpr_kernarg_preload_offset 0
		.amdhsa_user_sgpr_private_segment_size 0
		.amdhsa_uses_dynamic_stack 0
		.amdhsa_system_sgpr_private_segment_wavefront_offset 0
		.amdhsa_system_sgpr_workgroup_id_x 1
		.amdhsa_system_sgpr_workgroup_id_y 0
		.amdhsa_system_sgpr_workgroup_id_z 0
		.amdhsa_system_sgpr_workgroup_info 0
		.amdhsa_system_vgpr_workitem_id 0
		.amdhsa_next_free_vgpr 1
		.amdhsa_next_free_sgpr 0
		.amdhsa_accum_offset 4
		.amdhsa_reserve_vcc 0
		.amdhsa_reserve_flat_scratch 0
		.amdhsa_float_round_mode_32 0
		.amdhsa_float_round_mode_16_64 0
		.amdhsa_float_denorm_mode_32 3
		.amdhsa_float_denorm_mode_16_64 3
		.amdhsa_dx10_clamp 1
		.amdhsa_ieee_mode 1
		.amdhsa_fp16_overflow 0
		.amdhsa_tg_split 0
		.amdhsa_exception_fp_ieee_invalid_op 0
		.amdhsa_exception_fp_denorm_src 0
		.amdhsa_exception_fp_ieee_div_zero 0
		.amdhsa_exception_fp_ieee_overflow 0
		.amdhsa_exception_fp_ieee_underflow 0
		.amdhsa_exception_fp_ieee_inexact 0
		.amdhsa_exception_int_div_zero 0
	.end_amdhsa_kernel
	.section	.text._ZN7rocprim6detail25device_scan_by_key_kernelILNS0_25lookback_scan_determinismE0ELb0ENS0_26wrapped_scan_by_key_configINS_14default_configEiyEEPiN6hipcub22TransformInputIteratorIyNS7_6CastOpIyEEPylEESB_yNS7_8EqualityENS7_3SumENS0_19lookback_scan_stateINS_5tupleIJybEEELb1ELb0EEEyEEvT2_T3_T4_T5_T6_T7_T8_mmmPKNSG_IJT9_bEEE,"axG",@progbits,_ZN7rocprim6detail25device_scan_by_key_kernelILNS0_25lookback_scan_determinismE0ELb0ENS0_26wrapped_scan_by_key_configINS_14default_configEiyEEPiN6hipcub22TransformInputIteratorIyNS7_6CastOpIyEEPylEESB_yNS7_8EqualityENS7_3SumENS0_19lookback_scan_stateINS_5tupleIJybEEELb1ELb0EEEyEEvT2_T3_T4_T5_T6_T7_T8_mmmPKNSG_IJT9_bEEE,comdat
.Lfunc_end69:
	.size	_ZN7rocprim6detail25device_scan_by_key_kernelILNS0_25lookback_scan_determinismE0ELb0ENS0_26wrapped_scan_by_key_configINS_14default_configEiyEEPiN6hipcub22TransformInputIteratorIyNS7_6CastOpIyEEPylEESB_yNS7_8EqualityENS7_3SumENS0_19lookback_scan_stateINS_5tupleIJybEEELb1ELb0EEEyEEvT2_T3_T4_T5_T6_T7_T8_mmmPKNSG_IJT9_bEEE, .Lfunc_end69-_ZN7rocprim6detail25device_scan_by_key_kernelILNS0_25lookback_scan_determinismE0ELb0ENS0_26wrapped_scan_by_key_configINS_14default_configEiyEEPiN6hipcub22TransformInputIteratorIyNS7_6CastOpIyEEPylEESB_yNS7_8EqualityENS7_3SumENS0_19lookback_scan_stateINS_5tupleIJybEEELb1ELb0EEEyEEvT2_T3_T4_T5_T6_T7_T8_mmmPKNSG_IJT9_bEEE
                                        ; -- End function
	.section	.AMDGPU.csdata,"",@progbits
; Kernel info:
; codeLenInByte = 4
; NumSgprs: 4
; NumVgprs: 0
; NumAgprs: 0
; TotalNumVgprs: 0
; ScratchSize: 0
; MemoryBound: 0
; FloatMode: 240
; IeeeMode: 1
; LDSByteSize: 0 bytes/workgroup (compile time only)
; SGPRBlocks: 0
; VGPRBlocks: 0
; NumSGPRsForWavesPerEU: 4
; NumVGPRsForWavesPerEU: 1
; AccumOffset: 4
; Occupancy: 8
; WaveLimiterHint : 0
; COMPUTE_PGM_RSRC2:SCRATCH_EN: 0
; COMPUTE_PGM_RSRC2:USER_SGPR: 6
; COMPUTE_PGM_RSRC2:TRAP_HANDLER: 0
; COMPUTE_PGM_RSRC2:TGID_X_EN: 1
; COMPUTE_PGM_RSRC2:TGID_Y_EN: 0
; COMPUTE_PGM_RSRC2:TGID_Z_EN: 0
; COMPUTE_PGM_RSRC2:TIDIG_COMP_CNT: 0
; COMPUTE_PGM_RSRC3_GFX90A:ACCUM_OFFSET: 0
; COMPUTE_PGM_RSRC3_GFX90A:TG_SPLIT: 0
	.section	.text._ZN7rocprim6detail25device_scan_by_key_kernelILNS0_25lookback_scan_determinismE0ELb0ENS0_26wrapped_scan_by_key_configINS_14default_configEiyEEPiN6hipcub22TransformInputIteratorIyNS7_6CastOpIyEEPylEESB_yNS7_8EqualityENS7_3SumENS0_19lookback_scan_stateINS_5tupleIJybEEELb0ELb0EEEyEEvT2_T3_T4_T5_T6_T7_T8_mmmPKNSG_IJT9_bEEE,"axG",@progbits,_ZN7rocprim6detail25device_scan_by_key_kernelILNS0_25lookback_scan_determinismE0ELb0ENS0_26wrapped_scan_by_key_configINS_14default_configEiyEEPiN6hipcub22TransformInputIteratorIyNS7_6CastOpIyEEPylEESB_yNS7_8EqualityENS7_3SumENS0_19lookback_scan_stateINS_5tupleIJybEEELb0ELb0EEEyEEvT2_T3_T4_T5_T6_T7_T8_mmmPKNSG_IJT9_bEEE,comdat
	.protected	_ZN7rocprim6detail25device_scan_by_key_kernelILNS0_25lookback_scan_determinismE0ELb0ENS0_26wrapped_scan_by_key_configINS_14default_configEiyEEPiN6hipcub22TransformInputIteratorIyNS7_6CastOpIyEEPylEESB_yNS7_8EqualityENS7_3SumENS0_19lookback_scan_stateINS_5tupleIJybEEELb0ELb0EEEyEEvT2_T3_T4_T5_T6_T7_T8_mmmPKNSG_IJT9_bEEE ; -- Begin function _ZN7rocprim6detail25device_scan_by_key_kernelILNS0_25lookback_scan_determinismE0ELb0ENS0_26wrapped_scan_by_key_configINS_14default_configEiyEEPiN6hipcub22TransformInputIteratorIyNS7_6CastOpIyEEPylEESB_yNS7_8EqualityENS7_3SumENS0_19lookback_scan_stateINS_5tupleIJybEEELb0ELb0EEEyEEvT2_T3_T4_T5_T6_T7_T8_mmmPKNSG_IJT9_bEEE
	.globl	_ZN7rocprim6detail25device_scan_by_key_kernelILNS0_25lookback_scan_determinismE0ELb0ENS0_26wrapped_scan_by_key_configINS_14default_configEiyEEPiN6hipcub22TransformInputIteratorIyNS7_6CastOpIyEEPylEESB_yNS7_8EqualityENS7_3SumENS0_19lookback_scan_stateINS_5tupleIJybEEELb0ELb0EEEyEEvT2_T3_T4_T5_T6_T7_T8_mmmPKNSG_IJT9_bEEE
	.p2align	8
	.type	_ZN7rocprim6detail25device_scan_by_key_kernelILNS0_25lookback_scan_determinismE0ELb0ENS0_26wrapped_scan_by_key_configINS_14default_configEiyEEPiN6hipcub22TransformInputIteratorIyNS7_6CastOpIyEEPylEESB_yNS7_8EqualityENS7_3SumENS0_19lookback_scan_stateINS_5tupleIJybEEELb0ELb0EEEyEEvT2_T3_T4_T5_T6_T7_T8_mmmPKNSG_IJT9_bEEE,@function
_ZN7rocprim6detail25device_scan_by_key_kernelILNS0_25lookback_scan_determinismE0ELb0ENS0_26wrapped_scan_by_key_configINS_14default_configEiyEEPiN6hipcub22TransformInputIteratorIyNS7_6CastOpIyEEPylEESB_yNS7_8EqualityENS7_3SumENS0_19lookback_scan_stateINS_5tupleIJybEEELb0ELb0EEEyEEvT2_T3_T4_T5_T6_T7_T8_mmmPKNSG_IJT9_bEEE: ; @_ZN7rocprim6detail25device_scan_by_key_kernelILNS0_25lookback_scan_determinismE0ELb0ENS0_26wrapped_scan_by_key_configINS_14default_configEiyEEPiN6hipcub22TransformInputIteratorIyNS7_6CastOpIyEEPylEESB_yNS7_8EqualityENS7_3SumENS0_19lookback_scan_stateINS_5tupleIJybEEELb0ELb0EEEyEEvT2_T3_T4_T5_T6_T7_T8_mmmPKNSG_IJT9_bEEE
; %bb.0:
	s_load_dwordx4 s[0:3], s[4:5], 0x0
	s_load_dwordx8 s[68:75], s[4:5], 0x30
	s_load_dwordx2 s[92:93], s[4:5], 0x60
	s_load_dwordx4 s[52:55], s[4:5], 0x50
	s_mul_i32 s8, s6, 0x540
	s_mov_b32 s9, 0
	s_lshl_b64 s[10:11], s[8:9], 2
	s_waitcnt lgkmcnt(0)
	s_add_u32 s56, s0, s10
	s_addc_u32 s57, s1, s11
	s_lshl_b64 s[90:91], s[8:9], 3
	s_add_u32 s50, s2, s90
	s_addc_u32 s51, s3, s91
	s_add_u32 s0, s6, s52
	s_addc_u32 s1, 0, s53
	s_add_u32 s2, s54, -1
	s_addc_u32 s3, s55, -1
	v_pk_mov_b32 v[2:3], s[2:3], s[2:3] op_sel:[0,1]
	v_cmp_ge_u64_e64 s[0:1], s[0:1], v[2:3]
	s_mov_b64 s[12:13], -1
	s_and_b64 vcc, exec, s[0:1]
	s_mul_i32 s33, s2, 0xfffffac0
	v_lshlrev_b32_e32 v82, 2, v0
	s_cbranch_vccz .LBB70_65
; %bb.1:
	s_load_dword s7, s[56:57], 0x0
	s_add_i32 s64, s33, s74
	v_mov_b32_e32 v1, s57
	v_add_co_u32_e32 v2, vcc, s56, v82
	v_addc_co_u32_e32 v3, vcc, 0, v1, vcc
	v_cmp_gt_u32_e64 s[2:3], s64, v0
	s_waitcnt lgkmcnt(0)
	v_mov_b32_e32 v1, s7
	s_and_saveexec_b64 s[8:9], s[2:3]
	s_cbranch_execz .LBB70_3
; %bb.2:
	global_load_dword v1, v[2:3], off
.LBB70_3:
	s_or_b64 exec, exec, s[8:9]
	v_or_b32_e32 v4, 64, v0
	v_cmp_gt_u32_e64 s[8:9], s64, v4
	v_mov_b32_e32 v4, s7
	s_and_saveexec_b64 s[10:11], s[8:9]
	s_cbranch_execz .LBB70_5
; %bb.4:
	global_load_dword v4, v[2:3], off offset:256
.LBB70_5:
	s_or_b64 exec, exec, s[10:11]
	v_or_b32_e32 v5, 0x80, v0
	v_cmp_gt_u32_e64 s[14:15], s64, v5
	v_mov_b32_e32 v5, s7
	s_and_saveexec_b64 s[10:11], s[14:15]
	s_cbranch_execz .LBB70_7
; %bb.6:
	global_load_dword v5, v[2:3], off offset:512
.LBB70_7:
	;; [unrolled: 9-line block ×15, first 2 shown]
	s_or_b64 exec, exec, s[12:13]
	v_or_b32_e32 v19, 0x400, v0
	v_cmp_gt_u32_e64 s[48:49], s64, v19
	v_mov_b32_e32 v19, s7
	s_and_saveexec_b64 s[12:13], s[48:49]
	s_cbranch_execz .LBB70_35
; %bb.34:
	v_add_co_u32_e32 v20, vcc, 0x1000, v2
	v_addc_co_u32_e32 v21, vcc, 0, v3, vcc
	global_load_dword v19, v[20:21], off
.LBB70_35:
	s_or_b64 exec, exec, s[12:13]
	v_or_b32_e32 v20, 0x440, v0
	v_cmp_gt_u32_e64 s[12:13], s64, v20
	v_mov_b32_e32 v20, s7
	s_and_saveexec_b64 s[18:19], s[12:13]
	s_cbranch_execz .LBB70_37
; %bb.36:
	v_add_co_u32_e32 v20, vcc, 0x1000, v2
	v_addc_co_u32_e32 v21, vcc, 0, v3, vcc
	global_load_dword v20, v[20:21], off offset:256
.LBB70_37:
	s_or_b64 exec, exec, s[18:19]
	v_or_b32_e32 v21, 0x480, v0
	v_cmp_gt_u32_e64 s[18:19], s64, v21
	v_mov_b32_e32 v21, s7
	s_and_saveexec_b64 s[24:25], s[18:19]
	s_cbranch_execz .LBB70_39
; %bb.38:
	v_add_co_u32_e32 v22, vcc, 0x1000, v2
	v_addc_co_u32_e32 v23, vcc, 0, v3, vcc
	global_load_dword v21, v[22:23], off offset:512
.LBB70_39:
	;; [unrolled: 11-line block ×4, first 2 shown]
	s_or_b64 exec, exec, s[54:55]
	s_sub_u32 s54, 0, s6
	s_subb_u32 s55, 0, 0
	s_cmp_eq_u64 s[54:55], s[52:53]
	s_movk_i32 s7, 0x50
	s_cselect_b32 s54, 0, -4
	v_mad_u32_u24 v2, v0, s7, v82
	s_cselect_b32 s7, 0, -1
	s_add_u32 s54, s56, s54
	s_addc_u32 s55, s57, s7
	s_waitcnt vmcnt(0)
	ds_write2st64_b32 v82, v1, v4 offset1:1
	ds_write2st64_b32 v82, v5, v6 offset0:2 offset1:3
	ds_write2st64_b32 v82, v7, v8 offset0:4 offset1:5
	;; [unrolled: 1-line block ×9, first 2 shown]
	ds_write_b32 v82, v23 offset:5120
	s_waitcnt lgkmcnt(0)
	; wave barrier
	s_waitcnt lgkmcnt(0)
	s_load_dword s7, s[54:55], 0x0
	ds_read2_b32 v[32:33], v2 offset0:4 offset1:9
	s_movk_i32 s54, 0xffb0
	v_mad_i32_i24 v1, v0, s54, v2
	v_cmp_ne_u32_e32 vcc, 0, v0
	s_waitcnt lgkmcnt(0)
	v_mov_b32_e32 v68, s7
	ds_read2_b32 v[4:5], v2 offset0:19 offset1:20
	ds_read2_b32 v[8:9], v2 offset0:17 offset1:18
	;; [unrolled: 1-line block ×3, first 2 shown]
	ds_read_b32 v72, v2 offset:56
	ds_read2_b32 v[16:17], v2 offset0:12 offset1:13
	ds_read2_b32 v[24:25], v2 offset0:10 offset1:11
	;; [unrolled: 1-line block ×5, first 2 shown]
	ds_read2_b32 v[36:37], v2 offset1:1
	s_waitcnt lgkmcnt(9)
	ds_write_b32 v1, v5 offset:5376
	s_waitcnt lgkmcnt(0)
	; wave barrier
	s_waitcnt lgkmcnt(0)
	s_and_saveexec_b64 s[54:55], vcc
	s_cbranch_execz .LBB70_45
; %bb.44:
	ds_read_b32 v68, v1 offset:5372
.LBB70_45:
	s_or_b64 exec, exec, s[54:55]
	v_lshlrev_b32_e32 v2, 3, v0
	v_mov_b32_e32 v3, s51
	v_add_co_u32_e32 v6, vcc, s50, v2
	v_addc_co_u32_e32 v7, vcc, 0, v3, vcc
	s_waitcnt lgkmcnt(0)
	; wave barrier
	s_waitcnt lgkmcnt(0)
                                        ; implicit-def: $vgpr2_vgpr3
	s_and_saveexec_b64 s[54:55], s[2:3]
	s_cbranch_execz .LBB70_66
; %bb.46:
	global_load_dwordx2 v[2:3], v[6:7], off
	s_or_b64 exec, exec, s[54:55]
                                        ; implicit-def: $vgpr10_vgpr11
	s_and_saveexec_b64 s[2:3], s[8:9]
	s_cbranch_execnz .LBB70_67
.LBB70_47:
	s_or_b64 exec, exec, s[2:3]
                                        ; implicit-def: $vgpr14_vgpr15
	s_and_saveexec_b64 s[2:3], s[14:15]
	s_cbranch_execz .LBB70_68
.LBB70_48:
	global_load_dwordx2 v[14:15], v[6:7], off offset:1024
	s_or_b64 exec, exec, s[2:3]
                                        ; implicit-def: $vgpr18_vgpr19
	s_and_saveexec_b64 s[2:3], s[20:21]
	s_cbranch_execnz .LBB70_69
.LBB70_49:
	s_or_b64 exec, exec, s[2:3]
                                        ; implicit-def: $vgpr20_vgpr21
	s_and_saveexec_b64 s[2:3], s[28:29]
	s_cbranch_execz .LBB70_70
.LBB70_50:
	global_load_dwordx2 v[20:21], v[6:7], off offset:2048
	s_or_b64 exec, exec, s[2:3]
                                        ; implicit-def: $vgpr22_vgpr23
	s_and_saveexec_b64 s[2:3], s[34:35]
	s_cbranch_execnz .LBB70_71
.LBB70_51:
	s_or_b64 exec, exec, s[2:3]
                                        ; implicit-def: $vgpr26_vgpr27
	s_and_saveexec_b64 s[2:3], s[38:39]
	s_cbranch_execz .LBB70_72
.LBB70_52:
	global_load_dwordx2 v[26:27], v[6:7], off offset:3072
	s_or_b64 exec, exec, s[2:3]
                                        ; implicit-def: $vgpr30_vgpr31
	s_and_saveexec_b64 s[2:3], s[42:43]
	s_cbranch_execnz .LBB70_73
.LBB70_53:
	s_or_b64 exec, exec, s[2:3]
                                        ; implicit-def: $vgpr34_vgpr35
	s_and_saveexec_b64 s[2:3], s[46:47]
	s_cbranch_execz .LBB70_74
.LBB70_54:
	v_add_co_u32_e32 v34, vcc, 0x1000, v6
	v_addc_co_u32_e32 v35, vcc, 0, v7, vcc
	global_load_dwordx2 v[34:35], v[34:35], off
	s_or_b64 exec, exec, s[2:3]
                                        ; implicit-def: $vgpr38_vgpr39
	s_and_saveexec_b64 s[2:3], s[44:45]
	s_cbranch_execnz .LBB70_75
.LBB70_55:
	s_or_b64 exec, exec, s[2:3]
                                        ; implicit-def: $vgpr42_vgpr43
	s_and_saveexec_b64 s[2:3], s[40:41]
	s_cbranch_execz .LBB70_76
.LBB70_56:
	v_add_co_u32_e32 v42, vcc, 0x1000, v6
	v_addc_co_u32_e32 v43, vcc, 0, v7, vcc
	global_load_dwordx2 v[42:43], v[42:43], off offset:1024
	s_or_b64 exec, exec, s[2:3]
                                        ; implicit-def: $vgpr46_vgpr47
	s_and_saveexec_b64 s[2:3], s[36:37]
	s_cbranch_execnz .LBB70_77
.LBB70_57:
	s_or_b64 exec, exec, s[2:3]
                                        ; implicit-def: $vgpr48_vgpr49
	s_and_saveexec_b64 s[2:3], s[30:31]
	s_cbranch_execz .LBB70_78
.LBB70_58:
	v_add_co_u32_e32 v48, vcc, 0x1000, v6
	v_addc_co_u32_e32 v49, vcc, 0, v7, vcc
	global_load_dwordx2 v[48:49], v[48:49], off offset:2048
	s_or_b64 exec, exec, s[2:3]
                                        ; implicit-def: $vgpr50_vgpr51
	s_and_saveexec_b64 s[2:3], s[22:23]
	s_cbranch_execnz .LBB70_79
.LBB70_59:
	s_or_b64 exec, exec, s[2:3]
                                        ; implicit-def: $vgpr52_vgpr53
	s_and_saveexec_b64 s[2:3], s[16:17]
	s_cbranch_execz .LBB70_80
.LBB70_60:
	v_add_co_u32_e32 v52, vcc, 0x1000, v6
	v_addc_co_u32_e32 v53, vcc, 0, v7, vcc
	global_load_dwordx2 v[52:53], v[52:53], off offset:3072
	s_or_b64 exec, exec, s[2:3]
                                        ; implicit-def: $vgpr54_vgpr55
	s_and_saveexec_b64 s[2:3], s[10:11]
	s_cbranch_execnz .LBB70_81
.LBB70_61:
	s_or_b64 exec, exec, s[2:3]
                                        ; implicit-def: $vgpr56_vgpr57
	s_and_saveexec_b64 s[2:3], s[48:49]
	s_cbranch_execz .LBB70_82
.LBB70_62:
	v_add_co_u32_e32 v56, vcc, 0x2000, v6
	v_addc_co_u32_e32 v57, vcc, 0, v7, vcc
	global_load_dwordx2 v[56:57], v[56:57], off
	s_or_b64 exec, exec, s[2:3]
                                        ; implicit-def: $vgpr58_vgpr59
	s_and_saveexec_b64 s[2:3], s[12:13]
	s_cbranch_execnz .LBB70_83
.LBB70_63:
	s_or_b64 exec, exec, s[2:3]
                                        ; implicit-def: $vgpr60_vgpr61
	s_and_saveexec_b64 s[2:3], s[18:19]
	s_cbranch_execz .LBB70_84
.LBB70_64:
	v_add_co_u32_e32 v60, vcc, 0x2000, v6
	v_addc_co_u32_e32 v61, vcc, 0, v7, vcc
	global_load_dwordx2 v[60:61], v[60:61], off offset:1024
	s_or_b64 exec, exec, s[2:3]
                                        ; implicit-def: $vgpr62_vgpr63
	s_and_saveexec_b64 s[2:3], s[24:25]
	s_cbranch_execz .LBB70_86
	s_branch .LBB70_85
.LBB70_65:
	s_mov_b64 s[10:11], 0
                                        ; implicit-def: $sgpr8_sgpr9
                                        ; implicit-def: $vgpr84
                                        ; implicit-def: $vgpr83
                                        ; implicit-def: $vgpr85
                                        ; implicit-def: $vgpr86
                                        ; implicit-def: $vgpr12_vgpr13
                                        ; implicit-def: $vgpr2_vgpr3
                                        ; implicit-def: $vgpr72_vgpr73
                                        ; implicit-def: $vgpr64_vgpr65
                                        ; implicit-def: $vgpr124
                                        ; implicit-def: $vgpr56_vgpr57
                                        ; implicit-def: $vgpr48_vgpr49
                                        ; implicit-def: $vgpr40_vgpr41
                                        ; implicit-def: $vgpr126
                                        ; implicit-def: $vgpr32_vgpr33
                                        ; implicit-def: $vgpr24_vgpr25
                                        ; implicit-def: $vgpr125
                                        ; implicit-def: $vgpr16_vgpr17
                                        ; implicit-def: $vgpr8_vgpr9
                                        ; implicit-def: $vgpr1
                                        ; implicit-def: $vgpr130
                                        ; implicit-def: $vgpr129
                                        ; implicit-def: $vgpr128
                                        ; implicit-def: $vgpr127
                                        ; implicit-def: $sgpr7
                                        ; implicit-def: $sgpr14_sgpr15
                                        ; implicit-def: $vgpr78_vgpr79
                                        ; implicit-def: $vgpr74_vgpr75
                                        ; implicit-def: $vgpr66_vgpr67
                                        ; implicit-def: $vgpr58_vgpr59
                                        ; implicit-def: $vgpr50_vgpr51
                                        ; implicit-def: $vgpr42_vgpr43
                                        ; implicit-def: $vgpr34_vgpr35
                                        ; implicit-def: $vgpr26_vgpr27
                                        ; implicit-def: $vgpr18_vgpr19
	s_and_b64 vcc, exec, s[12:13]
	v_cmp_ne_u32_e64 s[2:3], 0, v0
	s_cbranch_vccz .LBB70_132
	s_branch .LBB70_129
.LBB70_66:
	s_or_b64 exec, exec, s[54:55]
                                        ; implicit-def: $vgpr10_vgpr11
	s_and_saveexec_b64 s[2:3], s[8:9]
	s_cbranch_execz .LBB70_47
.LBB70_67:
	global_load_dwordx2 v[10:11], v[6:7], off offset:512
	s_or_b64 exec, exec, s[2:3]
                                        ; implicit-def: $vgpr14_vgpr15
	s_and_saveexec_b64 s[2:3], s[14:15]
	s_cbranch_execnz .LBB70_48
.LBB70_68:
	s_or_b64 exec, exec, s[2:3]
                                        ; implicit-def: $vgpr18_vgpr19
	s_and_saveexec_b64 s[2:3], s[20:21]
	s_cbranch_execz .LBB70_49
.LBB70_69:
	global_load_dwordx2 v[18:19], v[6:7], off offset:1536
	s_or_b64 exec, exec, s[2:3]
                                        ; implicit-def: $vgpr20_vgpr21
	s_and_saveexec_b64 s[2:3], s[28:29]
	s_cbranch_execnz .LBB70_50
.LBB70_70:
	s_or_b64 exec, exec, s[2:3]
                                        ; implicit-def: $vgpr22_vgpr23
	s_and_saveexec_b64 s[2:3], s[34:35]
	s_cbranch_execz .LBB70_51
.LBB70_71:
	global_load_dwordx2 v[22:23], v[6:7], off offset:2560
	s_or_b64 exec, exec, s[2:3]
                                        ; implicit-def: $vgpr26_vgpr27
	s_and_saveexec_b64 s[2:3], s[38:39]
	s_cbranch_execnz .LBB70_52
.LBB70_72:
	s_or_b64 exec, exec, s[2:3]
                                        ; implicit-def: $vgpr30_vgpr31
	s_and_saveexec_b64 s[2:3], s[42:43]
	s_cbranch_execz .LBB70_53
.LBB70_73:
	global_load_dwordx2 v[30:31], v[6:7], off offset:3584
	s_or_b64 exec, exec, s[2:3]
                                        ; implicit-def: $vgpr34_vgpr35
	s_and_saveexec_b64 s[2:3], s[46:47]
	s_cbranch_execnz .LBB70_54
.LBB70_74:
	s_or_b64 exec, exec, s[2:3]
                                        ; implicit-def: $vgpr38_vgpr39
	s_and_saveexec_b64 s[2:3], s[44:45]
	s_cbranch_execz .LBB70_55
.LBB70_75:
	v_add_co_u32_e32 v38, vcc, 0x1000, v6
	v_addc_co_u32_e32 v39, vcc, 0, v7, vcc
	global_load_dwordx2 v[38:39], v[38:39], off offset:512
	s_or_b64 exec, exec, s[2:3]
                                        ; implicit-def: $vgpr42_vgpr43
	s_and_saveexec_b64 s[2:3], s[40:41]
	s_cbranch_execnz .LBB70_56
.LBB70_76:
	s_or_b64 exec, exec, s[2:3]
                                        ; implicit-def: $vgpr46_vgpr47
	s_and_saveexec_b64 s[2:3], s[36:37]
	s_cbranch_execz .LBB70_57
.LBB70_77:
	v_add_co_u32_e32 v46, vcc, 0x1000, v6
	v_addc_co_u32_e32 v47, vcc, 0, v7, vcc
	global_load_dwordx2 v[46:47], v[46:47], off offset:1536
	s_or_b64 exec, exec, s[2:3]
                                        ; implicit-def: $vgpr48_vgpr49
	s_and_saveexec_b64 s[2:3], s[30:31]
	s_cbranch_execnz .LBB70_58
.LBB70_78:
	s_or_b64 exec, exec, s[2:3]
                                        ; implicit-def: $vgpr50_vgpr51
	s_and_saveexec_b64 s[2:3], s[22:23]
	s_cbranch_execz .LBB70_59
.LBB70_79:
	v_add_co_u32_e32 v50, vcc, 0x1000, v6
	v_addc_co_u32_e32 v51, vcc, 0, v7, vcc
	global_load_dwordx2 v[50:51], v[50:51], off offset:2560
	s_or_b64 exec, exec, s[2:3]
                                        ; implicit-def: $vgpr52_vgpr53
	s_and_saveexec_b64 s[2:3], s[16:17]
	s_cbranch_execnz .LBB70_60
.LBB70_80:
	s_or_b64 exec, exec, s[2:3]
                                        ; implicit-def: $vgpr54_vgpr55
	s_and_saveexec_b64 s[2:3], s[10:11]
	s_cbranch_execz .LBB70_61
.LBB70_81:
	v_add_co_u32_e32 v54, vcc, 0x1000, v6
	v_addc_co_u32_e32 v55, vcc, 0, v7, vcc
	global_load_dwordx2 v[54:55], v[54:55], off offset:3584
	s_or_b64 exec, exec, s[2:3]
                                        ; implicit-def: $vgpr56_vgpr57
	s_and_saveexec_b64 s[2:3], s[48:49]
	s_cbranch_execnz .LBB70_62
.LBB70_82:
	s_or_b64 exec, exec, s[2:3]
                                        ; implicit-def: $vgpr58_vgpr59
	s_and_saveexec_b64 s[2:3], s[12:13]
	s_cbranch_execz .LBB70_63
.LBB70_83:
	v_add_co_u32_e32 v58, vcc, 0x2000, v6
	v_addc_co_u32_e32 v59, vcc, 0, v7, vcc
	global_load_dwordx2 v[58:59], v[58:59], off offset:512
	s_or_b64 exec, exec, s[2:3]
                                        ; implicit-def: $vgpr60_vgpr61
	s_and_saveexec_b64 s[2:3], s[18:19]
	s_cbranch_execnz .LBB70_64
.LBB70_84:
	s_or_b64 exec, exec, s[2:3]
                                        ; implicit-def: $vgpr62_vgpr63
	s_and_saveexec_b64 s[2:3], s[24:25]
	s_cbranch_execz .LBB70_86
.LBB70_85:
	v_add_co_u32_e32 v62, vcc, 0x2000, v6
	v_addc_co_u32_e32 v63, vcc, 0, v7, vcc
	global_load_dwordx2 v[62:63], v[62:63], off offset:1536
.LBB70_86:
	s_or_b64 exec, exec, s[2:3]
	v_mul_u32_u24_e32 v73, 21, v0
                                        ; implicit-def: $vgpr64_vgpr65
	s_and_saveexec_b64 s[2:3], s[26:27]
	s_cbranch_execz .LBB70_88
; %bb.87:
	v_add_co_u32_e32 v6, vcc, 0x2000, v6
	v_addc_co_u32_e32 v7, vcc, 0, v7, vcc
	global_load_dwordx2 v[64:65], v[6:7], off offset:2048
.LBB70_88:
	s_or_b64 exec, exec, s[2:3]
	v_lshl_add_u32 v69, v0, 2, v1
	s_waitcnt vmcnt(0)
	ds_write2st64_b64 v69, v[2:3], v[10:11] offset1:1
	ds_write2st64_b64 v69, v[14:15], v[18:19] offset0:2 offset1:3
	ds_write2st64_b64 v69, v[20:21], v[22:23] offset0:4 offset1:5
	;; [unrolled: 1-line block ×9, first 2 shown]
	ds_write_b64 v69, v[64:65] offset:10240
	v_pk_mov_b32 v[2:3], 0, 0
	v_cmp_gt_u32_e32 vcc, s64, v73
	s_mov_b64 s[10:11], 0
	s_mov_b64 s[12:13], 0
	s_mov_b32 s7, 0
	v_mov_b32_e32 v130, 0
	v_mov_b32_e32 v124, 0
	;; [unrolled: 1-line block ×5, first 2 shown]
	v_pk_mov_b32 v[10:11], v[2:3], v[2:3] op_sel:[0,1]
	v_pk_mov_b32 v[70:71], v[2:3], v[2:3] op_sel:[0,1]
	v_pk_mov_b32 v[78:79], v[2:3], v[2:3] op_sel:[0,1]
	v_pk_mov_b32 v[62:63], v[2:3], v[2:3] op_sel:[0,1]
	v_pk_mov_b32 v[74:75], v[2:3], v[2:3] op_sel:[0,1]
	v_pk_mov_b32 v[54:55], v[2:3], v[2:3] op_sel:[0,1]
	v_pk_mov_b32 v[66:67], v[2:3], v[2:3] op_sel:[0,1]
	v_pk_mov_b32 v[46:47], v[2:3], v[2:3] op_sel:[0,1]
	v_pk_mov_b32 v[58:59], v[2:3], v[2:3] op_sel:[0,1]
	v_mov_b32_e32 v126, 0
	v_pk_mov_b32 v[38:39], v[2:3], v[2:3] op_sel:[0,1]
	v_pk_mov_b32 v[50:51], v[2:3], v[2:3] op_sel:[0,1]
	v_pk_mov_b32 v[30:31], v[2:3], v[2:3] op_sel:[0,1]
	v_pk_mov_b32 v[42:43], v[2:3], v[2:3] op_sel:[0,1]
	v_pk_mov_b32 v[22:23], v[2:3], v[2:3] op_sel:[0,1]
	v_mov_b32_e32 v125, 0
	v_pk_mov_b32 v[34:35], v[2:3], v[2:3] op_sel:[0,1]
	v_pk_mov_b32 v[14:15], v[2:3], v[2:3] op_sel:[0,1]
	;; [unrolled: 1-line block ×5, first 2 shown]
	v_mov_b32_e32 v1, 0
	s_waitcnt lgkmcnt(0)
	; wave barrier
	s_waitcnt lgkmcnt(0)
                                        ; implicit-def: $sgpr8_sgpr9
                                        ; implicit-def: $vgpr84
                                        ; implicit-def: $vgpr83
                                        ; implicit-def: $vgpr85
                                        ; implicit-def: $vgpr86
	s_and_saveexec_b64 s[14:15], vcc
	s_cbranch_execz .LBB70_128
; %bb.89:
	s_movk_i32 s2, 0xa0
	v_mad_u32_u24 v2, v0, s2, v69
	ds_read_b64 v[2:3], v2
	s_waitcnt lgkmcnt(12)
	v_cmp_ne_u32_e32 vcc, v68, v36
	v_add_u32_e32 v6, 1, v73
	v_pk_mov_b32 v[10:11], 0, 0
	v_cndmask_b32_e64 v1, 0, 1, vcc
	v_cmp_gt_u32_e32 vcc, s64, v6
	s_mov_b64 s[2:3], 0
	s_mov_b64 s[20:21], 0
	v_mov_b32_e32 v130, 0
	v_mov_b32_e32 v124, 0
	;; [unrolled: 1-line block ×5, first 2 shown]
	v_pk_mov_b32 v[70:71], v[10:11], v[10:11] op_sel:[0,1]
	v_pk_mov_b32 v[78:79], v[10:11], v[10:11] op_sel:[0,1]
	;; [unrolled: 1-line block ×8, first 2 shown]
	v_mov_b32_e32 v126, 0
	v_pk_mov_b32 v[38:39], v[10:11], v[10:11] op_sel:[0,1]
	v_pk_mov_b32 v[50:51], v[10:11], v[10:11] op_sel:[0,1]
	;; [unrolled: 1-line block ×5, first 2 shown]
	v_mov_b32_e32 v125, 0
	v_pk_mov_b32 v[34:35], v[10:11], v[10:11] op_sel:[0,1]
	v_pk_mov_b32 v[14:15], v[10:11], v[10:11] op_sel:[0,1]
	;; [unrolled: 1-line block ×5, first 2 shown]
                                        ; implicit-def: $sgpr8_sgpr9
                                        ; implicit-def: $vgpr84
                                        ; implicit-def: $vgpr83
                                        ; implicit-def: $vgpr85
                                        ; implicit-def: $vgpr86
	s_and_saveexec_b64 s[16:17], vcc
	s_cbranch_execz .LBB70_127
; %bb.90:
	v_mul_u32_u24_e32 v6, 0xa0, v0
	v_add_u32_e32 v48, v69, v6
	ds_read2_b64 v[18:21], v48 offset0:1 offset1:2
	v_add_u32_e32 v6, 2, v73
	v_cmp_ne_u32_e64 s[10:11], v36, v37
	v_pk_mov_b32 v[10:11], 0, 0
	v_cmp_ne_u32_e32 vcc, v28, v29
	v_cmp_ne_u32_e64 s[2:3], v29, v32
	v_cmp_ne_u32_e64 s[8:9], v37, v28
	v_cndmask_b32_e64 v130, 0, 1, s[10:11]
	v_cmp_gt_u32_e64 s[10:11], s64, v6
	s_mov_b64 s[22:23], 0
	v_mov_b32_e32 v129, 0
	v_mov_b32_e32 v124, 0
	;; [unrolled: 1-line block ×4, first 2 shown]
	v_pk_mov_b32 v[70:71], v[10:11], v[10:11] op_sel:[0,1]
	v_pk_mov_b32 v[78:79], v[10:11], v[10:11] op_sel:[0,1]
	;; [unrolled: 1-line block ×8, first 2 shown]
	v_mov_b32_e32 v126, 0
	v_pk_mov_b32 v[38:39], v[10:11], v[10:11] op_sel:[0,1]
	v_pk_mov_b32 v[50:51], v[10:11], v[10:11] op_sel:[0,1]
	;; [unrolled: 1-line block ×5, first 2 shown]
	v_mov_b32_e32 v125, 0
	v_pk_mov_b32 v[34:35], v[10:11], v[10:11] op_sel:[0,1]
	v_pk_mov_b32 v[14:15], v[10:11], v[10:11] op_sel:[0,1]
	;; [unrolled: 1-line block ×4, first 2 shown]
                                        ; implicit-def: $sgpr24_sgpr25
                                        ; implicit-def: $vgpr84
                                        ; implicit-def: $vgpr83
                                        ; implicit-def: $vgpr85
                                        ; implicit-def: $vgpr86
	s_and_saveexec_b64 s[18:19], s[10:11]
	s_cbranch_execz .LBB70_126
; %bb.91:
	v_cndmask_b32_e64 v6, 0, 1, s[8:9]
	v_cndmask_b32_e64 v7, 0, 1, s[2:3]
	v_lshlrev_b16_e32 v6, 8, v6
	v_lshlrev_b16_e32 v7, 8, v7
	v_cndmask_b32_e64 v10, 0, 1, vcc
	v_or_b32_e32 v6, v130, v6
	v_or_b32_sdwa v7, v10, v7 dst_sel:WORD_1 dst_unused:UNUSED_PAD src0_sel:DWORD src1_sel:DWORD
	v_add_u32_e32 v10, 3, v73
	v_or_b32_sdwa v84, v6, v7 dst_sel:DWORD dst_unused:UNUSED_PAD src0_sel:WORD_0 src1_sel:DWORD
	v_cmp_gt_u32_e32 vcc, s64, v10
	v_pk_mov_b32 v[10:11], 0, 0
	v_and_b32_e32 v130, 0xffff, v84
	s_waitcnt lgkmcnt(0)
	v_mov_b32_e32 v6, v20
	v_mov_b32_e32 v7, v21
	s_mov_b64 s[2:3], 0
	v_mov_b32_e32 v129, 0
	v_mov_b32_e32 v124, 0
	;; [unrolled: 1-line block ×4, first 2 shown]
	v_pk_mov_b32 v[70:71], v[10:11], v[10:11] op_sel:[0,1]
	v_pk_mov_b32 v[78:79], v[10:11], v[10:11] op_sel:[0,1]
	;; [unrolled: 1-line block ×8, first 2 shown]
	v_mov_b32_e32 v126, 0
	v_pk_mov_b32 v[38:39], v[10:11], v[10:11] op_sel:[0,1]
	v_pk_mov_b32 v[50:51], v[10:11], v[10:11] op_sel:[0,1]
	v_pk_mov_b32 v[30:31], v[10:11], v[10:11] op_sel:[0,1]
	v_pk_mov_b32 v[42:43], v[10:11], v[10:11] op_sel:[0,1]
	v_pk_mov_b32 v[22:23], v[10:11], v[10:11] op_sel:[0,1]
	v_mov_b32_e32 v125, 0
	v_pk_mov_b32 v[34:35], v[10:11], v[10:11] op_sel:[0,1]
	v_pk_mov_b32 v[14:15], v[10:11], v[10:11] op_sel:[0,1]
	;; [unrolled: 1-line block ×3, first 2 shown]
                                        ; implicit-def: $sgpr8_sgpr9
                                        ; implicit-def: $vgpr83
                                        ; implicit-def: $vgpr85
                                        ; implicit-def: $vgpr86
	s_and_saveexec_b64 s[20:21], vcc
	s_cbranch_execz .LBB70_125
; %bb.92:
	ds_read2_b64 v[26:29], v48 offset0:3 offset1:4
	v_add_u32_e32 v10, 4, v73
	v_cmp_gt_u32_e32 vcc, s64, v10
	v_pk_mov_b32 v[10:11], 0, 0
	v_and_b32_e32 v130, 0xffffff, v84
	s_mov_b64 s[8:9], 0
	v_mov_b32_e32 v129, 0
	v_mov_b32_e32 v124, 0
	;; [unrolled: 1-line block ×4, first 2 shown]
	v_pk_mov_b32 v[70:71], v[10:11], v[10:11] op_sel:[0,1]
	v_pk_mov_b32 v[78:79], v[10:11], v[10:11] op_sel:[0,1]
	;; [unrolled: 1-line block ×8, first 2 shown]
	v_mov_b32_e32 v126, 0
	v_pk_mov_b32 v[38:39], v[10:11], v[10:11] op_sel:[0,1]
	v_pk_mov_b32 v[50:51], v[10:11], v[10:11] op_sel:[0,1]
	;; [unrolled: 1-line block ×5, first 2 shown]
	v_mov_b32_e32 v125, 0
	v_pk_mov_b32 v[34:35], v[10:11], v[10:11] op_sel:[0,1]
	v_pk_mov_b32 v[14:15], v[10:11], v[10:11] op_sel:[0,1]
                                        ; implicit-def: $sgpr10_sgpr11
                                        ; implicit-def: $vgpr83
                                        ; implicit-def: $vgpr85
                                        ; implicit-def: $vgpr86
	s_and_saveexec_b64 s[22:23], vcc
	s_cbranch_execz .LBB70_124
; %bb.93:
	v_add_u32_e32 v10, 5, v73
	v_cmp_gt_u32_e32 vcc, s64, v10
	v_pk_mov_b32 v[10:11], 0, 0
	s_waitcnt lgkmcnt(0)
	v_mov_b32_e32 v14, v28
	v_mov_b32_e32 v15, v29
	;; [unrolled: 1-line block ×6, first 2 shown]
	v_pk_mov_b32 v[70:71], v[10:11], v[10:11] op_sel:[0,1]
	v_pk_mov_b32 v[78:79], v[10:11], v[10:11] op_sel:[0,1]
	;; [unrolled: 1-line block ×8, first 2 shown]
	v_mov_b32_e32 v126, 0
	v_pk_mov_b32 v[38:39], v[10:11], v[10:11] op_sel:[0,1]
	v_pk_mov_b32 v[50:51], v[10:11], v[10:11] op_sel:[0,1]
	;; [unrolled: 1-line block ×5, first 2 shown]
	v_mov_b32_e32 v125, 0
	v_pk_mov_b32 v[34:35], v[10:11], v[10:11] op_sel:[0,1]
                                        ; implicit-def: $sgpr10_sgpr11
                                        ; implicit-def: $vgpr83
                                        ; implicit-def: $vgpr85
                                        ; implicit-def: $vgpr86
	s_and_saveexec_b64 s[24:25], vcc
	s_cbranch_execz .LBB70_123
; %bb.94:
	ds_read2_b64 v[34:37], v48 offset0:5 offset1:6
	v_add_u32_e32 v10, 6, v73
	v_cmp_ne_u32_e32 vcc, v32, v44
	v_cndmask_b32_e64 v125, 0, 1, vcc
	v_cmp_gt_u32_e32 vcc, s64, v10
	v_pk_mov_b32 v[10:11], 0, 0
	s_mov_b64 s[30:31], 0
	v_mov_b32_e32 v129, 0
	v_mov_b32_e32 v124, 0
	;; [unrolled: 1-line block ×4, first 2 shown]
	v_pk_mov_b32 v[70:71], v[10:11], v[10:11] op_sel:[0,1]
	v_pk_mov_b32 v[78:79], v[10:11], v[10:11] op_sel:[0,1]
	v_pk_mov_b32 v[62:63], v[10:11], v[10:11] op_sel:[0,1]
	v_pk_mov_b32 v[74:75], v[10:11], v[10:11] op_sel:[0,1]
	v_pk_mov_b32 v[54:55], v[10:11], v[10:11] op_sel:[0,1]
	v_pk_mov_b32 v[66:67], v[10:11], v[10:11] op_sel:[0,1]
	v_pk_mov_b32 v[46:47], v[10:11], v[10:11] op_sel:[0,1]
	v_pk_mov_b32 v[58:59], v[10:11], v[10:11] op_sel:[0,1]
	v_mov_b32_e32 v126, 0
	v_pk_mov_b32 v[38:39], v[10:11], v[10:11] op_sel:[0,1]
	v_pk_mov_b32 v[50:51], v[10:11], v[10:11] op_sel:[0,1]
	;; [unrolled: 1-line block ×5, first 2 shown]
                                        ; implicit-def: $sgpr8_sgpr9
                                        ; implicit-def: $vgpr83
                                        ; implicit-def: $vgpr85
                                        ; implicit-def: $vgpr86
	s_and_saveexec_b64 s[26:27], vcc
	s_cbranch_execz .LBB70_122
; %bb.95:
	v_add_u32_e32 v10, 7, v73
	v_cmp_ne_u32_e64 s[10:11], v44, v45
	v_cndmask_b32_e64 v129, 0, 1, s[10:11]
	v_cmp_gt_u32_e64 s[10:11], s64, v10
	v_pk_mov_b32 v[10:11], 0, 0
	s_waitcnt lgkmcnt(0)
	v_mov_b32_e32 v22, v36
	v_mov_b32_e32 v23, v37
	v_cmp_ne_u32_e32 vcc, v40, v41
	v_cmp_ne_u32_e64 s[2:3], v41, v33
	v_cmp_ne_u32_e64 s[8:9], v45, v40
	s_mov_b64 s[34:35], 0
	v_mov_b32_e32 v128, 0
	v_mov_b32_e32 v124, 0
	;; [unrolled: 1-line block ×3, first 2 shown]
	v_pk_mov_b32 v[70:71], v[10:11], v[10:11] op_sel:[0,1]
	v_pk_mov_b32 v[78:79], v[10:11], v[10:11] op_sel:[0,1]
	;; [unrolled: 1-line block ×8, first 2 shown]
	v_mov_b32_e32 v126, 0
	v_pk_mov_b32 v[38:39], v[10:11], v[10:11] op_sel:[0,1]
	v_pk_mov_b32 v[50:51], v[10:11], v[10:11] op_sel:[0,1]
	v_pk_mov_b32 v[30:31], v[10:11], v[10:11] op_sel:[0,1]
	v_pk_mov_b32 v[42:43], v[10:11], v[10:11] op_sel:[0,1]
                                        ; implicit-def: $sgpr36_sgpr37
                                        ; implicit-def: $vgpr83
                                        ; implicit-def: $vgpr85
                                        ; implicit-def: $vgpr86
	s_and_saveexec_b64 s[28:29], s[10:11]
	s_cbranch_execz .LBB70_121
; %bb.96:
	v_cndmask_b32_e64 v10, 0, 1, s[8:9]
	v_cndmask_b32_e64 v11, 0, 1, s[2:3]
	v_lshlrev_b16_e32 v10, 8, v10
	v_lshlrev_b16_e32 v11, 8, v11
	v_cndmask_b32_e64 v20, 0, 1, vcc
	ds_read2_b64 v[42:45], v48 offset0:7 offset1:8
	v_or_b32_e32 v10, v129, v10
	v_or_b32_sdwa v11, v20, v11 dst_sel:WORD_1 dst_unused:UNUSED_PAD src0_sel:DWORD src1_sel:DWORD
	v_or_b32_sdwa v83, v10, v11 dst_sel:DWORD dst_unused:UNUSED_PAD src0_sel:WORD_0 src1_sel:DWORD
	v_add_u32_e32 v10, 8, v73
	v_cmp_gt_u32_e32 vcc, s64, v10
	v_pk_mov_b32 v[10:11], 0, 0
	v_and_b32_e32 v129, 0xffff, v83
	s_mov_b64 s[2:3], 0
	v_mov_b32_e32 v128, 0
	v_mov_b32_e32 v124, 0
	;; [unrolled: 1-line block ×3, first 2 shown]
	v_pk_mov_b32 v[70:71], v[10:11], v[10:11] op_sel:[0,1]
	v_pk_mov_b32 v[78:79], v[10:11], v[10:11] op_sel:[0,1]
	;; [unrolled: 1-line block ×8, first 2 shown]
	v_mov_b32_e32 v126, 0
	v_pk_mov_b32 v[38:39], v[10:11], v[10:11] op_sel:[0,1]
	v_pk_mov_b32 v[50:51], v[10:11], v[10:11] op_sel:[0,1]
	;; [unrolled: 1-line block ×3, first 2 shown]
                                        ; implicit-def: $sgpr8_sgpr9
                                        ; implicit-def: $vgpr85
                                        ; implicit-def: $vgpr86
	s_and_saveexec_b64 s[30:31], vcc
	s_cbranch_execz .LBB70_120
; %bb.97:
	v_add_u32_e32 v10, 9, v73
	v_cmp_gt_u32_e32 vcc, s64, v10
	v_pk_mov_b32 v[10:11], 0, 0
	s_waitcnt lgkmcnt(0)
	v_mov_b32_e32 v30, v44
	v_mov_b32_e32 v31, v45
	v_and_b32_e32 v129, 0xffffff, v83
	s_mov_b64 s[8:9], 0
	v_mov_b32_e32 v128, 0
	v_mov_b32_e32 v124, 0
	;; [unrolled: 1-line block ×3, first 2 shown]
	v_pk_mov_b32 v[70:71], v[10:11], v[10:11] op_sel:[0,1]
	v_pk_mov_b32 v[78:79], v[10:11], v[10:11] op_sel:[0,1]
	;; [unrolled: 1-line block ×8, first 2 shown]
	v_mov_b32_e32 v126, 0
	v_pk_mov_b32 v[38:39], v[10:11], v[10:11] op_sel:[0,1]
	v_pk_mov_b32 v[50:51], v[10:11], v[10:11] op_sel:[0,1]
                                        ; implicit-def: $sgpr10_sgpr11
                                        ; implicit-def: $vgpr85
                                        ; implicit-def: $vgpr86
	s_and_saveexec_b64 s[34:35], vcc
	s_cbranch_execz .LBB70_119
; %bb.98:
	ds_read2_b64 v[50:53], v48 offset0:9 offset1:10
	v_add_u32_e32 v10, 10, v73
	v_cmp_gt_u32_e32 vcc, s64, v10
	v_pk_mov_b32 v[10:11], 0, 0
	v_mov_b32_e32 v128, 0
	v_mov_b32_e32 v124, 0
	;; [unrolled: 1-line block ×3, first 2 shown]
	v_pk_mov_b32 v[70:71], v[10:11], v[10:11] op_sel:[0,1]
	v_pk_mov_b32 v[78:79], v[10:11], v[10:11] op_sel:[0,1]
	v_pk_mov_b32 v[62:63], v[10:11], v[10:11] op_sel:[0,1]
	v_pk_mov_b32 v[74:75], v[10:11], v[10:11] op_sel:[0,1]
	v_pk_mov_b32 v[54:55], v[10:11], v[10:11] op_sel:[0,1]
	v_pk_mov_b32 v[66:67], v[10:11], v[10:11] op_sel:[0,1]
	v_pk_mov_b32 v[46:47], v[10:11], v[10:11] op_sel:[0,1]
	v_pk_mov_b32 v[58:59], v[10:11], v[10:11] op_sel:[0,1]
	v_mov_b32_e32 v126, 0
	v_pk_mov_b32 v[38:39], v[10:11], v[10:11] op_sel:[0,1]
                                        ; implicit-def: $sgpr10_sgpr11
                                        ; implicit-def: $vgpr85
                                        ; implicit-def: $vgpr86
	s_and_saveexec_b64 s[36:37], vcc
	s_cbranch_execz .LBB70_118
; %bb.99:
	v_add_u32_e32 v10, 11, v73
	v_cmp_ne_u32_e32 vcc, v33, v24
	v_cndmask_b32_e64 v126, 0, 1, vcc
	v_cmp_gt_u32_e32 vcc, s64, v10
	v_pk_mov_b32 v[10:11], 0, 0
	s_waitcnt lgkmcnt(0)
	v_mov_b32_e32 v38, v52
	v_mov_b32_e32 v39, v53
	s_mov_b64 s[42:43], 0
	v_mov_b32_e32 v128, 0
	v_mov_b32_e32 v124, 0
	v_mov_b32_e32 v127, 0
	v_pk_mov_b32 v[70:71], v[10:11], v[10:11] op_sel:[0,1]
	v_pk_mov_b32 v[78:79], v[10:11], v[10:11] op_sel:[0,1]
	;; [unrolled: 1-line block ×8, first 2 shown]
                                        ; implicit-def: $sgpr8_sgpr9
                                        ; implicit-def: $vgpr85
                                        ; implicit-def: $vgpr86
	s_and_saveexec_b64 s[38:39], vcc
	s_cbranch_execz .LBB70_117
; %bb.100:
	ds_read2_b64 v[58:61], v48 offset0:11 offset1:12
	v_add_u32_e32 v10, 12, v73
	v_cmp_ne_u32_e64 s[10:11], v24, v25
	v_cndmask_b32_e64 v128, 0, 1, s[10:11]
	v_cmp_gt_u32_e64 s[10:11], s64, v10
	v_pk_mov_b32 v[10:11], 0, 0
	v_cmp_ne_u32_e32 vcc, v16, v17
	v_cmp_ne_u32_e64 s[2:3], v17, v72
	v_cmp_ne_u32_e64 s[8:9], v25, v16
	s_mov_b64 s[44:45], 0
	v_mov_b32_e32 v127, 0
	v_mov_b32_e32 v124, 0
	v_pk_mov_b32 v[70:71], v[10:11], v[10:11] op_sel:[0,1]
	v_pk_mov_b32 v[78:79], v[10:11], v[10:11] op_sel:[0,1]
	;; [unrolled: 1-line block ×7, first 2 shown]
                                        ; implicit-def: $sgpr46_sgpr47
                                        ; implicit-def: $vgpr85
                                        ; implicit-def: $vgpr86
	s_and_saveexec_b64 s[40:41], s[10:11]
	s_cbranch_execz .LBB70_116
; %bb.101:
	v_cndmask_b32_e64 v10, 0, 1, s[8:9]
	v_cndmask_b32_e64 v11, 0, 1, s[2:3]
	v_lshlrev_b16_e32 v10, 8, v10
	v_lshlrev_b16_e32 v11, 8, v11
	v_cndmask_b32_e64 v16, 0, 1, vcc
	v_or_b32_e32 v10, v128, v10
	v_or_b32_sdwa v11, v16, v11 dst_sel:WORD_1 dst_unused:UNUSED_PAD src0_sel:DWORD src1_sel:DWORD
	v_or_b32_sdwa v85, v10, v11 dst_sel:DWORD dst_unused:UNUSED_PAD src0_sel:WORD_0 src1_sel:DWORD
	v_add_u32_e32 v10, 13, v73
	v_cmp_gt_u32_e32 vcc, s64, v10
	v_pk_mov_b32 v[10:11], 0, 0
	v_and_b32_e32 v128, 0xffff, v85
	s_waitcnt lgkmcnt(0)
	v_mov_b32_e32 v46, v60
	v_mov_b32_e32 v47, v61
	s_mov_b64 s[2:3], 0
	v_mov_b32_e32 v127, 0
	v_mov_b32_e32 v124, 0
	v_pk_mov_b32 v[70:71], v[10:11], v[10:11] op_sel:[0,1]
	v_pk_mov_b32 v[78:79], v[10:11], v[10:11] op_sel:[0,1]
	;; [unrolled: 1-line block ×6, first 2 shown]
                                        ; implicit-def: $sgpr8_sgpr9
                                        ; implicit-def: $vgpr86
	s_and_saveexec_b64 s[42:43], vcc
	s_cbranch_execz .LBB70_115
; %bb.102:
	ds_read2_b64 v[66:69], v48 offset0:13 offset1:14
	v_add_u32_e32 v10, 14, v73
	v_cmp_gt_u32_e32 vcc, s64, v10
	v_pk_mov_b32 v[10:11], 0, 0
	v_and_b32_e32 v128, 0xffffff, v85
	s_mov_b64 s[8:9], 0
	v_mov_b32_e32 v127, 0
	v_mov_b32_e32 v124, 0
	v_pk_mov_b32 v[70:71], v[10:11], v[10:11] op_sel:[0,1]
	v_pk_mov_b32 v[78:79], v[10:11], v[10:11] op_sel:[0,1]
	;; [unrolled: 1-line block ×5, first 2 shown]
                                        ; implicit-def: $sgpr10_sgpr11
                                        ; implicit-def: $vgpr86
	s_and_saveexec_b64 s[44:45], vcc
	s_cbranch_execz .LBB70_114
; %bb.103:
	v_add_u32_e32 v10, 15, v73
	v_cmp_gt_u32_e32 vcc, s64, v10
	v_pk_mov_b32 v[10:11], 0, 0
	s_waitcnt lgkmcnt(0)
	v_mov_b32_e32 v54, v68
	v_mov_b32_e32 v55, v69
	;; [unrolled: 1-line block ×4, first 2 shown]
	v_pk_mov_b32 v[70:71], v[10:11], v[10:11] op_sel:[0,1]
	v_pk_mov_b32 v[78:79], v[10:11], v[10:11] op_sel:[0,1]
	;; [unrolled: 1-line block ×4, first 2 shown]
                                        ; implicit-def: $sgpr10_sgpr11
                                        ; implicit-def: $vgpr86
	s_and_saveexec_b64 s[46:47], vcc
	s_cbranch_execz .LBB70_113
; %bb.104:
	ds_read2_b64 v[74:77], v48 offset0:15 offset1:16
	v_add_u32_e32 v10, 16, v73
	v_cmp_ne_u32_e32 vcc, v72, v12
	v_cndmask_b32_e64 v124, 0, 1, vcc
	v_cmp_gt_u32_e32 vcc, s64, v10
	v_pk_mov_b32 v[10:11], 0, 0
	s_mov_b64 s[58:59], 0
	v_mov_b32_e32 v127, 0
	v_pk_mov_b32 v[70:71], v[10:11], v[10:11] op_sel:[0,1]
	v_pk_mov_b32 v[78:79], v[10:11], v[10:11] op_sel:[0,1]
	;; [unrolled: 1-line block ×3, first 2 shown]
                                        ; implicit-def: $sgpr8_sgpr9
                                        ; implicit-def: $vgpr86
	s_and_saveexec_b64 s[48:49], vcc
	s_cbranch_execz .LBB70_112
; %bb.105:
	v_add_u32_e32 v10, 17, v73
	v_cmp_ne_u32_e64 s[10:11], v12, v13
	v_cndmask_b32_e64 v127, 0, 1, s[10:11]
	v_cmp_gt_u32_e64 s[10:11], s64, v10
	v_pk_mov_b32 v[10:11], 0, 0
	s_waitcnt lgkmcnt(0)
	v_mov_b32_e32 v62, v76
	v_mov_b32_e32 v63, v77
	v_cmp_ne_u32_e32 vcc, v8, v9
	v_cmp_ne_u32_e64 s[2:3], v9, v4
	v_cmp_ne_u32_e64 s[8:9], v13, v8
	s_mov_b64 s[60:61], 0
	v_pk_mov_b32 v[70:71], v[10:11], v[10:11] op_sel:[0,1]
	v_pk_mov_b32 v[78:79], v[10:11], v[10:11] op_sel:[0,1]
                                        ; implicit-def: $sgpr62_sgpr63
                                        ; implicit-def: $vgpr86
	s_and_saveexec_b64 s[54:55], s[10:11]
	s_cbranch_execz .LBB70_111
; %bb.106:
	v_cndmask_b32_e64 v8, 0, 1, s[8:9]
	v_cndmask_b32_e64 v9, 0, 1, s[2:3]
	ds_read2_b64 v[78:81], v48 offset0:17 offset1:18
	v_lshlrev_b16_e32 v8, 8, v8
	v_lshlrev_b16_e32 v9, 8, v9
	v_cndmask_b32_e64 v10, 0, 1, vcc
	v_or_b32_e32 v8, v127, v8
	v_or_b32_sdwa v9, v10, v9 dst_sel:WORD_1 dst_unused:UNUSED_PAD src0_sel:DWORD src1_sel:DWORD
	v_or_b32_sdwa v86, v8, v9 dst_sel:DWORD dst_unused:UNUSED_PAD src0_sel:WORD_0 src1_sel:DWORD
	v_add_u32_e32 v8, 18, v73
	v_pk_mov_b32 v[10:11], 0, 0
	v_and_b32_e32 v127, 0xffff, v86
	v_cmp_gt_u32_e32 vcc, s64, v8
	s_mov_b64 s[2:3], 0
	v_pk_mov_b32 v[70:71], v[10:11], v[10:11] op_sel:[0,1]
                                        ; implicit-def: $sgpr10_sgpr11
	s_and_saveexec_b64 s[8:9], vcc
	s_cbranch_execz .LBB70_110
; %bb.107:
	v_add_u32_e32 v8, 19, v73
	s_waitcnt lgkmcnt(0)
	v_mov_b32_e32 v70, v80
	v_mov_b32_e32 v71, v81
	v_cmp_gt_u32_e32 vcc, s64, v8
	v_and_b32_e32 v127, 0xffffff, v86
	v_pk_mov_b32 v[10:11], 0, 0
                                        ; implicit-def: $sgpr10_sgpr11
	s_and_saveexec_b64 s[58:59], vcc
	s_xor_b64 s[58:59], exec, s[58:59]
	s_cbranch_execz .LBB70_109
; %bb.108:
	ds_read2_b64 v[10:13], v48 offset0:19 offset1:20
	v_add_u32_e32 v8, 20, v73
	v_cmp_ne_u32_e32 vcc, v4, v5
	v_cmp_gt_u32_e64 s[2:3], s64, v8
	s_and_b64 s[10:11], vcc, exec
	s_and_b64 s[2:3], s[2:3], exec
	s_waitcnt lgkmcnt(0)
	v_pk_mov_b32 v[72:73], v[10:11], v[10:11] op_sel:[0,1]
	v_mov_b32_e32 v127, v86
.LBB70_109:
	s_or_b64 exec, exec, s[58:59]
	s_and_b64 s[10:11], s[10:11], exec
	s_and_b64 s[60:61], s[2:3], exec
.LBB70_110:
	s_or_b64 exec, exec, s[8:9]
	s_and_b64 s[62:63], s[10:11], exec
	s_and_b64 s[58:59], s[60:61], exec
	s_waitcnt lgkmcnt(0)
	v_pk_mov_b32 v[64:65], v[78:79], v[78:79] op_sel:[0,1]
	v_pk_mov_b32 v[56:57], v[74:75], v[74:75] op_sel:[0,1]
	;; [unrolled: 1-line block ×9, first 2 shown]
.LBB70_111:
	s_or_b64 exec, exec, s[54:55]
	s_and_b64 s[8:9], s[62:63], exec
	s_and_b64 s[2:3], s[58:59], exec
.LBB70_112:
	s_or_b64 exec, exec, s[48:49]
	s_and_b64 s[10:11], s[8:9], exec
	s_and_b64 s[8:9], s[2:3], exec
.LBB70_113:
	s_or_b64 exec, exec, s[46:47]
	s_and_b64 s[10:11], s[10:11], exec
	s_and_b64 s[2:3], s[8:9], exec
	v_mov_b32_e32 v128, v85
.LBB70_114:
	s_or_b64 exec, exec, s[44:45]
	s_and_b64 s[8:9], s[10:11], exec
	s_and_b64 s[44:45], s[2:3], exec
.LBB70_115:
	s_or_b64 exec, exec, s[42:43]
	s_and_b64 s[46:47], s[8:9], exec
	s_and_b64 s[42:43], s[44:45], exec
.LBB70_116:
	s_or_b64 exec, exec, s[40:41]
	s_and_b64 s[8:9], s[46:47], exec
	s_and_b64 s[2:3], s[42:43], exec
.LBB70_117:
	s_or_b64 exec, exec, s[38:39]
	s_and_b64 s[10:11], s[8:9], exec
	s_and_b64 s[8:9], s[2:3], exec
.LBB70_118:
	s_or_b64 exec, exec, s[36:37]
	s_and_b64 s[10:11], s[10:11], exec
	s_and_b64 s[2:3], s[8:9], exec
	v_mov_b32_e32 v129, v83
.LBB70_119:
	s_or_b64 exec, exec, s[34:35]
	s_and_b64 s[8:9], s[10:11], exec
	s_and_b64 s[34:35], s[2:3], exec
.LBB70_120:
	s_or_b64 exec, exec, s[30:31]
	s_and_b64 s[36:37], s[8:9], exec
	s_and_b64 s[30:31], s[34:35], exec
.LBB70_121:
	s_or_b64 exec, exec, s[28:29]
	s_and_b64 s[8:9], s[36:37], exec
	s_and_b64 s[2:3], s[30:31], exec
.LBB70_122:
	s_or_b64 exec, exec, s[26:27]
	s_and_b64 s[10:11], s[8:9], exec
	s_and_b64 s[8:9], s[2:3], exec
.LBB70_123:
	s_or_b64 exec, exec, s[24:25]
	s_and_b64 s[10:11], s[10:11], exec
	s_and_b64 s[2:3], s[8:9], exec
	v_mov_b32_e32 v130, v84
.LBB70_124:
	s_or_b64 exec, exec, s[22:23]
	s_and_b64 s[8:9], s[10:11], exec
	s_and_b64 s[22:23], s[2:3], exec
.LBB70_125:
	s_or_b64 exec, exec, s[20:21]
	s_and_b64 s[24:25], s[8:9], exec
	s_and_b64 s[20:21], s[22:23], exec
.LBB70_126:
	s_or_b64 exec, exec, s[18:19]
	s_and_b64 s[8:9], s[24:25], exec
	s_and_b64 s[2:3], s[20:21], exec
.LBB70_127:
	s_or_b64 exec, exec, s[16:17]
	s_and_b64 s[8:9], s[8:9], exec
	s_and_b64 s[10:11], s[2:3], exec
.LBB70_128:
	s_or_b64 exec, exec, s[14:15]
	s_mov_b64 s[14:15], 0
	s_and_b64 vcc, exec, s[12:13]
	v_cmp_ne_u32_e64 s[2:3], 0, v0
	s_cbranch_vccz .LBB70_132
.LBB70_129:
	v_mov_b32_e32 v1, s57
	s_waitcnt lgkmcnt(0)
	v_add_co_u32_e32 v2, vcc, s56, v82
	v_addc_co_u32_e32 v1, vcc, 0, v1, vcc
	s_movk_i32 s7, 0x1000
	v_add_co_u32_e32 v2, vcc, s7, v2
	v_addc_co_u32_e32 v3, vcc, 0, v1, vcc
	global_load_dword v4, v82, s[56:57]
	global_load_dword v5, v82, s[56:57] offset:256
	global_load_dword v6, v82, s[56:57] offset:512
	;; [unrolled: 1-line block ×15, first 2 shown]
	global_load_dword v1, v[2:3], off
	global_load_dword v20, v[2:3], off offset:256
	global_load_dword v21, v[2:3], off offset:512
	;; [unrolled: 1-line block ×4, first 2 shown]
	s_movk_i32 s9, 0x50
	s_sub_u32 s8, 0, s6
	v_mad_u32_u24 v25, v0, s9, v82
	s_subb_u32 s9, 0, 0
	s_cmp_eq_u64 s[8:9], s[52:53]
	s_cselect_b32 s8, 0, -4
	s_cselect_b32 s9, 0, -1
	s_add_u32 s8, s56, s8
	s_addc_u32 s9, s57, s9
	s_movk_i32 s10, 0xffb0
	v_mad_i32_i24 v22, v0, s10, v25
	s_waitcnt vmcnt(19)
	ds_write2st64_b32 v82, v4, v5 offset1:1
	s_waitcnt vmcnt(17)
	ds_write2st64_b32 v82, v6, v7 offset0:2 offset1:3
	s_waitcnt vmcnt(15)
	ds_write2st64_b32 v82, v8, v9 offset0:4 offset1:5
	;; [unrolled: 2-line block ×9, first 2 shown]
	s_waitcnt vmcnt(0)
	ds_write_b32 v82, v24 offset:5120
	s_waitcnt lgkmcnt(0)
	; wave barrier
	s_waitcnt lgkmcnt(0)
	s_load_dword s8, s[8:9], 0x0
	ds_read2_b32 v[2:3], v25 offset0:4 offset1:9
	ds_read2_b32 v[20:21], v25 offset0:19 offset1:20
	;; [unrolled: 1-line block ×4, first 2 shown]
	ds_read_b32 v23, v25 offset:56
	ds_read2_b32 v[14:15], v25 offset0:12 offset1:13
	ds_read2_b32 v[12:13], v25 offset0:10 offset1:11
	;; [unrolled: 1-line block ×5, first 2 shown]
	ds_read2_b32 v[10:11], v25 offset1:1
	s_waitcnt lgkmcnt(0)
	ds_write_b32 v22, v21 offset:5376
	s_waitcnt lgkmcnt(0)
	v_mov_b32_e32 v1, s8
	; wave barrier
	s_and_saveexec_b64 s[8:9], s[2:3]
	s_cbranch_execz .LBB70_131
; %bb.130:
	ds_read_b32 v1, v22 offset:5372
.LBB70_131:
	s_or_b64 exec, exec, s[8:9]
	v_lshlrev_b32_e32 v40, 3, v0
	v_mov_b32_e32 v24, s51
	v_add_co_u32_e32 v42, vcc, s50, v40
	v_addc_co_u32_e32 v43, vcc, 0, v24, vcc
	s_waitcnt lgkmcnt(0)
	; wave barrier
	s_waitcnt lgkmcnt(0)
	global_load_dwordx2 v[24:25], v40, s[50:51]
	global_load_dwordx2 v[26:27], v40, s[50:51] offset:512
	global_load_dwordx2 v[28:29], v40, s[50:51] offset:1024
	;; [unrolled: 1-line block ×7, first 2 shown]
	v_add_co_u32_e32 v40, vcc, s7, v42
	v_addc_co_u32_e32 v41, vcc, 0, v43, vcc
	s_movk_i32 s2, 0x2000
	v_add_co_u32_e32 v42, vcc, s2, v42
	v_addc_co_u32_e32 v43, vcc, 0, v43, vcc
	global_load_dwordx2 v[44:45], v[40:41], off offset:512
	global_load_dwordx2 v[46:47], v[40:41], off offset:1024
	;; [unrolled: 1-line block ×6, first 2 shown]
	global_load_dwordx2 v[56:57], v[42:43], off offset:-4096
	global_load_dwordx2 v[58:59], v[40:41], off offset:3584
	global_load_dwordx2 v[60:61], v[42:43], off
	global_load_dwordx2 v[62:63], v[42:43], off offset:512
	global_load_dwordx2 v[64:65], v[42:43], off offset:1024
	;; [unrolled: 1-line block ×4, first 2 shown]
	v_cmp_ne_u32_e32 vcc, v17, v18
	v_cmp_ne_u32_e64 s[8:9], v20, v21
	v_cndmask_b32_e64 v21, 0, 1, vcc
	v_cmp_ne_u32_e32 vcc, v16, v17
	v_cndmask_b32_e64 v17, 0, 1, vcc
	v_cmp_ne_u32_e32 vcc, v19, v20
	;; [unrolled: 2-line block ×6, first 2 shown]
	v_lshlrev_b16_e32 v16, 8, v16
	v_cndmask_b32_e64 v13, 0, 1, vcc
	v_cmp_ne_u32_e32 vcc, v15, v23
	v_or_b32_e32 v13, v13, v16
	v_cndmask_b32_e64 v16, 0, 1, vcc
	v_cmp_ne_u32_e32 vcc, v14, v15
	v_cndmask_b32_e64 v14, 0, 1, vcc
	v_cmp_ne_u32_e32 vcc, v3, v12
	;; [unrolled: 2-line block ×6, first 2 shown]
	v_lshlrev_b16_e32 v12, 8, v12
	v_lshlrev_b16_e32 v3, 8, v3
	v_cndmask_b32_e64 v8, 0, 1, vcc
	v_cmp_ne_u32_e32 vcc, v2, v6
	v_or_b32_e32 v7, v7, v12
	v_or_b32_sdwa v3, v8, v3 dst_sel:WORD_1 dst_unused:UNUSED_PAD src0_sel:DWORD src1_sel:DWORD
	v_cndmask_b32_e64 v125, 0, 1, vcc
	v_cmp_ne_u32_e32 vcc, v11, v4
	v_or_b32_sdwa v83, v7, v3 dst_sel:DWORD dst_unused:UNUSED_PAD src0_sel:WORD_0 src1_sel:DWORD
	v_cndmask_b32_e64 v3, 0, 1, vcc
	v_cmp_ne_u32_e32 vcc, v10, v11
	v_cndmask_b32_e64 v6, 0, 1, vcc
	v_cmp_ne_u32_e32 vcc, v5, v2
	v_lshlrev_b16_e32 v21, 8, v21
	v_lshlrev_b16_e32 v20, 8, v20
	;; [unrolled: 1-line block ×3, first 2 shown]
	v_cndmask_b32_e64 v2, 0, 1, vcc
	v_cmp_ne_u32_e32 vcc, v4, v5
	v_or_b32_e32 v17, v17, v21
	v_or_b32_sdwa v18, v18, v20 dst_sel:WORD_1 dst_unused:UNUSED_PAD src0_sel:DWORD src1_sel:DWORD
	v_or_b32_e32 v11, v6, v3
	v_lshlrev_b16_e32 v2, 8, v2
	v_cndmask_b32_e64 v3, 0, 1, vcc
	v_or_b32_sdwa v86, v17, v18 dst_sel:DWORD dst_unused:UNUSED_PAD src0_sel:WORD_0 src1_sel:DWORD
	v_lshlrev_b16_e32 v16, 8, v16
	v_or_b32_sdwa v18, v3, v2 dst_sel:WORD_1 dst_unused:UNUSED_PAD src0_sel:DWORD src1_sel:DWORD
	v_lshl_add_u32 v2, v0, 2, v22
	s_movk_i32 s2, 0xa0
	v_or_b32_sdwa v14, v14, v16 dst_sel:WORD_1 dst_unused:UNUSED_PAD src0_sel:DWORD src1_sel:DWORD
	v_mad_u32_u24 v12, v0, s2, v2
	v_or_b32_sdwa v85, v13, v14 dst_sel:DWORD dst_unused:UNUSED_PAD src0_sel:WORD_0 src1_sel:DWORD
	v_cmp_ne_u32_e32 vcc, v1, v10
	v_or_b32_sdwa v84, v11, v18 dst_sel:DWORD dst_unused:UNUSED_PAD src0_sel:WORD_0 src1_sel:DWORD
	v_cndmask_b32_e64 v1, 0, 1, vcc
	s_mov_b64 s[10:11], -1
                                        ; implicit-def: $vgpr130
                                        ; implicit-def: $vgpr129
                                        ; implicit-def: $vgpr128
                                        ; implicit-def: $vgpr127
                                        ; implicit-def: $sgpr7
                                        ; implicit-def: $sgpr14_sgpr15
                                        ; implicit-def: $vgpr78_vgpr79
                                        ; implicit-def: $vgpr74_vgpr75
                                        ; implicit-def: $vgpr42_vgpr43
                                        ; implicit-def: $vgpr18_vgpr19
	s_waitcnt vmcnt(19)
	ds_write2st64_b64 v2, v[24:25], v[26:27] offset1:1
	s_waitcnt vmcnt(17)
	ds_write2st64_b64 v2, v[28:29], v[30:31] offset0:2 offset1:3
	s_waitcnt vmcnt(15)
	ds_write2st64_b64 v2, v[32:33], v[34:35] offset0:4 offset1:5
	s_waitcnt vmcnt(13)
	ds_write2st64_b64 v2, v[36:37], v[38:39] offset0:6 offset1:7
	s_waitcnt vmcnt(6)
	ds_write2st64_b64 v2, v[56:57], v[44:45] offset0:8 offset1:9
	ds_write2st64_b64 v2, v[46:47], v[48:49] offset0:10 offset1:11
	ds_write2st64_b64 v2, v[50:51], v[52:53] offset0:12 offset1:13
	s_waitcnt vmcnt(5)
	ds_write2st64_b64 v2, v[54:55], v[58:59] offset0:14 offset1:15
	s_waitcnt vmcnt(3)
	;; [unrolled: 2-line block ×4, first 2 shown]
	ds_write_b64 v2, v[68:69] offset:10240
	s_waitcnt lgkmcnt(0)
	; wave barrier
	s_waitcnt lgkmcnt(0)
	ds_read2_b64 v[2:5], v12 offset1:1
	ds_read2_b64 v[6:9], v12 offset0:2 offset1:3
	ds_read2_b64 v[14:17], v12 offset0:4 offset1:5
	;; [unrolled: 1-line block ×9, first 2 shown]
	ds_read_b64 v[12:13], v12 offset:160
                                        ; implicit-def: $vgpr66_vgpr67
                                        ; implicit-def: $vgpr58_vgpr59
                                        ; implicit-def: $vgpr50_vgpr51
                                        ; implicit-def: $vgpr34_vgpr35
                                        ; implicit-def: $vgpr26_vgpr27
.LBB70_132:
	s_waitcnt lgkmcnt(0)
	v_pk_mov_b32 v[20:21], s[14:15], s[14:15] op_sel:[0,1]
	v_mov_b32_e32 v28, s7
	s_and_saveexec_b64 s[2:3], s[10:11]
	s_cbranch_execz .LBB70_134
; %bb.133:
	v_cndmask_b32_e64 v28, 0, 1, s[8:9]
	v_pk_mov_b32 v[18:19], v[4:5], v[4:5] op_sel:[0,1]
	v_pk_mov_b32 v[26:27], v[8:9], v[8:9] op_sel:[0,1]
	v_pk_mov_b32 v[34:35], v[16:17], v[16:17] op_sel:[0,1]
	v_pk_mov_b32 v[42:43], v[24:25], v[24:25] op_sel:[0,1]
	v_pk_mov_b32 v[50:51], v[32:33], v[32:33] op_sel:[0,1]
	v_pk_mov_b32 v[58:59], v[40:41], v[40:41] op_sel:[0,1]
	v_pk_mov_b32 v[66:67], v[48:49], v[48:49] op_sel:[0,1]
	v_pk_mov_b32 v[74:75], v[56:57], v[56:57] op_sel:[0,1]
	v_pk_mov_b32 v[78:79], v[64:65], v[64:65] op_sel:[0,1]
	v_pk_mov_b32 v[10:11], v[72:73], v[72:73] op_sel:[0,1]
	v_pk_mov_b32 v[20:21], v[12:13], v[12:13] op_sel:[0,1]
	v_mov_b32_e32 v127, v86
	v_mov_b32_e32 v128, v85
	;; [unrolled: 1-line block ×4, first 2 shown]
.LBB70_134:
	s_or_b64 exec, exec, s[2:3]
	v_and_b32_e32 v131, 1, v125
	v_and_b32_e32 v40, 1, v126
	;; [unrolled: 1-line block ×4, first 2 shown]
	s_cmp_lg_u32 s6, 0
	v_lshrrev_b32_e32 v132, 8, v130
	v_cmp_eq_u32_e32 vcc, 1, v131
	v_lshrrev_b32_e32 v41, 8, v129
	v_cmp_eq_u32_e64 s[48:49], 1, v40
	v_lshrrev_b32_e32 v37, 8, v128
	v_cmp_eq_u32_e64 s[50:51], 1, v33
	;; [unrolled: 2-line block ×3, first 2 shown]
	v_mbcnt_lo_u32_b32 v29, -1, 0
	s_waitcnt lgkmcnt(0)
	; wave barrier
	s_cbranch_scc0 .LBB70_195
; %bb.135:
	v_and_b32_e32 v4, 1, v1
	v_cmp_eq_u32_e64 s[36:37], 1, v4
	v_mov_b32_e32 v4, 0
	v_cmp_eq_u16_sdwa s[2:3], v130, v4 src0_sel:BYTE_0 src1_sel:DWORD
	v_cndmask_b32_e64 v8, 0, v2, s[2:3]
	v_cndmask_b32_e64 v5, 0, v3, s[2:3]
	v_add_co_u32_e64 v8, s[8:9], v8, v18
	v_cmp_eq_u16_sdwa s[66:67], v132, v4 src0_sel:BYTE_0 src1_sel:DWORD
	v_addc_co_u32_e64 v5, s[8:9], v5, v19, s[8:9]
	v_and_b32_e32 v9, 1, v130
	v_cndmask_b32_e64 v8, 0, v8, s[66:67]
	s_movk_i32 s7, 0xff
	v_cmp_eq_u32_e64 s[52:53], 1, v9
	v_cndmask_b32_e64 v5, 0, v5, s[66:67]
	v_add_co_u32_e64 v8, s[8:9], v8, v6
	v_and_b32_e32 v9, 0x100, v130
	v_addc_co_u32_e64 v5, s[8:9], v5, v7, s[8:9]
	v_cmp_ne_u32_e64 s[56:57], 0, v9
	v_and_b32_sdwa v9, v130, s7 dst_sel:DWORD dst_unused:UNUSED_PAD src0_sel:WORD_1 src1_sel:DWORD
	v_cmp_eq_u16_e64 s[8:9], 0, v9
	v_cndmask_b32_e64 v8, 0, v8, s[8:9]
	v_cndmask_b32_e64 v5, 0, v5, s[8:9]
	v_add_co_u32_e64 v8, s[10:11], v8, v26
	v_addc_co_u32_e64 v5, s[10:11], v5, v27, s[10:11]
	v_cmp_eq_u16_sdwa s[10:11], v130, v4 src0_sel:BYTE_3 src1_sel:DWORD
	v_cndmask_b32_e64 v8, 0, v8, s[10:11]
	v_cndmask_b32_e64 v5, 0, v5, s[10:11]
	v_add_co_u32_e64 v8, s[12:13], v8, v14
	v_cmp_eq_u16_sdwa s[14:15], v125, v4 src0_sel:BYTE_0 src1_sel:DWORD
	v_addc_co_u32_e64 v5, s[12:13], v5, v15, s[12:13]
	v_cndmask_b32_e64 v8, 0, v8, s[14:15]
	v_cndmask_b32_e64 v5, 0, v5, s[14:15]
	v_add_co_u32_e64 v8, s[12:13], v8, v34
	v_addc_co_u32_e64 v5, s[12:13], v5, v35, s[12:13]
	v_cmp_eq_u16_sdwa s[12:13], v129, v4 src0_sel:BYTE_0 src1_sel:DWORD
	v_cndmask_b32_e64 v8, 0, v8, s[12:13]
	v_cndmask_b32_e64 v5, 0, v5, s[12:13]
	v_add_co_u32_e64 v8, s[16:17], v8, v22
	v_and_b32_e32 v9, 0x10000, v130
	v_addc_co_u32_e64 v5, s[16:17], v5, v23, s[16:17]
	v_cmp_ne_u32_e64 s[58:59], 0, v9
	v_and_b32_e32 v9, 0x1000000, v130
	v_cmp_eq_u16_sdwa s[16:17], v41, v4 src0_sel:BYTE_0 src1_sel:DWORD
	v_cmp_ne_u32_e64 s[60:61], 0, v9
	v_and_b32_e32 v9, 1, v129
	v_cndmask_b32_e64 v8, 0, v8, s[16:17]
	v_cmp_eq_u32_e64 s[62:63], 1, v9
	v_cndmask_b32_e64 v5, 0, v5, s[16:17]
	v_add_co_u32_e64 v8, s[18:19], v8, v42
	v_and_b32_e32 v9, 0x100, v129
	v_addc_co_u32_e64 v5, s[18:19], v5, v43, s[18:19]
	v_cmp_ne_u32_e64 s[64:65], 0, v9
	v_and_b32_sdwa v9, v129, s7 dst_sel:DWORD dst_unused:UNUSED_PAD src0_sel:WORD_1 src1_sel:DWORD
	v_cmp_eq_u16_e64 s[18:19], 0, v9
	v_cndmask_b32_e64 v8, 0, v8, s[18:19]
	v_cndmask_b32_e64 v5, 0, v5, s[18:19]
	v_add_co_u32_e64 v8, s[20:21], v8, v30
	v_addc_co_u32_e64 v5, s[20:21], v5, v31, s[20:21]
	v_cmp_eq_u16_sdwa s[20:21], v129, v4 src0_sel:BYTE_3 src1_sel:DWORD
	v_cndmask_b32_e64 v8, 0, v8, s[20:21]
	v_cndmask_b32_e64 v5, 0, v5, s[20:21]
	v_add_co_u32_e64 v8, s[22:23], v8, v50
	v_cmp_eq_u16_sdwa s[24:25], v126, v4 src0_sel:BYTE_0 src1_sel:DWORD
	v_addc_co_u32_e64 v5, s[22:23], v5, v51, s[22:23]
	v_cndmask_b32_e64 v8, 0, v8, s[24:25]
	v_cndmask_b32_e64 v5, 0, v5, s[24:25]
	v_add_co_u32_e64 v8, s[22:23], v8, v38
	v_addc_co_u32_e64 v5, s[22:23], v5, v39, s[22:23]
	v_cmp_eq_u16_sdwa s[22:23], v128, v4 src0_sel:BYTE_0 src1_sel:DWORD
	v_cndmask_b32_e64 v8, 0, v8, s[22:23]
	v_cndmask_b32_e64 v5, 0, v5, s[22:23]
	v_add_co_u32_e64 v8, s[26:27], v8, v58
	v_and_b32_e32 v9, 0x10000, v129
	v_addc_co_u32_e64 v5, s[26:27], v5, v59, s[26:27]
	v_cmp_ne_u32_e64 s[68:69], 0, v9
	v_and_b32_e32 v9, 0x1000000, v129
	v_cmp_eq_u16_sdwa s[26:27], v37, v4 src0_sel:BYTE_0 src1_sel:DWORD
	v_cmp_ne_u32_e64 s[70:71], 0, v9
	v_and_b32_e32 v9, 1, v128
	v_cndmask_b32_e64 v8, 0, v8, s[26:27]
	;; [unrolled: 34-line block ×3, first 2 shown]
	v_cmp_eq_u32_e64 s[80:81], 1, v9
	v_cndmask_b32_e64 v5, 0, v5, s[40:41]
	v_add_co_u32_e64 v8, s[42:43], v8, v78
	v_and_b32_e32 v9, 0x100, v127
	v_addc_co_u32_e64 v5, s[42:43], v5, v79, s[42:43]
	v_cmp_ne_u32_e64 s[82:83], 0, v9
	v_and_b32_sdwa v9, v127, s7 dst_sel:DWORD dst_unused:UNUSED_PAD src0_sel:WORD_1 src1_sel:DWORD
	v_cmp_eq_u16_e64 s[42:43], 0, v9
	v_and_b32_e32 v9, 0x10000, v127
	v_cmp_ne_u32_e64 s[84:85], 0, v9
	v_and_b32_e32 v9, 0x1000000, v127
	v_cmp_ne_u32_e64 s[86:87], 0, v9
	s_or_b64 s[54:55], s[54:55], s[86:87]
	s_or_b64 s[54:55], s[54:55], s[84:85]
	;; [unrolled: 1-line block ×10, first 2 shown]
	v_cndmask_b32_e64 v8, 0, v8, s[42:43]
	s_or_b64 s[48:49], s[48:49], s[70:71]
	v_cndmask_b32_e64 v5, 0, v5, s[42:43]
	v_add_co_u32_e64 v8, s[44:45], v8, v70
	s_or_b64 s[48:49], s[48:49], s[68:69]
	v_addc_co_u32_e64 v5, s[44:45], v5, v71, s[44:45]
	s_or_b64 s[48:49], s[48:49], s[64:65]
	v_cmp_eq_u16_sdwa s[44:45], v127, v4 src0_sel:BYTE_3 src1_sel:DWORD
	s_or_b64 s[48:49], s[48:49], s[62:63]
	v_cndmask_b32_e64 v8, 0, v8, s[44:45]
	s_or_b64 s[48:49], s[48:49], vcc
	v_cndmask_b32_e64 v5, 0, v5, s[44:45]
	v_add_co_u32_e64 v8, s[46:47], v8, v10
	s_or_b64 s[48:49], s[48:49], s[60:61]
	v_addc_co_u32_e64 v5, s[46:47], v5, v11, s[46:47]
	s_or_b64 s[48:49], s[48:49], s[58:59]
	v_cmp_eq_u16_sdwa s[46:47], v28, v4 src0_sel:BYTE_0 src1_sel:DWORD
	s_or_b64 s[48:49], s[48:49], s[56:57]
	v_cndmask_b32_e64 v4, 0, v8, s[46:47]
	s_or_b64 s[48:49], s[48:49], s[52:53]
	v_cndmask_b32_e64 v5, 0, v5, s[46:47]
	v_add_co_u32_e64 v4, s[88:89], v4, v20
	s_or_b64 s[50:51], s[48:49], s[36:37]
	v_mbcnt_hi_u32_b32 v9, -1, v29
	v_addc_co_u32_e64 v5, s[88:89], v5, v21, s[88:89]
	v_and_b32_e32 v13, 15, v9
	v_cndmask_b32_e64 v12, 0, 1, s[50:51]
	v_cndmask_b32_e64 v8, 0, 1, s[50:51]
	v_mov_b32_dpp v16, v4 row_shr:1 row_mask:0xf bank_mask:0xf
	v_mov_b32_dpp v17, v5 row_shr:1 row_mask:0xf bank_mask:0xf
	;; [unrolled: 1-line block ×3, first 2 shown]
	v_cmp_ne_u32_e32 vcc, 0, v13
	s_and_saveexec_b64 s[48:49], vcc
; %bb.136:
	v_and_b32_e32 v12, 1, v24
	v_cndmask_b32_e64 v16, v16, 0, s[50:51]
	v_or_b32_e32 v8, v12, v8
	v_cndmask_b32_e64 v12, v17, 0, s[50:51]
	v_add_co_u32_e32 v4, vcc, v16, v4
	v_addc_co_u32_e32 v5, vcc, v12, v5, vcc
	v_and_b32_e32 v12, 0xffff, v8
; %bb.137:
	s_or_b64 exec, exec, s[48:49]
	v_mov_b32_dpp v16, v4 row_shr:2 row_mask:0xf bank_mask:0xf
	v_mov_b32_dpp v17, v5 row_shr:2 row_mask:0xf bank_mask:0xf
	v_mov_b32_dpp v24, v12 row_shr:2 row_mask:0xf bank_mask:0xf
	v_cmp_lt_u32_e32 vcc, 1, v13
	s_and_saveexec_b64 s[50:51], vcc
	s_cbranch_execz .LBB70_139
; %bb.138:
	v_and_b32_e32 v12, 1, v8
	v_cmp_eq_u32_e32 vcc, 1, v12
	v_and_b32_e32 v12, 1, v24
	v_cmp_eq_u32_e64 s[48:49], 1, v12
	s_or_b64 s[48:49], vcc, s[48:49]
	v_cmp_eq_u16_e32 vcc, 0, v8
	v_cndmask_b32_e32 v12, 0, v16, vcc
	v_cndmask_b32_e64 v24, 0, 1, s[48:49]
	v_cndmask_b32_e32 v8, 0, v17, vcc
	v_add_co_u32_e32 v4, vcc, v12, v4
	v_addc_co_u32_e32 v5, vcc, v8, v5, vcc
	v_cndmask_b32_e64 v12, 0, 1, s[48:49]
	v_mov_b32_e32 v8, v24
.LBB70_139:
	s_or_b64 exec, exec, s[50:51]
	v_mov_b32_dpp v16, v4 row_shr:4 row_mask:0xf bank_mask:0xf
	v_mov_b32_dpp v17, v5 row_shr:4 row_mask:0xf bank_mask:0xf
	;; [unrolled: 1-line block ×3, first 2 shown]
	v_cmp_lt_u32_e32 vcc, 3, v13
	s_and_saveexec_b64 s[50:51], vcc
	s_load_dwordx8 s[68:75], s[4:5], 0x30
	s_cbranch_execz .LBB70_141
; %bb.140:
	v_and_b32_e32 v12, 1, v8
	v_cmp_eq_u32_e32 vcc, 1, v12
	v_and_b32_e32 v12, 1, v24
	v_cmp_eq_u32_e64 s[48:49], 1, v12
	s_or_b64 s[48:49], vcc, s[48:49]
	v_cmp_eq_u16_e32 vcc, 0, v8
	v_cndmask_b32_e32 v12, 0, v16, vcc
	v_cndmask_b32_e64 v24, 0, 1, s[48:49]
	v_cndmask_b32_e32 v8, 0, v17, vcc
	v_add_co_u32_e32 v4, vcc, v12, v4
	v_addc_co_u32_e32 v5, vcc, v8, v5, vcc
	v_cndmask_b32_e64 v12, 0, 1, s[48:49]
	v_mov_b32_e32 v8, v24
.LBB70_141:
	s_or_b64 exec, exec, s[50:51]
	v_mov_b32_dpp v16, v4 row_shr:8 row_mask:0xf bank_mask:0xf
	v_mov_b32_dpp v17, v5 row_shr:8 row_mask:0xf bank_mask:0xf
	;; [unrolled: 1-line block ×3, first 2 shown]
	v_cmp_lt_u32_e32 vcc, 7, v13
	s_and_saveexec_b64 s[50:51], vcc
	s_cbranch_execz .LBB70_143
; %bb.142:
	v_and_b32_e32 v12, 1, v8
	v_cmp_eq_u32_e32 vcc, 1, v12
	v_and_b32_e32 v12, 1, v24
	v_cmp_eq_u32_e64 s[48:49], 1, v12
	s_or_b64 s[48:49], vcc, s[48:49]
	v_cmp_eq_u16_e32 vcc, 0, v8
	v_cndmask_b32_e32 v12, 0, v16, vcc
	v_cndmask_b32_e64 v13, 0, 1, s[48:49]
	v_cndmask_b32_e32 v8, 0, v17, vcc
	v_add_co_u32_e32 v4, vcc, v12, v4
	v_addc_co_u32_e32 v5, vcc, v8, v5, vcc
	v_cndmask_b32_e64 v12, 0, 1, s[48:49]
	v_mov_b32_e32 v8, v13
.LBB70_143:
	s_or_b64 exec, exec, s[50:51]
	v_and_b32_e32 v24, 16, v9
	v_mov_b32_dpp v13, v4 row_bcast:15 row_mask:0xf bank_mask:0xf
	v_mov_b32_dpp v16, v5 row_bcast:15 row_mask:0xf bank_mask:0xf
	;; [unrolled: 1-line block ×3, first 2 shown]
	v_cmp_ne_u32_e32 vcc, 0, v24
	s_and_saveexec_b64 s[50:51], vcc
	s_cbranch_execz .LBB70_145
; %bb.144:
	v_and_b32_e32 v12, 1, v8
	v_cmp_eq_u32_e32 vcc, 1, v12
	v_and_b32_e32 v12, 1, v17
	v_cmp_eq_u32_e64 s[48:49], 1, v12
	s_or_b64 s[48:49], vcc, s[48:49]
	v_cmp_eq_u16_e32 vcc, 0, v8
	v_cndmask_b32_e32 v12, 0, v13, vcc
	v_cndmask_b32_e64 v17, 0, 1, s[48:49]
	v_cndmask_b32_e32 v8, 0, v16, vcc
	v_add_co_u32_e32 v4, vcc, v12, v4
	v_addc_co_u32_e32 v5, vcc, v8, v5, vcc
	v_cndmask_b32_e64 v12, 0, 1, s[48:49]
	v_mov_b32_e32 v8, v17
.LBB70_145:
	s_or_b64 exec, exec, s[50:51]
	v_mov_b32_dpp v13, v4 row_bcast:31 row_mask:0xf bank_mask:0xf
	v_mov_b32_dpp v16, v5 row_bcast:31 row_mask:0xf bank_mask:0xf
	;; [unrolled: 1-line block ×3, first 2 shown]
	v_cmp_lt_u32_e32 vcc, 31, v9
	s_and_saveexec_b64 s[50:51], vcc
	s_cbranch_execz .LBB70_147
; %bb.146:
	v_and_b32_e32 v17, 1, v8
	v_and_b32_e32 v12, 1, v12
	v_cmp_eq_u32_e32 vcc, 1, v17
	v_cmp_eq_u32_e64 s[48:49], 1, v12
	s_or_b64 s[48:49], vcc, s[48:49]
	v_cmp_eq_u16_e32 vcc, 0, v8
	v_cndmask_b32_e32 v13, 0, v13, vcc
	v_cndmask_b32_e64 v12, 0, 1, s[48:49]
	v_cndmask_b32_e32 v8, 0, v16, vcc
	v_add_co_u32_e32 v4, vcc, v13, v4
	v_addc_co_u32_e32 v5, vcc, v8, v5, vcc
	v_mov_b32_e32 v8, v12
.LBB70_147:
	s_or_b64 exec, exec, s[50:51]
	v_cmp_eq_u32_e32 vcc, 63, v0
	s_and_saveexec_b64 s[48:49], vcc
	s_cbranch_execz .LBB70_149
; %bb.148:
	v_mov_b32_e32 v12, 0
	ds_write_b64 v12, v[4:5]
	ds_write_b8 v12, v8 offset:8
.LBB70_149:
	s_or_b64 exec, exec, s[48:49]
	v_add_u32_e32 v12, -1, v9
	v_and_b32_e32 v13, 64, v9
	v_cmp_lt_i32_e32 vcc, v12, v13
	v_cndmask_b32_e32 v12, v12, v9, vcc
	v_lshlrev_b32_e32 v12, 2, v12
	ds_bpermute_b32 v45, v12, v4
	v_and_b32_e32 v4, 0xffff, v8
	ds_bpermute_b32 v48, v12, v5
	ds_bpermute_b32 v44, v12, v4
	v_cmp_gt_u32_e32 vcc, 64, v0
	s_waitcnt lgkmcnt(0)
	; wave barrier
	s_waitcnt lgkmcnt(0)
	s_and_saveexec_b64 s[52:53], vcc
	s_cbranch_execz .LBB70_192
; %bb.150:
	v_mov_b32_e32 v13, 0
	ds_read_b64 v[4:5], v13
	ds_read_u8 v49, v13 offset:8
	s_mov_b32 s55, 0
	v_cmp_eq_u32_e64 s[48:49], 0, v9
	s_and_saveexec_b64 s[50:51], s[48:49]
	s_cbranch_execz .LBB70_152
; %bb.151:
	s_add_i32 s54, s6, 64
	s_lshl_b64 s[56:57], s[54:55], 4
	s_add_u32 s56, s68, s56
	s_addc_u32 s57, s69, s57
	v_mov_b32_e32 v8, s54
	v_mov_b32_e32 v12, 1
	s_waitcnt lgkmcnt(1)
	global_store_dwordx2 v13, v[4:5], s[56:57]
	s_waitcnt lgkmcnt(0)
	global_store_byte v13, v49, s[56:57] offset:8
	s_waitcnt vmcnt(0)
	buffer_wbinvl1_vol
	global_store_byte v8, v12, s[72:73]
.LBB70_152:
	s_or_b64 exec, exec, s[50:51]
	v_xad_u32 v8, v9, -1, s6
	v_add_u32_e32 v12, 64, v8
	global_load_ubyte v52, v12, s[72:73] glc
	s_waitcnt vmcnt(0)
	v_cmp_eq_u16_e32 vcc, 0, v52
	s_and_saveexec_b64 s[50:51], vcc
	s_cbranch_execz .LBB70_156
; %bb.153:
	v_mov_b32_e32 v17, s73
	v_add_co_u32_e32 v16, vcc, s72, v12
	v_addc_co_u32_e32 v17, vcc, 0, v17, vcc
	s_mov_b64 s[54:55], 0
.LBB70_154:                             ; =>This Inner Loop Header: Depth=1
	global_load_ubyte v52, v[16:17], off glc
	s_waitcnt vmcnt(0)
	v_cmp_ne_u16_e32 vcc, 0, v52
	s_or_b64 s[54:55], vcc, s[54:55]
	s_andn2_b64 exec, exec, s[54:55]
	s_cbranch_execnz .LBB70_154
; %bb.155:
	s_or_b64 exec, exec, s[54:55]
.LBB70_156:
	s_or_b64 exec, exec, s[50:51]
	v_mov_b32_e32 v16, s71
	v_mov_b32_e32 v17, s69
	v_cmp_eq_u16_e32 vcc, 1, v52
	v_cndmask_b32_e32 v16, v16, v17, vcc
	v_mov_b32_e32 v17, s70
	v_mov_b32_e32 v24, s68
	v_cndmask_b32_e32 v17, v17, v24, vcc
	v_lshlrev_b64 v[12:13], 4, v[12:13]
	v_add_co_u32_e32 v12, vcc, v17, v12
	v_addc_co_u32_e32 v13, vcc, v16, v13, vcc
	s_waitcnt lgkmcnt(0)
	buffer_wbinvl1_vol
	global_load_dwordx2 v[24:25], v[12:13], off
	global_load_ubyte v81, v[12:13], off offset:8
	v_cmp_eq_u16_e32 vcc, 2, v52
	v_lshlrev_b64 v[12:13], v9, -1
	v_and_b32_e32 v16, 63, v9
	v_and_b32_e32 v17, vcc_hi, v13
	v_and_b32_e32 v56, vcc_lo, v12
	v_cmp_ne_u32_e32 vcc, 63, v16
	v_addc_co_u32_e32 v53, vcc, 0, v9, vcc
	v_lshlrev_b32_e32 v53, 2, v53
	v_or_b32_e32 v17, 0x80000000, v17
	v_ffbl_b32_e32 v17, v17
	v_add_u32_e32 v17, 32, v17
	v_ffbl_b32_e32 v56, v56
	v_min_u32_e32 v17, v56, v17
	v_add_u32_e32 v56, 1, v9
	v_cmp_le_u32_e32 vcc, v56, v17
	s_waitcnt vmcnt(1)
	ds_bpermute_b32 v60, v53, v24
	s_waitcnt vmcnt(0)
	v_and_b32_e32 v73, 1, v81
	ds_bpermute_b32 v61, v53, v25
	ds_bpermute_b32 v57, v53, v73
	s_and_saveexec_b64 s[50:51], vcc
	s_cbranch_execz .LBB70_158
; %bb.157:
	v_mov_b32_e32 v64, 0
	v_cmp_eq_u16_sdwa vcc, v81, v64 src0_sel:BYTE_0 src1_sel:DWORD
	s_waitcnt lgkmcnt(2)
	v_cndmask_b32_e32 v60, 0, v60, vcc
	s_waitcnt lgkmcnt(0)
	v_and_b32_e32 v57, 1, v57
	v_cndmask_b32_e32 v61, 0, v61, vcc
	v_add_co_u32_e32 v24, vcc, v60, v24
	v_or_b32_e32 v81, v57, v81
	v_addc_co_u32_e32 v25, vcc, v61, v25, vcc
	v_and_b32_e32 v73, 0xff, v81
.LBB70_158:
	s_or_b64 exec, exec, s[50:51]
	v_cmp_gt_u32_e32 vcc, 62, v16
	s_waitcnt lgkmcnt(0)
	v_cndmask_b32_e64 v57, 0, 1, vcc
	v_lshlrev_b32_e32 v57, 1, v57
	v_add_lshl_u32 v57, v57, v9, 2
	ds_bpermute_b32 v64, v57, v24
	ds_bpermute_b32 v65, v57, v25
	ds_bpermute_b32 v61, v57, v73
	v_add_u32_e32 v60, 2, v9
	v_cmp_le_u32_e32 vcc, v60, v17
	s_and_saveexec_b64 s[54:55], vcc
	s_cbranch_execz .LBB70_160
; %bb.159:
	v_mov_b32_e32 v68, 0
	v_cmp_eq_u16_sdwa vcc, v81, v68 src0_sel:BYTE_0 src1_sel:DWORD
	s_waitcnt lgkmcnt(2)
	v_cndmask_b32_e32 v64, 0, v64, vcc
	s_waitcnt lgkmcnt(1)
	v_cndmask_b32_e32 v65, 0, v65, vcc
	v_add_co_u32_e32 v24, vcc, v64, v24
	v_addc_co_u32_e32 v25, vcc, v65, v25, vcc
	v_and_b32_e32 v64, 1, v81
	s_waitcnt lgkmcnt(0)
	v_and_b32_e32 v61, 1, v61
	v_cmp_eq_u32_e32 vcc, 1, v64
	v_cmp_eq_u32_e64 s[50:51], 1, v61
	s_or_b64 s[50:51], vcc, s[50:51]
	v_cndmask_b32_e64 v81, 0, 1, s[50:51]
	v_cndmask_b32_e64 v73, 0, 1, s[50:51]
.LBB70_160:
	s_or_b64 exec, exec, s[54:55]
	v_cmp_gt_u32_e32 vcc, 60, v16
	s_waitcnt lgkmcnt(0)
	v_cndmask_b32_e64 v61, 0, 1, vcc
	v_lshlrev_b32_e32 v61, 2, v61
	v_add_lshl_u32 v61, v61, v9, 2
	ds_bpermute_b32 v68, v61, v24
	ds_bpermute_b32 v69, v61, v25
	ds_bpermute_b32 v65, v61, v73
	v_add_u32_e32 v64, 4, v9
	v_cmp_le_u32_e32 vcc, v64, v17
	s_and_saveexec_b64 s[54:55], vcc
	s_cbranch_execz .LBB70_162
; %bb.161:
	v_mov_b32_e32 v72, 0
	v_cmp_eq_u16_sdwa vcc, v81, v72 src0_sel:BYTE_0 src1_sel:DWORD
	s_waitcnt lgkmcnt(2)
	v_cndmask_b32_e32 v68, 0, v68, vcc
	s_waitcnt lgkmcnt(1)
	v_cndmask_b32_e32 v69, 0, v69, vcc
	v_add_co_u32_e32 v24, vcc, v68, v24
	v_addc_co_u32_e32 v25, vcc, v69, v25, vcc
	v_and_b32_e32 v68, 1, v81
	s_waitcnt lgkmcnt(0)
	v_and_b32_e32 v65, 1, v65
	v_cmp_eq_u32_e32 vcc, 1, v68
	v_cmp_eq_u32_e64 s[50:51], 1, v65
	s_or_b64 s[50:51], vcc, s[50:51]
	v_cndmask_b32_e64 v81, 0, 1, s[50:51]
	v_cndmask_b32_e64 v73, 0, 1, s[50:51]
.LBB70_162:
	;; [unrolled: 31-line block ×3, first 2 shown]
	s_or_b64 exec, exec, s[54:55]
	v_cmp_gt_u32_e32 vcc, 48, v16
	s_waitcnt lgkmcnt(0)
	v_cndmask_b32_e64 v69, 0, 1, vcc
	v_lshlrev_b32_e32 v69, 4, v69
	v_add_lshl_u32 v69, v69, v9, 2
	ds_bpermute_b32 v77, v69, v24
	ds_bpermute_b32 v80, v69, v25
	;; [unrolled: 1-line block ×3, first 2 shown]
	v_add_u32_e32 v72, 16, v9
	v_cmp_le_u32_e32 vcc, v72, v17
	s_and_saveexec_b64 s[54:55], vcc
	s_cbranch_execz .LBB70_166
; %bb.165:
	v_mov_b32_e32 v73, 0
	v_cmp_eq_u16_sdwa vcc, v81, v73 src0_sel:BYTE_0 src1_sel:DWORD
	s_waitcnt lgkmcnt(2)
	v_cndmask_b32_e32 v77, 0, v77, vcc
	s_waitcnt lgkmcnt(1)
	v_cndmask_b32_e32 v73, 0, v80, vcc
	v_add_co_u32_e32 v24, vcc, v77, v24
	v_addc_co_u32_e32 v25, vcc, v73, v25, vcc
	v_and_b32_e32 v73, 1, v81
	v_cmp_eq_u32_e32 vcc, 1, v73
	s_waitcnt lgkmcnt(0)
	v_and_b32_e32 v73, 1, v76
	v_cmp_eq_u32_e64 s[50:51], 1, v73
	s_or_b64 s[50:51], vcc, s[50:51]
	v_cndmask_b32_e64 v81, 0, 1, s[50:51]
	v_cndmask_b32_e64 v73, 0, 1, s[50:51]
.LBB70_166:
	s_or_b64 exec, exec, s[54:55]
	v_cmp_gt_u32_e32 vcc, 32, v16
	v_cndmask_b32_e64 v16, 0, 1, vcc
	v_lshlrev_b32_e32 v16, 5, v16
	s_waitcnt lgkmcnt(0)
	v_add_lshl_u32 v76, v16, v9, 2
	ds_bpermute_b32 v80, v76, v24
	ds_bpermute_b32 v82, v76, v25
	;; [unrolled: 1-line block ×3, first 2 shown]
	v_add_u32_e32 v77, 32, v9
	v_cmp_le_u32_e32 vcc, v77, v17
	s_and_saveexec_b64 s[54:55], vcc
	s_cbranch_execz .LBB70_168
; %bb.167:
	v_mov_b32_e32 v9, 0
	v_cmp_eq_u16_sdwa vcc, v81, v9 src0_sel:BYTE_0 src1_sel:DWORD
	s_waitcnt lgkmcnt(2)
	v_cndmask_b32_e32 v17, 0, v80, vcc
	s_waitcnt lgkmcnt(1)
	v_cndmask_b32_e32 v9, 0, v82, vcc
	v_add_co_u32_e32 v24, vcc, v17, v24
	v_addc_co_u32_e32 v25, vcc, v9, v25, vcc
	v_and_b32_e32 v9, 1, v81
	v_cmp_eq_u32_e32 vcc, 1, v9
	s_waitcnt lgkmcnt(0)
	v_and_b32_e32 v9, 1, v16
	v_cmp_eq_u32_e64 s[50:51], 1, v9
	s_or_b64 s[50:51], vcc, s[50:51]
	v_cndmask_b32_e64 v81, 0, 1, s[50:51]
.LBB70_168:
	s_or_b64 exec, exec, s[54:55]
	v_mov_b32_e32 v9, 0
	s_waitcnt lgkmcnt(2)
	v_mov_b32_e32 v80, 2
	s_branch .LBB70_170
.LBB70_169:                             ;   in Loop: Header=BB70_170 Depth=1
	s_or_b64 exec, exec, s[56:57]
	v_cmp_eq_u16_sdwa vcc, v73, v9 src0_sel:BYTE_0 src1_sel:DWORD
	v_cndmask_b32_e32 v24, 0, v24, vcc
	v_cndmask_b32_e32 v25, 0, v25, vcc
	v_add_co_u32_e32 v24, vcc, v24, v16
	v_addc_co_u32_e32 v25, vcc, v25, v17, vcc
	v_and_b32_e32 v81, 1, v73
	v_cmp_eq_u32_e32 vcc, 1, v81
	s_or_b64 s[50:51], vcc, s[54:55]
	v_subrev_u32_e32 v8, 64, v8
	v_cndmask_b32_e64 v81, 0, 1, s[50:51]
.LBB70_170:                             ; =>This Loop Header: Depth=1
                                        ;     Child Loop BB70_173 Depth 2
	v_cmp_ne_u16_sdwa s[50:51], v52, v80 src0_sel:BYTE_0 src1_sel:DWORD
	s_waitcnt lgkmcnt(0)
	v_cndmask_b32_e64 v16, 0, 1, s[50:51]
	;;#ASMSTART
	;;#ASMEND
	v_cmp_ne_u32_e32 vcc, 0, v16
	v_mov_b32_e32 v73, v81
	s_cmp_lg_u64 vcc, exec
	v_pk_mov_b32 v[16:17], v[24:25], v[24:25] op_sel:[0,1]
	s_cbranch_scc1 .LBB70_187
; %bb.171:                              ;   in Loop: Header=BB70_170 Depth=1
	global_load_ubyte v52, v8, s[72:73] glc
	s_waitcnt vmcnt(0)
	v_cmp_eq_u16_e32 vcc, 0, v52
	s_and_saveexec_b64 s[50:51], vcc
	s_cbranch_execz .LBB70_175
; %bb.172:                              ;   in Loop: Header=BB70_170 Depth=1
	v_mov_b32_e32 v25, s73
	v_add_co_u32_e32 v24, vcc, s72, v8
	v_addc_co_u32_e32 v25, vcc, 0, v25, vcc
	s_mov_b64 s[54:55], 0
.LBB70_173:                             ;   Parent Loop BB70_170 Depth=1
                                        ; =>  This Inner Loop Header: Depth=2
	global_load_ubyte v52, v[24:25], off glc
	s_waitcnt vmcnt(0)
	v_cmp_ne_u16_e32 vcc, 0, v52
	s_or_b64 s[54:55], vcc, s[54:55]
	s_andn2_b64 exec, exec, s[54:55]
	s_cbranch_execnz .LBB70_173
; %bb.174:                              ;   in Loop: Header=BB70_170 Depth=1
	s_or_b64 exec, exec, s[54:55]
.LBB70_175:                             ;   in Loop: Header=BB70_170 Depth=1
	s_or_b64 exec, exec, s[50:51]
	v_mov_b32_e32 v24, s71
	v_mov_b32_e32 v25, s69
	v_cmp_eq_u16_e32 vcc, 1, v52
	v_cndmask_b32_e32 v81, v24, v25, vcc
	v_mov_b32_e32 v24, s70
	v_mov_b32_e32 v25, s68
	v_cndmask_b32_e32 v82, v24, v25, vcc
	v_lshlrev_b64 v[24:25], 4, v[8:9]
	v_add_co_u32_e32 v82, vcc, v82, v24
	v_addc_co_u32_e32 v83, vcc, v81, v25, vcc
	buffer_wbinvl1_vol
	global_load_dwordx2 v[24:25], v[82:83], off
	global_load_ubyte v81, v[82:83], off offset:8
	v_cmp_eq_u16_e32 vcc, 2, v52
	v_and_b32_e32 v82, vcc_hi, v13
	v_or_b32_e32 v82, 0x80000000, v82
	v_and_b32_e32 v87, vcc_lo, v12
	v_ffbl_b32_e32 v82, v82
	v_add_u32_e32 v82, 32, v82
	v_ffbl_b32_e32 v87, v87
	v_min_u32_e32 v82, v87, v82
	v_cmp_le_u32_e32 vcc, v56, v82
	s_waitcnt vmcnt(1)
	ds_bpermute_b32 v85, v53, v24
	s_waitcnt vmcnt(0)
	v_and_b32_e32 v83, 1, v81
	ds_bpermute_b32 v86, v53, v25
	ds_bpermute_b32 v84, v53, v83
	v_cmp_eq_u32_e64 s[54:55], 1, v83
	s_and_saveexec_b64 s[50:51], vcc
	s_cbranch_execz .LBB70_177
; %bb.176:                              ;   in Loop: Header=BB70_170 Depth=1
	v_cmp_eq_u16_sdwa vcc, v81, v9 src0_sel:BYTE_0 src1_sel:DWORD
	s_waitcnt lgkmcnt(2)
	v_cndmask_b32_e32 v85, 0, v85, vcc
	s_waitcnt lgkmcnt(1)
	v_cndmask_b32_e32 v83, 0, v86, vcc
	v_add_co_u32_e32 v24, vcc, v85, v24
	v_addc_co_u32_e32 v25, vcc, v83, v25, vcc
	s_waitcnt lgkmcnt(0)
	v_and_b32_e32 v83, 1, v84
	v_or_b32_e32 v81, v83, v81
	v_and_b32_e32 v84, 1, v81
	v_cmp_eq_u32_e32 vcc, 1, v84
	s_andn2_b64 s[54:55], s[54:55], exec
	s_and_b64 s[56:57], vcc, exec
	v_and_b32_e32 v83, 0xff, v81
	s_or_b64 s[54:55], s[54:55], s[56:57]
.LBB70_177:                             ;   in Loop: Header=BB70_170 Depth=1
	s_or_b64 exec, exec, s[50:51]
	s_waitcnt lgkmcnt(2)
	ds_bpermute_b32 v85, v57, v24
	s_waitcnt lgkmcnt(2)
	ds_bpermute_b32 v86, v57, v25
	s_waitcnt lgkmcnt(2)
	ds_bpermute_b32 v84, v57, v83
	v_cmp_le_u32_e32 vcc, v60, v82
	s_and_saveexec_b64 s[56:57], vcc
	s_cbranch_execz .LBB70_179
; %bb.178:                              ;   in Loop: Header=BB70_170 Depth=1
	v_cmp_eq_u16_sdwa vcc, v81, v9 src0_sel:BYTE_0 src1_sel:DWORD
	s_waitcnt lgkmcnt(2)
	v_cndmask_b32_e32 v85, 0, v85, vcc
	s_waitcnt lgkmcnt(1)
	v_cndmask_b32_e32 v83, 0, v86, vcc
	v_add_co_u32_e32 v24, vcc, v85, v24
	v_addc_co_u32_e32 v25, vcc, v83, v25, vcc
	v_and_b32_e32 v81, 1, v81
	v_cmp_eq_u32_e32 vcc, 1, v81
	s_waitcnt lgkmcnt(0)
	v_and_b32_e32 v81, 1, v84
	v_cmp_eq_u32_e64 s[50:51], 1, v81
	s_or_b64 s[50:51], vcc, s[50:51]
	v_cndmask_b32_e64 v81, 0, 1, s[50:51]
	v_cndmask_b32_e64 v83, 0, 1, s[50:51]
	s_andn2_b64 s[54:55], s[54:55], exec
	s_and_b64 s[50:51], s[50:51], exec
	s_or_b64 s[54:55], s[54:55], s[50:51]
.LBB70_179:                             ;   in Loop: Header=BB70_170 Depth=1
	s_or_b64 exec, exec, s[56:57]
	s_waitcnt lgkmcnt(2)
	ds_bpermute_b32 v85, v61, v24
	s_waitcnt lgkmcnt(2)
	ds_bpermute_b32 v86, v61, v25
	s_waitcnt lgkmcnt(2)
	ds_bpermute_b32 v84, v61, v83
	v_cmp_le_u32_e32 vcc, v64, v82
	s_and_saveexec_b64 s[56:57], vcc
	s_cbranch_execz .LBB70_181
; %bb.180:                              ;   in Loop: Header=BB70_170 Depth=1
	v_cmp_eq_u16_sdwa vcc, v81, v9 src0_sel:BYTE_0 src1_sel:DWORD
	s_waitcnt lgkmcnt(2)
	v_cndmask_b32_e32 v85, 0, v85, vcc
	s_waitcnt lgkmcnt(1)
	v_cndmask_b32_e32 v83, 0, v86, vcc
	v_add_co_u32_e32 v24, vcc, v85, v24
	v_addc_co_u32_e32 v25, vcc, v83, v25, vcc
	v_and_b32_e32 v81, 1, v81
	v_cmp_eq_u32_e32 vcc, 1, v81
	s_waitcnt lgkmcnt(0)
	v_and_b32_e32 v81, 1, v84
	v_cmp_eq_u32_e64 s[50:51], 1, v81
	s_or_b64 s[50:51], vcc, s[50:51]
	v_cndmask_b32_e64 v81, 0, 1, s[50:51]
	v_cndmask_b32_e64 v83, 0, 1, s[50:51]
	s_andn2_b64 s[54:55], s[54:55], exec
	s_and_b64 s[50:51], s[50:51], exec
	s_or_b64 s[54:55], s[54:55], s[50:51]
.LBB70_181:                             ;   in Loop: Header=BB70_170 Depth=1
	;; [unrolled: 30-line block ×4, first 2 shown]
	s_or_b64 exec, exec, s[56:57]
	s_waitcnt lgkmcnt(0)
	ds_bpermute_b32 v84, v76, v24
	ds_bpermute_b32 v85, v76, v25
	;; [unrolled: 1-line block ×3, first 2 shown]
	v_cmp_le_u32_e32 vcc, v77, v82
	s_and_saveexec_b64 s[56:57], vcc
	s_cbranch_execz .LBB70_169
; %bb.186:                              ;   in Loop: Header=BB70_170 Depth=1
	v_cmp_eq_u16_sdwa vcc, v81, v9 src0_sel:BYTE_0 src1_sel:DWORD
	s_waitcnt lgkmcnt(2)
	v_cndmask_b32_e32 v84, 0, v84, vcc
	s_waitcnt lgkmcnt(1)
	v_cndmask_b32_e32 v82, 0, v85, vcc
	v_add_co_u32_e32 v24, vcc, v84, v24
	v_addc_co_u32_e32 v25, vcc, v82, v25, vcc
	v_and_b32_e32 v81, 1, v81
	v_cmp_eq_u32_e32 vcc, 1, v81
	s_waitcnt lgkmcnt(0)
	v_and_b32_e32 v81, 1, v83
	v_cmp_eq_u32_e64 s[50:51], 1, v81
	s_or_b64 s[50:51], vcc, s[50:51]
	s_andn2_b64 s[54:55], s[54:55], exec
	s_and_b64 s[50:51], s[50:51], exec
	s_or_b64 s[54:55], s[54:55], s[50:51]
	s_branch .LBB70_169
.LBB70_187:                             ;   in Loop: Header=BB70_170 Depth=1
                                        ; implicit-def: $vgpr81
                                        ; implicit-def: $vgpr24_vgpr25
                                        ; implicit-def: $vgpr52
	s_cbranch_execz .LBB70_170
; %bb.188:
	s_and_saveexec_b64 s[50:51], s[48:49]
	s_cbranch_execz .LBB70_190
; %bb.189:
	v_mov_b32_e32 v8, 0
	s_mov_b32 s7, 0
	v_cmp_eq_u16_sdwa vcc, v49, v8 src0_sel:BYTE_0 src1_sel:DWORD
	s_add_i32 s6, s6, 64
	v_cndmask_b32_e32 v12, 0, v16, vcc
	s_lshl_b64 s[48:49], s[6:7], 4
	v_cndmask_b32_e32 v9, 0, v17, vcc
	v_add_co_u32_e32 v4, vcc, v12, v4
	s_add_u32 s48, s70, s48
	v_addc_co_u32_e32 v5, vcc, v9, v5, vcc
	v_or_b32_e32 v9, v49, v73
	s_addc_u32 s49, s71, s49
	v_and_b32_e32 v9, 1, v9
	global_store_dwordx2 v8, v[4:5], s[48:49]
	global_store_byte v8, v9, s[48:49] offset:8
	v_mov_b32_e32 v4, s6
	v_mov_b32_e32 v5, 2
	s_waitcnt vmcnt(0) lgkmcnt(0)
	buffer_wbinvl1_vol
	global_store_byte v4, v5, s[72:73]
.LBB70_190:
	s_or_b64 exec, exec, s[50:51]
	v_cmp_eq_u32_e32 vcc, 0, v0
	s_and_b64 exec, exec, vcc
	s_cbranch_execz .LBB70_192
; %bb.191:
	v_mov_b32_e32 v4, 0
	ds_write_b64 v4, v[16:17]
	ds_write_b8 v4, v73 offset:8
.LBB70_192:
	s_or_b64 exec, exec, s[52:53]
	v_mov_b32_e32 v12, 0
	s_waitcnt lgkmcnt(0)
	; wave barrier
	s_waitcnt lgkmcnt(0)
	ds_read_b64 v[4:5], v12
	v_cmp_ne_u32_e32 vcc, 0, v0
	v_mov_b32_e32 v13, v1
	v_pk_mov_b32 v[8:9], v[2:3], v[2:3] op_sel:[0,1]
	s_and_saveexec_b64 s[6:7], vcc
; %bb.193:
	v_cmp_eq_u16_sdwa vcc, v1, v12 src0_sel:BYTE_0 src1_sel:DWORD
	v_cndmask_b32_e32 v8, 0, v45, vcc
	v_cndmask_b32_e32 v9, 0, v48, vcc
	v_add_co_u32_e32 v8, vcc, v8, v2
	v_addc_co_u32_e32 v9, vcc, v9, v3, vcc
	v_and_b32_e32 v13, 1, v44
	v_cmp_eq_u32_e32 vcc, 1, v13
	s_or_b64 s[36:37], s[36:37], vcc
	v_cndmask_b32_e64 v13, 0, 1, s[36:37]
; %bb.194:
	s_or_b64 exec, exec, s[6:7]
	v_cmp_eq_u16_sdwa vcc, v13, v12 src0_sel:BYTE_0 src1_sel:DWORD
	s_waitcnt lgkmcnt(0)
	v_cndmask_b32_e32 v4, 0, v4, vcc
	v_cndmask_b32_e32 v5, 0, v5, vcc
	v_add_co_u32_e32 v122, vcc, v4, v8
	v_addc_co_u32_e32 v123, vcc, v5, v9, vcc
	v_cndmask_b32_e64 v5, 0, v122, s[2:3]
	v_cndmask_b32_e64 v4, 0, v123, s[2:3]
	v_add_co_u32_e32 v82, vcc, v5, v18
	v_addc_co_u32_e32 v83, vcc, v4, v19, vcc
	v_cndmask_b32_e64 v5, 0, v82, s[66:67]
	v_cndmask_b32_e64 v4, 0, v83, s[66:67]
	;; [unrolled: 4-line block ×20, first 2 shown]
	v_add_co_u32_e32 v120, vcc, v5, v20
	v_addc_co_u32_e32 v121, vcc, v4, v21, vcc
	s_branch .LBB70_217
.LBB70_195:
                                        ; implicit-def: $vgpr122_vgpr123
                                        ; implicit-def: $vgpr120_vgpr121
                                        ; implicit-def: $vgpr76_vgpr77
                                        ; implicit-def: $vgpr72_vgpr73
                                        ; implicit-def: $vgpr68_vgpr69
                                        ; implicit-def: $vgpr64_vgpr65
                                        ; implicit-def: $vgpr60_vgpr61
                                        ; implicit-def: $vgpr56_vgpr57
                                        ; implicit-def: $vgpr52_vgpr53
                                        ; implicit-def: $vgpr48_vgpr49
                                        ; implicit-def: $vgpr44_vgpr45
                                        ; implicit-def: $vgpr116_vgpr117_vgpr118_vgpr119
                                        ; implicit-def: $vgpr112_vgpr113_vgpr114_vgpr115
                                        ; implicit-def: $vgpr108_vgpr109_vgpr110_vgpr111
                                        ; implicit-def: $vgpr104_vgpr105_vgpr106_vgpr107
                                        ; implicit-def: $vgpr100_vgpr101_vgpr102_vgpr103
                                        ; implicit-def: $vgpr96_vgpr97_vgpr98_vgpr99
                                        ; implicit-def: $vgpr92_vgpr93_vgpr94_vgpr95
                                        ; implicit-def: $vgpr88_vgpr89_vgpr90_vgpr91
                                        ; implicit-def: $vgpr84_vgpr85_vgpr86_vgpr87
                                        ; implicit-def: $vgpr80_vgpr81_vgpr82_vgpr83
	s_cbranch_execz .LBB70_217
; %bb.196:
	s_cmp_lg_u64 s[92:93], 0
	s_cselect_b64 s[6:7], -1, 0
	v_cmp_eq_u32_e32 vcc, 0, v0
	v_cmp_ne_u32_e64 s[2:3], 0, v0
	s_and_b64 s[6:7], vcc, s[6:7]
	s_and_saveexec_b64 s[8:9], s[6:7]
	s_cbranch_execz .LBB70_198
; %bb.197:
	v_mov_b32_e32 v4, 0
	global_load_ubyte v5, v4, s[92:93] offset:8
	s_load_dwordx2 s[10:11], s[92:93], 0x0
	v_cmp_eq_u16_sdwa s[6:7], v1, v4 src0_sel:BYTE_0 src1_sel:DWORD
	s_waitcnt lgkmcnt(0)
	v_mov_b32_e32 v8, s11
	v_cndmask_b32_e64 v4, 0, v8, s[6:7]
	v_mov_b32_e32 v8, s10
	v_cndmask_b32_e64 v8, 0, v8, s[6:7]
	v_add_co_u32_e64 v2, s[6:7], v8, v2
	v_addc_co_u32_e64 v3, s[6:7], v4, v3, s[6:7]
	s_waitcnt vmcnt(0)
	v_or_b32_e32 v1, v1, v5
	v_and_b32_e32 v1, 1, v1
.LBB70_198:
	s_or_b64 exec, exec, s[8:9]
	v_and_b32_e32 v4, 1, v1
	v_cmp_eq_u32_e64 s[48:49], 1, v4
	v_mov_b32_e32 v4, 0
	v_cmp_eq_u16_sdwa s[6:7], v130, v4 src0_sel:BYTE_0 src1_sel:DWORD
	v_cndmask_b32_e64 v8, 0, v2, s[6:7]
	v_cndmask_b32_e64 v5, 0, v3, s[6:7]
	v_add_co_u32_e64 v82, s[8:9], v8, v18
	v_addc_co_u32_e64 v83, s[8:9], v5, v19, s[8:9]
	v_cmp_eq_u16_sdwa s[8:9], v132, v4 src0_sel:BYTE_0 src1_sel:DWORD
	v_cndmask_b32_e64 v8, 0, v82, s[8:9]
	s_movk_i32 s44, 0xff
	v_cndmask_b32_e64 v5, 0, v83, s[8:9]
	v_add_co_u32_e64 v84, s[10:11], v8, v6
	v_addc_co_u32_e64 v85, s[10:11], v5, v7, s[10:11]
	v_and_b32_sdwa v5, v130, s44 dst_sel:DWORD dst_unused:UNUSED_PAD src0_sel:WORD_1 src1_sel:DWORD
	v_cmp_eq_u16_e64 s[10:11], 0, v5
	v_cndmask_b32_e64 v8, 0, v84, s[10:11]
	v_cndmask_b32_e64 v5, 0, v85, s[10:11]
	v_add_co_u32_e64 v44, s[12:13], v8, v26
	v_addc_co_u32_e64 v45, s[12:13], v5, v27, s[12:13]
	v_cmp_eq_u16_sdwa s[12:13], v130, v4 src0_sel:BYTE_3 src1_sel:DWORD
	v_cndmask_b32_e64 v8, 0, v44, s[12:13]
	v_cndmask_b32_e64 v5, 0, v45, s[12:13]
	v_add_co_u32_e64 v88, s[14:15], v8, v14
	v_addc_co_u32_e64 v89, s[14:15], v5, v15, s[14:15]
	v_cmp_eq_u16_sdwa s[14:15], v125, v4 src0_sel:BYTE_0 src1_sel:DWORD
	v_cndmask_b32_e64 v8, 0, v88, s[14:15]
	v_cndmask_b32_e64 v5, 0, v89, s[14:15]
	v_add_co_u32_e64 v48, s[16:17], v8, v34
	v_addc_co_u32_e64 v49, s[16:17], v5, v35, s[16:17]
	v_cmp_eq_u16_sdwa s[16:17], v129, v4 src0_sel:BYTE_0 src1_sel:DWORD
	v_cndmask_b32_e64 v8, 0, v48, s[16:17]
	v_cndmask_b32_e64 v5, 0, v49, s[16:17]
	v_add_co_u32_e64 v92, s[18:19], v8, v22
	v_addc_co_u32_e64 v93, s[18:19], v5, v23, s[18:19]
	v_cmp_eq_u16_sdwa s[18:19], v41, v4 src0_sel:BYTE_0 src1_sel:DWORD
	v_cndmask_b32_e64 v8, 0, v92, s[18:19]
	v_cndmask_b32_e64 v5, 0, v93, s[18:19]
	v_add_co_u32_e64 v52, s[20:21], v8, v42
	v_addc_co_u32_e64 v53, s[20:21], v5, v43, s[20:21]
	v_and_b32_sdwa v5, v129, s44 dst_sel:DWORD dst_unused:UNUSED_PAD src0_sel:WORD_1 src1_sel:DWORD
	v_cmp_eq_u16_e64 s[20:21], 0, v5
	v_cndmask_b32_e64 v8, 0, v52, s[20:21]
	v_cndmask_b32_e64 v5, 0, v53, s[20:21]
	v_add_co_u32_e64 v96, s[22:23], v8, v30
	v_addc_co_u32_e64 v97, s[22:23], v5, v31, s[22:23]
	v_cmp_eq_u16_sdwa s[22:23], v129, v4 src0_sel:BYTE_3 src1_sel:DWORD
	v_cndmask_b32_e64 v8, 0, v96, s[22:23]
	v_cndmask_b32_e64 v5, 0, v97, s[22:23]
	v_add_co_u32_e64 v56, s[24:25], v8, v50
	v_addc_co_u32_e64 v57, s[24:25], v5, v51, s[24:25]
	v_cmp_eq_u16_sdwa s[24:25], v126, v4 src0_sel:BYTE_0 src1_sel:DWORD
	v_cndmask_b32_e64 v8, 0, v56, s[24:25]
	v_cndmask_b32_e64 v5, 0, v57, s[24:25]
	v_add_co_u32_e64 v100, s[26:27], v8, v38
	v_addc_co_u32_e64 v101, s[26:27], v5, v39, s[26:27]
	v_cmp_eq_u16_sdwa s[26:27], v128, v4 src0_sel:BYTE_0 src1_sel:DWORD
	v_cndmask_b32_e64 v8, 0, v100, s[26:27]
	v_cndmask_b32_e64 v5, 0, v101, s[26:27]
	v_add_co_u32_e64 v60, s[28:29], v8, v58
	v_addc_co_u32_e64 v61, s[28:29], v5, v59, s[28:29]
	v_cmp_eq_u16_sdwa s[28:29], v37, v4 src0_sel:BYTE_0 src1_sel:DWORD
	v_cndmask_b32_e64 v8, 0, v60, s[28:29]
	;; [unrolled: 26-line block ×3, first 2 shown]
	v_cndmask_b32_e64 v5, 0, v113, s[40:41]
	v_add_co_u32_e64 v72, s[42:43], v8, v78
	v_addc_co_u32_e64 v73, s[42:43], v5, v79, s[42:43]
	v_and_b32_sdwa v5, v127, s44 dst_sel:DWORD dst_unused:UNUSED_PAD src0_sel:WORD_1 src1_sel:DWORD
	v_cmp_eq_u16_e64 s[42:43], 0, v5
	v_cndmask_b32_e64 v8, 0, v72, s[42:43]
	v_cndmask_b32_e64 v5, 0, v73, s[42:43]
	v_add_co_u32_e64 v116, s[44:45], v8, v70
	v_addc_co_u32_e64 v117, s[44:45], v5, v71, s[44:45]
	v_cmp_eq_u16_sdwa s[44:45], v127, v4 src0_sel:BYTE_3 src1_sel:DWORD
	v_cndmask_b32_e64 v8, 0, v116, s[44:45]
	v_cndmask_b32_e64 v5, 0, v117, s[44:45]
	v_add_co_u32_e64 v76, s[46:47], v8, v10
	v_addc_co_u32_e64 v77, s[46:47], v5, v11, s[46:47]
	v_cmp_eq_u16_sdwa s[46:47], v28, v4 src0_sel:BYTE_0 src1_sel:DWORD
	v_cndmask_b32_e64 v5, 0, v76, s[46:47]
	v_cndmask_b32_e64 v4, 0, v77, s[46:47]
	v_add_co_u32_e64 v120, s[56:57], v5, v20
	v_addc_co_u32_e64 v121, s[56:57], v4, v21, s[56:57]
	v_or_b32_e32 v4, v127, v128
	v_or3_b32 v4, v4, v129, v130
	v_lshrrev_b16_e32 v8, 7, v4
	v_and_b32_e32 v5, 1, v4
	v_and_b32_e32 v8, 2, v8
	v_or_b32_e32 v5, v5, v8
	v_lshrrev_b32_e32 v8, 23, v4
	v_mov_b32_e32 v9, 1
	v_and_b32_e32 v8, 2, v8
	v_and_b32_sdwa v4, v4, v9 dst_sel:DWORD dst_unused:UNUSED_PAD src0_sel:WORD_1 src1_sel:DWORD
	v_or_b32_e32 v4, v4, v8
	v_lshlrev_b16_e32 v4, 2, v4
	v_or_b32_e32 v4, v5, v4
	v_cmp_eq_u32_e64 s[56:57], 1, v32
	v_cmp_ne_u16_e64 s[58:59], 0, v4
	v_cmp_eq_u32_e64 s[54:55], 1, v33
	s_or_b64 s[56:57], s[58:59], s[56:57]
	v_cmp_eq_u32_e64 s[52:53], 1, v40
	s_or_b64 s[54:55], s[56:57], s[54:55]
	v_cmp_eq_u32_e64 s[50:51], 1, v131
	s_or_b64 s[52:53], s[54:55], s[52:53]
	s_or_b64 s[50:51], s[52:53], s[50:51]
	s_or_b64 s[50:51], s[50:51], s[48:49]
	v_mbcnt_hi_u32_b32 v12, -1, v29
	v_and_b32_e32 v17, 15, v12
	v_cndmask_b32_e64 v16, 0, 1, s[50:51]
	v_cndmask_b32_e64 v13, 0, 1, s[50:51]
	v_mov_b32_dpp v24, v120 row_shr:1 row_mask:0xf bank_mask:0xf
	v_mov_b32_dpp v25, v121 row_shr:1 row_mask:0xf bank_mask:0xf
	;; [unrolled: 1-line block ×3, first 2 shown]
	v_cmp_ne_u32_e64 s[48:49], 0, v17
	v_mov_b32_e32 v4, v120
	v_mov_b32_e32 v5, v121
	v_pk_mov_b32 v[8:9], v[120:121], v[120:121] op_sel:[0,1]
	s_and_saveexec_b64 s[52:53], s[48:49]
; %bb.199:
	v_and_b32_e32 v4, 1, v28
	v_or_b32_e32 v13, v4, v13
	v_cndmask_b32_e64 v4, v24, 0, s[50:51]
	v_cndmask_b32_e64 v5, v25, 0, s[50:51]
	v_add_co_u32_e64 v4, s[48:49], v120, v4
	v_addc_co_u32_e64 v5, s[48:49], v121, v5, s[48:49]
	v_and_b32_e32 v16, 0xffff, v13
	v_pk_mov_b32 v[8:9], v[4:5], v[4:5] op_sel:[0,1]
; %bb.200:
	s_or_b64 exec, exec, s[52:53]
	v_mov_b32_dpp v24, v4 row_shr:2 row_mask:0xf bank_mask:0xf
	v_mov_b32_dpp v25, v5 row_shr:2 row_mask:0xf bank_mask:0xf
	v_mov_b32_dpp v28, v16 row_shr:2 row_mask:0xf bank_mask:0xf
	v_cmp_lt_u32_e64 s[48:49], 1, v17
	s_and_saveexec_b64 s[52:53], s[48:49]
	s_cbranch_execz .LBB70_202
; %bb.201:
	v_and_b32_e32 v4, 1, v13
	v_cmp_eq_u32_e64 s[48:49], 1, v4
	v_and_b32_e32 v4, 1, v28
	v_cmp_eq_u32_e64 s[50:51], 1, v4
	s_or_b64 s[50:51], s[48:49], s[50:51]
	v_cmp_eq_u16_e64 s[48:49], 0, v13
	v_cndmask_b32_e64 v4, 0, v24, s[48:49]
	v_cndmask_b32_e64 v5, 0, v25, s[48:49]
	v_add_co_u32_e64 v4, s[48:49], v4, v8
	v_cndmask_b32_e64 v28, 0, 1, s[50:51]
	v_addc_co_u32_e64 v5, s[48:49], v5, v9, s[48:49]
	v_cndmask_b32_e64 v16, 0, 1, s[50:51]
	v_mov_b32_e32 v13, v28
	v_pk_mov_b32 v[8:9], v[4:5], v[4:5] op_sel:[0,1]
.LBB70_202:
	s_or_b64 exec, exec, s[52:53]
	v_mov_b32_dpp v24, v4 row_shr:4 row_mask:0xf bank_mask:0xf
	v_mov_b32_dpp v25, v5 row_shr:4 row_mask:0xf bank_mask:0xf
	v_mov_b32_dpp v28, v16 row_shr:4 row_mask:0xf bank_mask:0xf
	v_cmp_lt_u32_e64 s[48:49], 3, v17
	s_and_saveexec_b64 s[52:53], s[48:49]
	s_cbranch_execz .LBB70_204
; %bb.203:
	v_and_b32_e32 v4, 1, v13
	v_cmp_eq_u32_e64 s[48:49], 1, v4
	v_and_b32_e32 v4, 1, v28
	v_cmp_eq_u32_e64 s[50:51], 1, v4
	s_or_b64 s[50:51], s[48:49], s[50:51]
	v_cmp_eq_u16_e64 s[48:49], 0, v13
	v_cndmask_b32_e64 v4, 0, v24, s[48:49]
	v_cndmask_b32_e64 v5, 0, v25, s[48:49]
	v_add_co_u32_e64 v4, s[48:49], v4, v8
	v_cndmask_b32_e64 v28, 0, 1, s[50:51]
	v_addc_co_u32_e64 v5, s[48:49], v5, v9, s[48:49]
	v_cndmask_b32_e64 v16, 0, 1, s[50:51]
	v_mov_b32_e32 v13, v28
	v_pk_mov_b32 v[8:9], v[4:5], v[4:5] op_sel:[0,1]
.LBB70_204:
	;; [unrolled: 23-line block ×3, first 2 shown]
	s_or_b64 exec, exec, s[52:53]
	v_and_b32_e32 v28, 16, v12
	v_mov_b32_dpp v17, v4 row_bcast:15 row_mask:0xf bank_mask:0xf
	v_mov_b32_dpp v24, v5 row_bcast:15 row_mask:0xf bank_mask:0xf
	v_mov_b32_dpp v25, v16 row_bcast:15 row_mask:0xf bank_mask:0xf
	v_cmp_ne_u32_e64 s[48:49], 0, v28
	s_and_saveexec_b64 s[52:53], s[48:49]
	s_cbranch_execz .LBB70_208
; %bb.207:
	v_and_b32_e32 v4, 1, v13
	v_cmp_eq_u32_e64 s[48:49], 1, v4
	v_and_b32_e32 v4, 1, v25
	v_cmp_eq_u32_e64 s[50:51], 1, v4
	s_or_b64 s[50:51], s[48:49], s[50:51]
	v_cmp_eq_u16_e64 s[48:49], 0, v13
	v_cndmask_b32_e64 v4, 0, v17, s[48:49]
	v_cndmask_b32_e64 v5, 0, v24, s[48:49]
	v_add_co_u32_e64 v4, s[48:49], v4, v8
	v_cndmask_b32_e64 v25, 0, 1, s[50:51]
	v_addc_co_u32_e64 v5, s[48:49], v5, v9, s[48:49]
	v_cndmask_b32_e64 v16, 0, 1, s[50:51]
	v_mov_b32_e32 v13, v25
	v_pk_mov_b32 v[8:9], v[4:5], v[4:5] op_sel:[0,1]
.LBB70_208:
	s_or_b64 exec, exec, s[52:53]
	v_mov_b32_dpp v17, v4 row_bcast:31 row_mask:0xf bank_mask:0xf
	v_mov_b32_dpp v24, v5 row_bcast:31 row_mask:0xf bank_mask:0xf
	;; [unrolled: 1-line block ×3, first 2 shown]
	v_cmp_lt_u32_e64 s[48:49], 31, v12
	s_and_saveexec_b64 s[52:53], s[48:49]
	s_cbranch_execz .LBB70_210
; %bb.209:
	v_and_b32_e32 v4, 1, v13
	v_cmp_eq_u32_e64 s[48:49], 1, v4
	v_and_b32_e32 v4, 1, v16
	v_cmp_eq_u32_e64 s[50:51], 1, v4
	s_or_b64 s[48:49], s[48:49], s[50:51]
	v_cndmask_b32_e64 v16, 0, 1, s[48:49]
	v_cmp_eq_u16_e64 s[48:49], 0, v13
	v_cndmask_b32_e64 v4, 0, v17, s[48:49]
	v_cndmask_b32_e64 v5, 0, v24, s[48:49]
	v_add_co_u32_e64 v4, s[48:49], v4, v8
	v_addc_co_u32_e64 v5, s[48:49], v5, v9, s[48:49]
	v_mov_b32_e32 v13, v16
	v_pk_mov_b32 v[8:9], v[4:5], v[4:5] op_sel:[0,1]
.LBB70_210:
	s_or_b64 exec, exec, s[52:53]
	v_cmp_eq_u32_e64 s[48:49], 63, v0
	s_and_saveexec_b64 s[50:51], s[48:49]
	s_cbranch_execz .LBB70_212
; %bb.211:
	v_mov_b32_e32 v16, 0
	ds_write_b64 v16, v[8:9]
	ds_write_b8 v16, v13 offset:8
.LBB70_212:
	s_or_b64 exec, exec, s[50:51]
	v_add_u32_e32 v8, -1, v12
	v_and_b32_e32 v9, 64, v12
	v_cmp_lt_i32_e64 s[48:49], v8, v9
	v_cndmask_b32_e64 v8, v8, v12, s[48:49]
	v_lshlrev_b32_e32 v8, 2, v8
	ds_bpermute_b32 v4, v8, v4
	ds_bpermute_b32 v5, v8, v5
	s_waitcnt lgkmcnt(0)
	; wave barrier
	s_waitcnt lgkmcnt(0)
	s_and_saveexec_b64 s[48:49], s[2:3]
	s_cbranch_execz .LBB70_214
; %bb.213:
	v_mov_b32_e32 v8, 0
	v_cmp_eq_u16_sdwa s[2:3], v1, v8 src0_sel:BYTE_0 src1_sel:DWORD
	v_cndmask_b32_e64 v4, 0, v4, s[2:3]
	v_cndmask_b32_e64 v1, 0, v5, s[2:3]
	v_add_co_u32_e64 v2, s[2:3], v4, v2
	v_addc_co_u32_e64 v3, s[2:3], v1, v3, s[2:3]
	v_cndmask_b32_e64 v4, 0, v2, s[6:7]
	v_cndmask_b32_e64 v1, 0, v3, s[6:7]
	v_add_co_u32_e64 v82, s[2:3], v4, v18
	v_addc_co_u32_e64 v83, s[2:3], v1, v19, s[2:3]
	;; [unrolled: 4-line block ×21, first 2 shown]
.LBB70_214:
	s_or_b64 exec, exec, s[48:49]
	s_and_saveexec_b64 s[2:3], vcc
	s_cbranch_execz .LBB70_216
; %bb.215:
	v_mov_b32_e32 v1, 0
	ds_read_b64 v[4:5], v1
	ds_read_u8 v6, v1 offset:8
	v_mov_b32_e32 v7, 2
	s_waitcnt lgkmcnt(1)
	global_store_dwordx2 v1, v[4:5], s[70:71] offset:1024
	s_waitcnt lgkmcnt(0)
	global_store_byte v1, v6, s[70:71] offset:1032
	s_waitcnt vmcnt(0)
	buffer_wbinvl1_vol
	global_store_byte v1, v7, s[72:73] offset:64
.LBB70_216:
	s_or_b64 exec, exec, s[2:3]
	v_pk_mov_b32 v[122:123], v[2:3], v[2:3] op_sel:[0,1]
.LBB70_217:
	s_load_dwordx2 s[2:3], s[4:5], 0x18
	v_lshlrev_b32_e32 v46, 3, v0
	s_waitcnt lgkmcnt(0)
	s_add_u32 s2, s2, s90
	s_addc_u32 s3, s3, s91
	s_and_b64 vcc, exec, s[0:1]
	s_cbranch_vccz .LBB70_259
; %bb.218:
	s_movk_i32 s0, 0xa8
	v_mul_i32_i24_e32 v50, 0xffffff60, v0
	v_mul_u32_u24_e32 v47, 0xa8, v0
	v_mad_u32_u24 v2, v0, s0, v50
	s_waitcnt lgkmcnt(0)
	; wave barrier
	ds_write2_b64 v47, v[122:123], v[82:83] offset1:1
	ds_write2_b64 v47, v[84:85], v[44:45] offset0:2 offset1:3
	ds_write2_b64 v47, v[88:89], v[48:49] offset0:4 offset1:5
	;; [unrolled: 1-line block ×9, first 2 shown]
	ds_write_b64 v47, v[120:121] offset:160
	s_waitcnt lgkmcnt(0)
	; wave barrier
	s_waitcnt lgkmcnt(0)
	ds_read2st64_b64 v[38:41], v2 offset0:1 offset1:2
	ds_read2st64_b64 v[34:37], v2 offset0:3 offset1:4
	;; [unrolled: 1-line block ×10, first 2 shown]
	v_mov_b32_e32 v43, s3
	v_add_co_u32_e32 v42, vcc, s2, v46
	s_add_i32 s33, s33, s74
	v_addc_co_u32_e32 v43, vcc, 0, v43, vcc
	v_mov_b32_e32 v1, 0
	v_cmp_gt_u32_e32 vcc, s33, v0
	s_and_saveexec_b64 s[0:1], vcc
	s_cbranch_execz .LBB70_220
; %bb.219:
	v_add_u32_e32 v47, v47, v50
	ds_read_b64 v[50:51], v47
	s_waitcnt lgkmcnt(0)
	global_store_dwordx2 v[42:43], v[50:51], off
.LBB70_220:
	s_or_b64 exec, exec, s[0:1]
	v_or_b32_e32 v47, 64, v0
	v_cmp_gt_u32_e32 vcc, s33, v47
	s_and_saveexec_b64 s[0:1], vcc
	s_cbranch_execz .LBB70_222
; %bb.221:
	s_waitcnt lgkmcnt(9)
	global_store_dwordx2 v[42:43], v[38:39], off offset:512
.LBB70_222:
	s_or_b64 exec, exec, s[0:1]
	s_waitcnt lgkmcnt(9)
	v_or_b32_e32 v38, 0x80, v0
	v_cmp_gt_u32_e32 vcc, s33, v38
	s_and_saveexec_b64 s[0:1], vcc
	s_cbranch_execz .LBB70_224
; %bb.223:
	global_store_dwordx2 v[42:43], v[40:41], off offset:1024
.LBB70_224:
	s_or_b64 exec, exec, s[0:1]
	v_or_b32_e32 v38, 0xc0, v0
	v_cmp_gt_u32_e32 vcc, s33, v38
	s_and_saveexec_b64 s[0:1], vcc
	s_cbranch_execz .LBB70_226
; %bb.225:
	s_waitcnt lgkmcnt(8)
	global_store_dwordx2 v[42:43], v[34:35], off offset:1536
.LBB70_226:
	s_or_b64 exec, exec, s[0:1]
	s_waitcnt lgkmcnt(8)
	v_or_b32_e32 v34, 0x100, v0
	v_cmp_gt_u32_e32 vcc, s33, v34
	s_and_saveexec_b64 s[0:1], vcc
	s_cbranch_execz .LBB70_228
; %bb.227:
	global_store_dwordx2 v[42:43], v[36:37], off offset:2048
.LBB70_228:
	;; [unrolled: 18-line block ×3, first 2 shown]
	s_or_b64 exec, exec, s[0:1]
	v_or_b32_e32 v30, 0x1c0, v0
	v_cmp_gt_u32_e32 vcc, s33, v30
	s_and_saveexec_b64 s[0:1], vcc
	s_cbranch_execz .LBB70_234
; %bb.233:
	s_waitcnt lgkmcnt(6)
	global_store_dwordx2 v[42:43], v[26:27], off offset:3584
.LBB70_234:
	s_or_b64 exec, exec, s[0:1]
	s_waitcnt lgkmcnt(6)
	v_or_b32_e32 v26, 0x200, v0
	v_cmp_gt_u32_e32 vcc, s33, v26
	s_and_saveexec_b64 s[0:1], vcc
	s_cbranch_execz .LBB70_236
; %bb.235:
	v_add_co_u32_e32 v26, vcc, 0x1000, v42
	v_addc_co_u32_e32 v27, vcc, 0, v43, vcc
	global_store_dwordx2 v[26:27], v[28:29], off
.LBB70_236:
	s_or_b64 exec, exec, s[0:1]
	v_or_b32_e32 v26, 0x240, v0
	v_cmp_gt_u32_e32 vcc, s33, v26
	s_and_saveexec_b64 s[0:1], vcc
	s_cbranch_execz .LBB70_238
; %bb.237:
	v_add_co_u32_e32 v26, vcc, 0x1000, v42
	v_addc_co_u32_e32 v27, vcc, 0, v43, vcc
	s_waitcnt lgkmcnt(5)
	global_store_dwordx2 v[26:27], v[22:23], off offset:512
.LBB70_238:
	s_or_b64 exec, exec, s[0:1]
	s_waitcnt lgkmcnt(5)
	v_or_b32_e32 v22, 0x280, v0
	v_cmp_gt_u32_e32 vcc, s33, v22
	s_and_saveexec_b64 s[0:1], vcc
	s_cbranch_execz .LBB70_240
; %bb.239:
	v_add_co_u32_e32 v22, vcc, 0x1000, v42
	v_addc_co_u32_e32 v23, vcc, 0, v43, vcc
	global_store_dwordx2 v[22:23], v[24:25], off offset:1024
.LBB70_240:
	s_or_b64 exec, exec, s[0:1]
	v_or_b32_e32 v22, 0x2c0, v0
	v_cmp_gt_u32_e32 vcc, s33, v22
	s_and_saveexec_b64 s[0:1], vcc
	s_cbranch_execz .LBB70_242
; %bb.241:
	v_add_co_u32_e32 v22, vcc, 0x1000, v42
	v_addc_co_u32_e32 v23, vcc, 0, v43, vcc
	s_waitcnt lgkmcnt(4)
	global_store_dwordx2 v[22:23], v[18:19], off offset:1536
.LBB70_242:
	s_or_b64 exec, exec, s[0:1]
	s_waitcnt lgkmcnt(4)
	v_or_b32_e32 v18, 0x300, v0
	v_cmp_gt_u32_e32 vcc, s33, v18
	s_and_saveexec_b64 s[0:1], vcc
	s_cbranch_execz .LBB70_244
; %bb.243:
	v_add_co_u32_e32 v18, vcc, 0x1000, v42
	v_addc_co_u32_e32 v19, vcc, 0, v43, vcc
	global_store_dwordx2 v[18:19], v[20:21], off offset:2048
.LBB70_244:
	s_or_b64 exec, exec, s[0:1]
	v_or_b32_e32 v18, 0x340, v0
	v_cmp_gt_u32_e32 vcc, s33, v18
	s_and_saveexec_b64 s[0:1], vcc
	s_cbranch_execz .LBB70_246
; %bb.245:
	v_add_co_u32_e32 v18, vcc, 0x1000, v42
	v_addc_co_u32_e32 v19, vcc, 0, v43, vcc
	s_waitcnt lgkmcnt(3)
	global_store_dwordx2 v[18:19], v[14:15], off offset:2560
.LBB70_246:
	s_or_b64 exec, exec, s[0:1]
	s_waitcnt lgkmcnt(3)
	v_or_b32_e32 v14, 0x380, v0
	v_cmp_gt_u32_e32 vcc, s33, v14
	s_and_saveexec_b64 s[0:1], vcc
	s_cbranch_execz .LBB70_248
; %bb.247:
	v_add_co_u32_e32 v14, vcc, 0x1000, v42
	v_addc_co_u32_e32 v15, vcc, 0, v43, vcc
	global_store_dwordx2 v[14:15], v[16:17], off offset:3072
.LBB70_248:
	s_or_b64 exec, exec, s[0:1]
	v_or_b32_e32 v14, 0x3c0, v0
	v_cmp_gt_u32_e32 vcc, s33, v14
	s_and_saveexec_b64 s[0:1], vcc
	s_cbranch_execz .LBB70_250
; %bb.249:
	v_add_co_u32_e32 v14, vcc, 0x1000, v42
	v_addc_co_u32_e32 v15, vcc, 0, v43, vcc
	s_waitcnt lgkmcnt(2)
	global_store_dwordx2 v[14:15], v[10:11], off offset:3584
.LBB70_250:
	s_or_b64 exec, exec, s[0:1]
	s_waitcnt lgkmcnt(2)
	v_or_b32_e32 v10, 0x400, v0
	v_cmp_gt_u32_e32 vcc, s33, v10
	s_and_saveexec_b64 s[0:1], vcc
	s_cbranch_execz .LBB70_252
; %bb.251:
	v_add_co_u32_e32 v10, vcc, 0x2000, v42
	v_addc_co_u32_e32 v11, vcc, 0, v43, vcc
	global_store_dwordx2 v[10:11], v[12:13], off
.LBB70_252:
	s_or_b64 exec, exec, s[0:1]
	v_or_b32_e32 v10, 0x440, v0
	v_cmp_gt_u32_e32 vcc, s33, v10
	s_and_saveexec_b64 s[0:1], vcc
	s_cbranch_execz .LBB70_254
; %bb.253:
	v_add_co_u32_e32 v10, vcc, 0x2000, v42
	v_addc_co_u32_e32 v11, vcc, 0, v43, vcc
	s_waitcnt lgkmcnt(1)
	global_store_dwordx2 v[10:11], v[6:7], off offset:512
.LBB70_254:
	s_or_b64 exec, exec, s[0:1]
	s_waitcnt lgkmcnt(1)
	v_or_b32_e32 v6, 0x480, v0
	v_cmp_gt_u32_e32 vcc, s33, v6
	s_and_saveexec_b64 s[0:1], vcc
	s_cbranch_execz .LBB70_256
; %bb.255:
	v_add_co_u32_e32 v6, vcc, 0x2000, v42
	v_addc_co_u32_e32 v7, vcc, 0, v43, vcc
	global_store_dwordx2 v[6:7], v[8:9], off offset:1024
.LBB70_256:
	s_or_b64 exec, exec, s[0:1]
	v_or_b32_e32 v6, 0x4c0, v0
	v_cmp_gt_u32_e32 vcc, s33, v6
	s_and_saveexec_b64 s[0:1], vcc
	s_cbranch_execz .LBB70_258
; %bb.257:
	v_add_co_u32_e32 v6, vcc, 0x2000, v42
	v_addc_co_u32_e32 v7, vcc, 0, v43, vcc
	s_waitcnt lgkmcnt(0)
	global_store_dwordx2 v[6:7], v[2:3], off offset:1536
.LBB70_258:
	s_or_b64 exec, exec, s[0:1]
	s_waitcnt lgkmcnt(0)
	v_or_b32_e32 v2, 0x500, v0
	v_cmp_gt_u32_e64 s[0:1], s33, v2
	s_branch .LBB70_261
.LBB70_259:
	s_mov_b64 s[0:1], 0
                                        ; implicit-def: $vgpr4_vgpr5
	s_cbranch_execz .LBB70_261
; %bb.260:
	s_movk_i32 s4, 0xa8
	v_mul_i32_i24_e32 v2, 0xffffff60, v0
	v_mul_u32_u24_e32 v1, 0xa8, v0
	v_mad_u32_u24 v2, v0, s4, v2
	s_waitcnt lgkmcnt(0)
	; wave barrier
	ds_write2_b64 v1, v[122:123], v[82:83] offset1:1
	ds_write2_b64 v1, v[84:85], v[44:45] offset0:2 offset1:3
	ds_write2_b64 v1, v[88:89], v[48:49] offset0:4 offset1:5
	;; [unrolled: 1-line block ×9, first 2 shown]
	ds_write_b64 v1, v[120:121] offset:160
	s_waitcnt lgkmcnt(0)
	; wave barrier
	s_waitcnt lgkmcnt(0)
	ds_read2st64_b64 v[6:9], v2 offset1:1
	ds_read2st64_b64 v[10:13], v2 offset0:2 offset1:3
	ds_read2st64_b64 v[14:17], v2 offset0:4 offset1:5
	;; [unrolled: 1-line block ×9, first 2 shown]
	ds_read_b64 v[4:5], v2 offset:10240
	v_mov_b32_e32 v2, s3
	v_add_co_u32_e32 v47, vcc, s2, v46
	v_addc_co_u32_e32 v48, vcc, 0, v2, vcc
	s_movk_i32 s4, 0x1000
	v_add_co_u32_e32 v2, vcc, s4, v47
	v_addc_co_u32_e32 v3, vcc, 0, v48, vcc
	s_waitcnt lgkmcnt(10)
	global_store_dwordx2 v46, v[6:7], s[2:3]
	global_store_dwordx2 v46, v[8:9], s[2:3] offset:512
	s_waitcnt lgkmcnt(9)
	global_store_dwordx2 v46, v[10:11], s[2:3] offset:1024
	global_store_dwordx2 v46, v[12:13], s[2:3] offset:1536
	s_waitcnt lgkmcnt(8)
	global_store_dwordx2 v46, v[14:15], s[2:3] offset:2048
	;; [unrolled: 3-line block ×3, first 2 shown]
	global_store_dwordx2 v46, v[20:21], s[2:3] offset:3584
	s_waitcnt lgkmcnt(6)
	global_store_dwordx2 v[2:3], v[22:23], off
	global_store_dwordx2 v[2:3], v[24:25], off offset:512
	s_waitcnt lgkmcnt(5)
	global_store_dwordx2 v[2:3], v[26:27], off offset:1024
	global_store_dwordx2 v[2:3], v[28:29], off offset:1536
	s_waitcnt lgkmcnt(4)
	global_store_dwordx2 v[2:3], v[30:31], off offset:2048
	global_store_dwordx2 v[2:3], v[32:33], off offset:2560
	s_waitcnt lgkmcnt(3)
	global_store_dwordx2 v[2:3], v[34:35], off offset:3072
	global_store_dwordx2 v[2:3], v[36:37], off offset:3584
	v_add_co_u32_e32 v2, vcc, 0x2000, v47
	v_mov_b32_e32 v1, 0
	v_addc_co_u32_e32 v3, vcc, 0, v48, vcc
	s_or_b64 s[0:1], s[0:1], exec
	s_waitcnt lgkmcnt(2)
	global_store_dwordx2 v[2:3], v[38:39], off
	global_store_dwordx2 v[2:3], v[40:41], off offset:512
	s_waitcnt lgkmcnt(1)
	global_store_dwordx2 v[2:3], v[42:43], off offset:1024
	global_store_dwordx2 v[2:3], v[44:45], off offset:1536
.LBB70_261:
	s_and_saveexec_b64 s[4:5], s[0:1]
	s_cbranch_execz .LBB70_263
; %bb.262:
	v_lshlrev_b64 v[0:1], 3, v[0:1]
	v_mov_b32_e32 v2, s3
	v_add_co_u32_e32 v0, vcc, s2, v0
	v_addc_co_u32_e32 v1, vcc, v2, v1, vcc
	v_add_co_u32_e32 v0, vcc, 0x2000, v0
	v_addc_co_u32_e32 v1, vcc, 0, v1, vcc
	s_waitcnt lgkmcnt(0)
	global_store_dwordx2 v[0:1], v[4:5], off offset:2048
	s_endpgm
.LBB70_263:
	s_endpgm
	.section	.rodata,"a",@progbits
	.p2align	6, 0x0
	.amdhsa_kernel _ZN7rocprim6detail25device_scan_by_key_kernelILNS0_25lookback_scan_determinismE0ELb0ENS0_26wrapped_scan_by_key_configINS_14default_configEiyEEPiN6hipcub22TransformInputIteratorIyNS7_6CastOpIyEEPylEESB_yNS7_8EqualityENS7_3SumENS0_19lookback_scan_stateINS_5tupleIJybEEELb0ELb0EEEyEEvT2_T3_T4_T5_T6_T7_T8_mmmPKNSG_IJT9_bEEE
		.amdhsa_group_segment_fixed_size 10752
		.amdhsa_private_segment_fixed_size 0
		.amdhsa_kernarg_size 104
		.amdhsa_user_sgpr_count 6
		.amdhsa_user_sgpr_private_segment_buffer 1
		.amdhsa_user_sgpr_dispatch_ptr 0
		.amdhsa_user_sgpr_queue_ptr 0
		.amdhsa_user_sgpr_kernarg_segment_ptr 1
		.amdhsa_user_sgpr_dispatch_id 0
		.amdhsa_user_sgpr_flat_scratch_init 0
		.amdhsa_user_sgpr_kernarg_preload_length 0
		.amdhsa_user_sgpr_kernarg_preload_offset 0
		.amdhsa_user_sgpr_private_segment_size 0
		.amdhsa_uses_dynamic_stack 0
		.amdhsa_system_sgpr_private_segment_wavefront_offset 0
		.amdhsa_system_sgpr_workgroup_id_x 1
		.amdhsa_system_sgpr_workgroup_id_y 0
		.amdhsa_system_sgpr_workgroup_id_z 0
		.amdhsa_system_sgpr_workgroup_info 0
		.amdhsa_system_vgpr_workitem_id 0
		.amdhsa_next_free_vgpr 133
		.amdhsa_next_free_sgpr 94
		.amdhsa_accum_offset 136
		.amdhsa_reserve_vcc 1
		.amdhsa_reserve_flat_scratch 0
		.amdhsa_float_round_mode_32 0
		.amdhsa_float_round_mode_16_64 0
		.amdhsa_float_denorm_mode_32 3
		.amdhsa_float_denorm_mode_16_64 3
		.amdhsa_dx10_clamp 1
		.amdhsa_ieee_mode 1
		.amdhsa_fp16_overflow 0
		.amdhsa_tg_split 0
		.amdhsa_exception_fp_ieee_invalid_op 0
		.amdhsa_exception_fp_denorm_src 0
		.amdhsa_exception_fp_ieee_div_zero 0
		.amdhsa_exception_fp_ieee_overflow 0
		.amdhsa_exception_fp_ieee_underflow 0
		.amdhsa_exception_fp_ieee_inexact 0
		.amdhsa_exception_int_div_zero 0
	.end_amdhsa_kernel
	.section	.text._ZN7rocprim6detail25device_scan_by_key_kernelILNS0_25lookback_scan_determinismE0ELb0ENS0_26wrapped_scan_by_key_configINS_14default_configEiyEEPiN6hipcub22TransformInputIteratorIyNS7_6CastOpIyEEPylEESB_yNS7_8EqualityENS7_3SumENS0_19lookback_scan_stateINS_5tupleIJybEEELb0ELb0EEEyEEvT2_T3_T4_T5_T6_T7_T8_mmmPKNSG_IJT9_bEEE,"axG",@progbits,_ZN7rocprim6detail25device_scan_by_key_kernelILNS0_25lookback_scan_determinismE0ELb0ENS0_26wrapped_scan_by_key_configINS_14default_configEiyEEPiN6hipcub22TransformInputIteratorIyNS7_6CastOpIyEEPylEESB_yNS7_8EqualityENS7_3SumENS0_19lookback_scan_stateINS_5tupleIJybEEELb0ELb0EEEyEEvT2_T3_T4_T5_T6_T7_T8_mmmPKNSG_IJT9_bEEE,comdat
.Lfunc_end70:
	.size	_ZN7rocprim6detail25device_scan_by_key_kernelILNS0_25lookback_scan_determinismE0ELb0ENS0_26wrapped_scan_by_key_configINS_14default_configEiyEEPiN6hipcub22TransformInputIteratorIyNS7_6CastOpIyEEPylEESB_yNS7_8EqualityENS7_3SumENS0_19lookback_scan_stateINS_5tupleIJybEEELb0ELb0EEEyEEvT2_T3_T4_T5_T6_T7_T8_mmmPKNSG_IJT9_bEEE, .Lfunc_end70-_ZN7rocprim6detail25device_scan_by_key_kernelILNS0_25lookback_scan_determinismE0ELb0ENS0_26wrapped_scan_by_key_configINS_14default_configEiyEEPiN6hipcub22TransformInputIteratorIyNS7_6CastOpIyEEPylEESB_yNS7_8EqualityENS7_3SumENS0_19lookback_scan_stateINS_5tupleIJybEEELb0ELb0EEEyEEvT2_T3_T4_T5_T6_T7_T8_mmmPKNSG_IJT9_bEEE
                                        ; -- End function
	.section	.AMDGPU.csdata,"",@progbits
; Kernel info:
; codeLenInByte = 16756
; NumSgprs: 98
; NumVgprs: 133
; NumAgprs: 0
; TotalNumVgprs: 133
; ScratchSize: 0
; MemoryBound: 0
; FloatMode: 240
; IeeeMode: 1
; LDSByteSize: 10752 bytes/workgroup (compile time only)
; SGPRBlocks: 12
; VGPRBlocks: 16
; NumSGPRsForWavesPerEU: 98
; NumVGPRsForWavesPerEU: 133
; AccumOffset: 136
; Occupancy: 2
; WaveLimiterHint : 1
; COMPUTE_PGM_RSRC2:SCRATCH_EN: 0
; COMPUTE_PGM_RSRC2:USER_SGPR: 6
; COMPUTE_PGM_RSRC2:TRAP_HANDLER: 0
; COMPUTE_PGM_RSRC2:TGID_X_EN: 1
; COMPUTE_PGM_RSRC2:TGID_Y_EN: 0
; COMPUTE_PGM_RSRC2:TGID_Z_EN: 0
; COMPUTE_PGM_RSRC2:TIDIG_COMP_CNT: 0
; COMPUTE_PGM_RSRC3_GFX90A:ACCUM_OFFSET: 33
; COMPUTE_PGM_RSRC3_GFX90A:TG_SPLIT: 0
	.section	.text._ZN7rocprim6detail25device_scan_by_key_kernelILNS0_25lookback_scan_determinismE0ELb0ENS0_26wrapped_scan_by_key_configINS_14default_configEiyEEPiN6hipcub22TransformInputIteratorIyNS7_6CastOpIyEEPylEESB_yNS7_8EqualityENS7_3MinENS0_19lookback_scan_stateINS_5tupleIJybEEELb1ELb0EEEyEEvT2_T3_T4_T5_T6_T7_T8_mmmPKNSG_IJT9_bEEE,"axG",@progbits,_ZN7rocprim6detail25device_scan_by_key_kernelILNS0_25lookback_scan_determinismE0ELb0ENS0_26wrapped_scan_by_key_configINS_14default_configEiyEEPiN6hipcub22TransformInputIteratorIyNS7_6CastOpIyEEPylEESB_yNS7_8EqualityENS7_3MinENS0_19lookback_scan_stateINS_5tupleIJybEEELb1ELb0EEEyEEvT2_T3_T4_T5_T6_T7_T8_mmmPKNSG_IJT9_bEEE,comdat
	.protected	_ZN7rocprim6detail25device_scan_by_key_kernelILNS0_25lookback_scan_determinismE0ELb0ENS0_26wrapped_scan_by_key_configINS_14default_configEiyEEPiN6hipcub22TransformInputIteratorIyNS7_6CastOpIyEEPylEESB_yNS7_8EqualityENS7_3MinENS0_19lookback_scan_stateINS_5tupleIJybEEELb1ELb0EEEyEEvT2_T3_T4_T5_T6_T7_T8_mmmPKNSG_IJT9_bEEE ; -- Begin function _ZN7rocprim6detail25device_scan_by_key_kernelILNS0_25lookback_scan_determinismE0ELb0ENS0_26wrapped_scan_by_key_configINS_14default_configEiyEEPiN6hipcub22TransformInputIteratorIyNS7_6CastOpIyEEPylEESB_yNS7_8EqualityENS7_3MinENS0_19lookback_scan_stateINS_5tupleIJybEEELb1ELb0EEEyEEvT2_T3_T4_T5_T6_T7_T8_mmmPKNSG_IJT9_bEEE
	.globl	_ZN7rocprim6detail25device_scan_by_key_kernelILNS0_25lookback_scan_determinismE0ELb0ENS0_26wrapped_scan_by_key_configINS_14default_configEiyEEPiN6hipcub22TransformInputIteratorIyNS7_6CastOpIyEEPylEESB_yNS7_8EqualityENS7_3MinENS0_19lookback_scan_stateINS_5tupleIJybEEELb1ELb0EEEyEEvT2_T3_T4_T5_T6_T7_T8_mmmPKNSG_IJT9_bEEE
	.p2align	8
	.type	_ZN7rocprim6detail25device_scan_by_key_kernelILNS0_25lookback_scan_determinismE0ELb0ENS0_26wrapped_scan_by_key_configINS_14default_configEiyEEPiN6hipcub22TransformInputIteratorIyNS7_6CastOpIyEEPylEESB_yNS7_8EqualityENS7_3MinENS0_19lookback_scan_stateINS_5tupleIJybEEELb1ELb0EEEyEEvT2_T3_T4_T5_T6_T7_T8_mmmPKNSG_IJT9_bEEE,@function
_ZN7rocprim6detail25device_scan_by_key_kernelILNS0_25lookback_scan_determinismE0ELb0ENS0_26wrapped_scan_by_key_configINS_14default_configEiyEEPiN6hipcub22TransformInputIteratorIyNS7_6CastOpIyEEPylEESB_yNS7_8EqualityENS7_3MinENS0_19lookback_scan_stateINS_5tupleIJybEEELb1ELb0EEEyEEvT2_T3_T4_T5_T6_T7_T8_mmmPKNSG_IJT9_bEEE: ; @_ZN7rocprim6detail25device_scan_by_key_kernelILNS0_25lookback_scan_determinismE0ELb0ENS0_26wrapped_scan_by_key_configINS_14default_configEiyEEPiN6hipcub22TransformInputIteratorIyNS7_6CastOpIyEEPylEESB_yNS7_8EqualityENS7_3MinENS0_19lookback_scan_stateINS_5tupleIJybEEELb1ELb0EEEyEEvT2_T3_T4_T5_T6_T7_T8_mmmPKNSG_IJT9_bEEE
; %bb.0:
	s_endpgm
	.section	.rodata,"a",@progbits
	.p2align	6, 0x0
	.amdhsa_kernel _ZN7rocprim6detail25device_scan_by_key_kernelILNS0_25lookback_scan_determinismE0ELb0ENS0_26wrapped_scan_by_key_configINS_14default_configEiyEEPiN6hipcub22TransformInputIteratorIyNS7_6CastOpIyEEPylEESB_yNS7_8EqualityENS7_3MinENS0_19lookback_scan_stateINS_5tupleIJybEEELb1ELb0EEEyEEvT2_T3_T4_T5_T6_T7_T8_mmmPKNSG_IJT9_bEEE
		.amdhsa_group_segment_fixed_size 0
		.amdhsa_private_segment_fixed_size 0
		.amdhsa_kernarg_size 104
		.amdhsa_user_sgpr_count 6
		.amdhsa_user_sgpr_private_segment_buffer 1
		.amdhsa_user_sgpr_dispatch_ptr 0
		.amdhsa_user_sgpr_queue_ptr 0
		.amdhsa_user_sgpr_kernarg_segment_ptr 1
		.amdhsa_user_sgpr_dispatch_id 0
		.amdhsa_user_sgpr_flat_scratch_init 0
		.amdhsa_user_sgpr_kernarg_preload_length 0
		.amdhsa_user_sgpr_kernarg_preload_offset 0
		.amdhsa_user_sgpr_private_segment_size 0
		.amdhsa_uses_dynamic_stack 0
		.amdhsa_system_sgpr_private_segment_wavefront_offset 0
		.amdhsa_system_sgpr_workgroup_id_x 1
		.amdhsa_system_sgpr_workgroup_id_y 0
		.amdhsa_system_sgpr_workgroup_id_z 0
		.amdhsa_system_sgpr_workgroup_info 0
		.amdhsa_system_vgpr_workitem_id 0
		.amdhsa_next_free_vgpr 1
		.amdhsa_next_free_sgpr 0
		.amdhsa_accum_offset 4
		.amdhsa_reserve_vcc 0
		.amdhsa_reserve_flat_scratch 0
		.amdhsa_float_round_mode_32 0
		.amdhsa_float_round_mode_16_64 0
		.amdhsa_float_denorm_mode_32 3
		.amdhsa_float_denorm_mode_16_64 3
		.amdhsa_dx10_clamp 1
		.amdhsa_ieee_mode 1
		.amdhsa_fp16_overflow 0
		.amdhsa_tg_split 0
		.amdhsa_exception_fp_ieee_invalid_op 0
		.amdhsa_exception_fp_denorm_src 0
		.amdhsa_exception_fp_ieee_div_zero 0
		.amdhsa_exception_fp_ieee_overflow 0
		.amdhsa_exception_fp_ieee_underflow 0
		.amdhsa_exception_fp_ieee_inexact 0
		.amdhsa_exception_int_div_zero 0
	.end_amdhsa_kernel
	.section	.text._ZN7rocprim6detail25device_scan_by_key_kernelILNS0_25lookback_scan_determinismE0ELb0ENS0_26wrapped_scan_by_key_configINS_14default_configEiyEEPiN6hipcub22TransformInputIteratorIyNS7_6CastOpIyEEPylEESB_yNS7_8EqualityENS7_3MinENS0_19lookback_scan_stateINS_5tupleIJybEEELb1ELb0EEEyEEvT2_T3_T4_T5_T6_T7_T8_mmmPKNSG_IJT9_bEEE,"axG",@progbits,_ZN7rocprim6detail25device_scan_by_key_kernelILNS0_25lookback_scan_determinismE0ELb0ENS0_26wrapped_scan_by_key_configINS_14default_configEiyEEPiN6hipcub22TransformInputIteratorIyNS7_6CastOpIyEEPylEESB_yNS7_8EqualityENS7_3MinENS0_19lookback_scan_stateINS_5tupleIJybEEELb1ELb0EEEyEEvT2_T3_T4_T5_T6_T7_T8_mmmPKNSG_IJT9_bEEE,comdat
.Lfunc_end71:
	.size	_ZN7rocprim6detail25device_scan_by_key_kernelILNS0_25lookback_scan_determinismE0ELb0ENS0_26wrapped_scan_by_key_configINS_14default_configEiyEEPiN6hipcub22TransformInputIteratorIyNS7_6CastOpIyEEPylEESB_yNS7_8EqualityENS7_3MinENS0_19lookback_scan_stateINS_5tupleIJybEEELb1ELb0EEEyEEvT2_T3_T4_T5_T6_T7_T8_mmmPKNSG_IJT9_bEEE, .Lfunc_end71-_ZN7rocprim6detail25device_scan_by_key_kernelILNS0_25lookback_scan_determinismE0ELb0ENS0_26wrapped_scan_by_key_configINS_14default_configEiyEEPiN6hipcub22TransformInputIteratorIyNS7_6CastOpIyEEPylEESB_yNS7_8EqualityENS7_3MinENS0_19lookback_scan_stateINS_5tupleIJybEEELb1ELb0EEEyEEvT2_T3_T4_T5_T6_T7_T8_mmmPKNSG_IJT9_bEEE
                                        ; -- End function
	.section	.AMDGPU.csdata,"",@progbits
; Kernel info:
; codeLenInByte = 4
; NumSgprs: 4
; NumVgprs: 0
; NumAgprs: 0
; TotalNumVgprs: 0
; ScratchSize: 0
; MemoryBound: 0
; FloatMode: 240
; IeeeMode: 1
; LDSByteSize: 0 bytes/workgroup (compile time only)
; SGPRBlocks: 0
; VGPRBlocks: 0
; NumSGPRsForWavesPerEU: 4
; NumVGPRsForWavesPerEU: 1
; AccumOffset: 4
; Occupancy: 8
; WaveLimiterHint : 0
; COMPUTE_PGM_RSRC2:SCRATCH_EN: 0
; COMPUTE_PGM_RSRC2:USER_SGPR: 6
; COMPUTE_PGM_RSRC2:TRAP_HANDLER: 0
; COMPUTE_PGM_RSRC2:TGID_X_EN: 1
; COMPUTE_PGM_RSRC2:TGID_Y_EN: 0
; COMPUTE_PGM_RSRC2:TGID_Z_EN: 0
; COMPUTE_PGM_RSRC2:TIDIG_COMP_CNT: 0
; COMPUTE_PGM_RSRC3_GFX90A:ACCUM_OFFSET: 0
; COMPUTE_PGM_RSRC3_GFX90A:TG_SPLIT: 0
	.section	.text._ZN7rocprim6detail25device_scan_by_key_kernelILNS0_25lookback_scan_determinismE0ELb0ENS0_26wrapped_scan_by_key_configINS_14default_configEiyEEPiN6hipcub22TransformInputIteratorIyNS7_6CastOpIyEEPylEESB_yNS7_8EqualityENS7_3MinENS0_19lookback_scan_stateINS_5tupleIJybEEELb0ELb0EEEyEEvT2_T3_T4_T5_T6_T7_T8_mmmPKNSG_IJT9_bEEE,"axG",@progbits,_ZN7rocprim6detail25device_scan_by_key_kernelILNS0_25lookback_scan_determinismE0ELb0ENS0_26wrapped_scan_by_key_configINS_14default_configEiyEEPiN6hipcub22TransformInputIteratorIyNS7_6CastOpIyEEPylEESB_yNS7_8EqualityENS7_3MinENS0_19lookback_scan_stateINS_5tupleIJybEEELb0ELb0EEEyEEvT2_T3_T4_T5_T6_T7_T8_mmmPKNSG_IJT9_bEEE,comdat
	.protected	_ZN7rocprim6detail25device_scan_by_key_kernelILNS0_25lookback_scan_determinismE0ELb0ENS0_26wrapped_scan_by_key_configINS_14default_configEiyEEPiN6hipcub22TransformInputIteratorIyNS7_6CastOpIyEEPylEESB_yNS7_8EqualityENS7_3MinENS0_19lookback_scan_stateINS_5tupleIJybEEELb0ELb0EEEyEEvT2_T3_T4_T5_T6_T7_T8_mmmPKNSG_IJT9_bEEE ; -- Begin function _ZN7rocprim6detail25device_scan_by_key_kernelILNS0_25lookback_scan_determinismE0ELb0ENS0_26wrapped_scan_by_key_configINS_14default_configEiyEEPiN6hipcub22TransformInputIteratorIyNS7_6CastOpIyEEPylEESB_yNS7_8EqualityENS7_3MinENS0_19lookback_scan_stateINS_5tupleIJybEEELb0ELb0EEEyEEvT2_T3_T4_T5_T6_T7_T8_mmmPKNSG_IJT9_bEEE
	.globl	_ZN7rocprim6detail25device_scan_by_key_kernelILNS0_25lookback_scan_determinismE0ELb0ENS0_26wrapped_scan_by_key_configINS_14default_configEiyEEPiN6hipcub22TransformInputIteratorIyNS7_6CastOpIyEEPylEESB_yNS7_8EqualityENS7_3MinENS0_19lookback_scan_stateINS_5tupleIJybEEELb0ELb0EEEyEEvT2_T3_T4_T5_T6_T7_T8_mmmPKNSG_IJT9_bEEE
	.p2align	8
	.type	_ZN7rocprim6detail25device_scan_by_key_kernelILNS0_25lookback_scan_determinismE0ELb0ENS0_26wrapped_scan_by_key_configINS_14default_configEiyEEPiN6hipcub22TransformInputIteratorIyNS7_6CastOpIyEEPylEESB_yNS7_8EqualityENS7_3MinENS0_19lookback_scan_stateINS_5tupleIJybEEELb0ELb0EEEyEEvT2_T3_T4_T5_T6_T7_T8_mmmPKNSG_IJT9_bEEE,@function
_ZN7rocprim6detail25device_scan_by_key_kernelILNS0_25lookback_scan_determinismE0ELb0ENS0_26wrapped_scan_by_key_configINS_14default_configEiyEEPiN6hipcub22TransformInputIteratorIyNS7_6CastOpIyEEPylEESB_yNS7_8EqualityENS7_3MinENS0_19lookback_scan_stateINS_5tupleIJybEEELb0ELb0EEEyEEvT2_T3_T4_T5_T6_T7_T8_mmmPKNSG_IJT9_bEEE: ; @_ZN7rocprim6detail25device_scan_by_key_kernelILNS0_25lookback_scan_determinismE0ELb0ENS0_26wrapped_scan_by_key_configINS_14default_configEiyEEPiN6hipcub22TransformInputIteratorIyNS7_6CastOpIyEEPylEESB_yNS7_8EqualityENS7_3MinENS0_19lookback_scan_stateINS_5tupleIJybEEELb0ELb0EEEyEEvT2_T3_T4_T5_T6_T7_T8_mmmPKNSG_IJT9_bEEE
; %bb.0:
	s_load_dwordx4 s[0:3], s[4:5], 0x0
	s_load_dwordx8 s[72:79], s[4:5], 0x30
	s_load_dwordx2 s[92:93], s[4:5], 0x60
	s_load_dwordx4 s[52:55], s[4:5], 0x50
	s_mul_i32 s8, s6, 0x540
	s_mov_b32 s9, 0
	s_lshl_b64 s[10:11], s[8:9], 2
	s_waitcnt lgkmcnt(0)
	s_add_u32 s56, s0, s10
	s_addc_u32 s57, s1, s11
	s_lshl_b64 s[90:91], s[8:9], 3
	s_add_u32 s50, s2, s90
	s_addc_u32 s51, s3, s91
	s_add_u32 s0, s6, s52
	s_addc_u32 s1, 0, s53
	s_add_u32 s2, s54, -1
	s_addc_u32 s3, s55, -1
	v_pk_mov_b32 v[2:3], s[2:3], s[2:3] op_sel:[0,1]
	v_cmp_ge_u64_e64 s[0:1], s[0:1], v[2:3]
	s_mov_b64 s[12:13], -1
	s_and_b64 vcc, exec, s[0:1]
	s_mul_i32 s33, s2, 0xfffffac0
	v_lshlrev_b32_e32 v82, 2, v0
	s_cbranch_vccz .LBB72_65
; %bb.1:
	s_load_dword s7, s[56:57], 0x0
	s_add_i32 s64, s33, s78
	v_mov_b32_e32 v1, s57
	v_add_co_u32_e32 v2, vcc, s56, v82
	v_addc_co_u32_e32 v3, vcc, 0, v1, vcc
	v_cmp_gt_u32_e64 s[2:3], s64, v0
	s_waitcnt lgkmcnt(0)
	v_mov_b32_e32 v1, s7
	s_and_saveexec_b64 s[8:9], s[2:3]
	s_cbranch_execz .LBB72_3
; %bb.2:
	global_load_dword v1, v[2:3], off
.LBB72_3:
	s_or_b64 exec, exec, s[8:9]
	v_or_b32_e32 v4, 64, v0
	v_cmp_gt_u32_e64 s[8:9], s64, v4
	v_mov_b32_e32 v4, s7
	s_and_saveexec_b64 s[10:11], s[8:9]
	s_cbranch_execz .LBB72_5
; %bb.4:
	global_load_dword v4, v[2:3], off offset:256
.LBB72_5:
	s_or_b64 exec, exec, s[10:11]
	v_or_b32_e32 v5, 0x80, v0
	v_cmp_gt_u32_e64 s[14:15], s64, v5
	v_mov_b32_e32 v5, s7
	s_and_saveexec_b64 s[10:11], s[14:15]
	s_cbranch_execz .LBB72_7
; %bb.6:
	global_load_dword v5, v[2:3], off offset:512
.LBB72_7:
	;; [unrolled: 9-line block ×15, first 2 shown]
	s_or_b64 exec, exec, s[12:13]
	v_or_b32_e32 v19, 0x400, v0
	v_cmp_gt_u32_e64 s[48:49], s64, v19
	v_mov_b32_e32 v19, s7
	s_and_saveexec_b64 s[12:13], s[48:49]
	s_cbranch_execz .LBB72_35
; %bb.34:
	v_add_co_u32_e32 v20, vcc, 0x1000, v2
	v_addc_co_u32_e32 v21, vcc, 0, v3, vcc
	global_load_dword v19, v[20:21], off
.LBB72_35:
	s_or_b64 exec, exec, s[12:13]
	v_or_b32_e32 v20, 0x440, v0
	v_cmp_gt_u32_e64 s[12:13], s64, v20
	v_mov_b32_e32 v20, s7
	s_and_saveexec_b64 s[18:19], s[12:13]
	s_cbranch_execz .LBB72_37
; %bb.36:
	v_add_co_u32_e32 v20, vcc, 0x1000, v2
	v_addc_co_u32_e32 v21, vcc, 0, v3, vcc
	global_load_dword v20, v[20:21], off offset:256
.LBB72_37:
	s_or_b64 exec, exec, s[18:19]
	v_or_b32_e32 v21, 0x480, v0
	v_cmp_gt_u32_e64 s[18:19], s64, v21
	v_mov_b32_e32 v21, s7
	s_and_saveexec_b64 s[24:25], s[18:19]
	s_cbranch_execz .LBB72_39
; %bb.38:
	v_add_co_u32_e32 v22, vcc, 0x1000, v2
	v_addc_co_u32_e32 v23, vcc, 0, v3, vcc
	global_load_dword v21, v[22:23], off offset:512
.LBB72_39:
	;; [unrolled: 11-line block ×4, first 2 shown]
	s_or_b64 exec, exec, s[54:55]
	s_sub_u32 s54, 0, s6
	s_subb_u32 s55, 0, 0
	s_cmp_eq_u64 s[54:55], s[52:53]
	s_movk_i32 s7, 0x50
	s_cselect_b32 s54, 0, -4
	v_mad_u32_u24 v2, v0, s7, v82
	s_cselect_b32 s7, 0, -1
	s_add_u32 s54, s56, s54
	s_addc_u32 s55, s57, s7
	s_waitcnt vmcnt(0)
	ds_write2st64_b32 v82, v1, v4 offset1:1
	ds_write2st64_b32 v82, v5, v6 offset0:2 offset1:3
	ds_write2st64_b32 v82, v7, v8 offset0:4 offset1:5
	;; [unrolled: 1-line block ×9, first 2 shown]
	ds_write_b32 v82, v23 offset:5120
	s_waitcnt lgkmcnt(0)
	; wave barrier
	s_waitcnt lgkmcnt(0)
	s_load_dword s7, s[54:55], 0x0
	ds_read2_b32 v[32:33], v2 offset0:4 offset1:9
	s_movk_i32 s54, 0xffb0
	v_mad_i32_i24 v1, v0, s54, v2
	v_cmp_ne_u32_e32 vcc, 0, v0
	s_waitcnt lgkmcnt(0)
	v_mov_b32_e32 v68, s7
	ds_read2_b32 v[4:5], v2 offset0:19 offset1:20
	ds_read2_b32 v[8:9], v2 offset0:17 offset1:18
	ds_read2_b32 v[12:13], v2 offset0:15 offset1:16
	ds_read_b32 v72, v2 offset:56
	ds_read2_b32 v[16:17], v2 offset0:12 offset1:13
	ds_read2_b32 v[24:25], v2 offset0:10 offset1:11
	;; [unrolled: 1-line block ×5, first 2 shown]
	ds_read2_b32 v[36:37], v2 offset1:1
	s_waitcnt lgkmcnt(9)
	ds_write_b32 v1, v5 offset:5376
	s_waitcnt lgkmcnt(0)
	; wave barrier
	s_waitcnt lgkmcnt(0)
	s_and_saveexec_b64 s[54:55], vcc
	s_cbranch_execz .LBB72_45
; %bb.44:
	ds_read_b32 v68, v1 offset:5372
.LBB72_45:
	s_or_b64 exec, exec, s[54:55]
	v_lshlrev_b32_e32 v2, 3, v0
	v_mov_b32_e32 v3, s51
	v_add_co_u32_e32 v6, vcc, s50, v2
	v_addc_co_u32_e32 v7, vcc, 0, v3, vcc
	s_waitcnt lgkmcnt(0)
	; wave barrier
	s_waitcnt lgkmcnt(0)
                                        ; implicit-def: $vgpr2_vgpr3
	s_and_saveexec_b64 s[54:55], s[2:3]
	s_cbranch_execz .LBB72_66
; %bb.46:
	global_load_dwordx2 v[2:3], v[6:7], off
	s_or_b64 exec, exec, s[54:55]
                                        ; implicit-def: $vgpr10_vgpr11
	s_and_saveexec_b64 s[2:3], s[8:9]
	s_cbranch_execnz .LBB72_67
.LBB72_47:
	s_or_b64 exec, exec, s[2:3]
                                        ; implicit-def: $vgpr14_vgpr15
	s_and_saveexec_b64 s[2:3], s[14:15]
	s_cbranch_execz .LBB72_68
.LBB72_48:
	global_load_dwordx2 v[14:15], v[6:7], off offset:1024
	s_or_b64 exec, exec, s[2:3]
                                        ; implicit-def: $vgpr18_vgpr19
	s_and_saveexec_b64 s[2:3], s[20:21]
	s_cbranch_execnz .LBB72_69
.LBB72_49:
	s_or_b64 exec, exec, s[2:3]
                                        ; implicit-def: $vgpr20_vgpr21
	s_and_saveexec_b64 s[2:3], s[28:29]
	s_cbranch_execz .LBB72_70
.LBB72_50:
	global_load_dwordx2 v[20:21], v[6:7], off offset:2048
	s_or_b64 exec, exec, s[2:3]
                                        ; implicit-def: $vgpr22_vgpr23
	s_and_saveexec_b64 s[2:3], s[34:35]
	s_cbranch_execnz .LBB72_71
.LBB72_51:
	s_or_b64 exec, exec, s[2:3]
                                        ; implicit-def: $vgpr26_vgpr27
	s_and_saveexec_b64 s[2:3], s[38:39]
	s_cbranch_execz .LBB72_72
.LBB72_52:
	global_load_dwordx2 v[26:27], v[6:7], off offset:3072
	s_or_b64 exec, exec, s[2:3]
                                        ; implicit-def: $vgpr30_vgpr31
	s_and_saveexec_b64 s[2:3], s[42:43]
	s_cbranch_execnz .LBB72_73
.LBB72_53:
	s_or_b64 exec, exec, s[2:3]
                                        ; implicit-def: $vgpr34_vgpr35
	s_and_saveexec_b64 s[2:3], s[46:47]
	s_cbranch_execz .LBB72_74
.LBB72_54:
	v_add_co_u32_e32 v34, vcc, 0x1000, v6
	v_addc_co_u32_e32 v35, vcc, 0, v7, vcc
	global_load_dwordx2 v[34:35], v[34:35], off
	s_or_b64 exec, exec, s[2:3]
                                        ; implicit-def: $vgpr38_vgpr39
	s_and_saveexec_b64 s[2:3], s[44:45]
	s_cbranch_execnz .LBB72_75
.LBB72_55:
	s_or_b64 exec, exec, s[2:3]
                                        ; implicit-def: $vgpr42_vgpr43
	s_and_saveexec_b64 s[2:3], s[40:41]
	s_cbranch_execz .LBB72_76
.LBB72_56:
	v_add_co_u32_e32 v42, vcc, 0x1000, v6
	v_addc_co_u32_e32 v43, vcc, 0, v7, vcc
	global_load_dwordx2 v[42:43], v[42:43], off offset:1024
	s_or_b64 exec, exec, s[2:3]
                                        ; implicit-def: $vgpr46_vgpr47
	s_and_saveexec_b64 s[2:3], s[36:37]
	s_cbranch_execnz .LBB72_77
.LBB72_57:
	s_or_b64 exec, exec, s[2:3]
                                        ; implicit-def: $vgpr48_vgpr49
	s_and_saveexec_b64 s[2:3], s[30:31]
	s_cbranch_execz .LBB72_78
.LBB72_58:
	v_add_co_u32_e32 v48, vcc, 0x1000, v6
	v_addc_co_u32_e32 v49, vcc, 0, v7, vcc
	global_load_dwordx2 v[48:49], v[48:49], off offset:2048
	s_or_b64 exec, exec, s[2:3]
                                        ; implicit-def: $vgpr50_vgpr51
	s_and_saveexec_b64 s[2:3], s[22:23]
	s_cbranch_execnz .LBB72_79
.LBB72_59:
	s_or_b64 exec, exec, s[2:3]
                                        ; implicit-def: $vgpr52_vgpr53
	s_and_saveexec_b64 s[2:3], s[16:17]
	s_cbranch_execz .LBB72_80
.LBB72_60:
	v_add_co_u32_e32 v52, vcc, 0x1000, v6
	v_addc_co_u32_e32 v53, vcc, 0, v7, vcc
	global_load_dwordx2 v[52:53], v[52:53], off offset:3072
	s_or_b64 exec, exec, s[2:3]
                                        ; implicit-def: $vgpr54_vgpr55
	s_and_saveexec_b64 s[2:3], s[10:11]
	s_cbranch_execnz .LBB72_81
.LBB72_61:
	s_or_b64 exec, exec, s[2:3]
                                        ; implicit-def: $vgpr56_vgpr57
	s_and_saveexec_b64 s[2:3], s[48:49]
	s_cbranch_execz .LBB72_82
.LBB72_62:
	v_add_co_u32_e32 v56, vcc, 0x2000, v6
	v_addc_co_u32_e32 v57, vcc, 0, v7, vcc
	global_load_dwordx2 v[56:57], v[56:57], off
	s_or_b64 exec, exec, s[2:3]
                                        ; implicit-def: $vgpr58_vgpr59
	s_and_saveexec_b64 s[2:3], s[12:13]
	s_cbranch_execnz .LBB72_83
.LBB72_63:
	s_or_b64 exec, exec, s[2:3]
                                        ; implicit-def: $vgpr60_vgpr61
	s_and_saveexec_b64 s[2:3], s[18:19]
	s_cbranch_execz .LBB72_84
.LBB72_64:
	v_add_co_u32_e32 v60, vcc, 0x2000, v6
	v_addc_co_u32_e32 v61, vcc, 0, v7, vcc
	global_load_dwordx2 v[60:61], v[60:61], off offset:1024
	s_or_b64 exec, exec, s[2:3]
                                        ; implicit-def: $vgpr62_vgpr63
	s_and_saveexec_b64 s[2:3], s[24:25]
	s_cbranch_execz .LBB72_86
	s_branch .LBB72_85
.LBB72_65:
	s_mov_b64 s[10:11], 0
                                        ; implicit-def: $sgpr8_sgpr9
                                        ; implicit-def: $vgpr84
                                        ; implicit-def: $vgpr83
                                        ; implicit-def: $vgpr85
                                        ; implicit-def: $vgpr86
                                        ; implicit-def: $vgpr12_vgpr13
                                        ; implicit-def: $vgpr2_vgpr3
                                        ; implicit-def: $vgpr72_vgpr73
                                        ; implicit-def: $vgpr64_vgpr65
                                        ; implicit-def: $vgpr124
                                        ; implicit-def: $vgpr56_vgpr57
                                        ; implicit-def: $vgpr48_vgpr49
                                        ; implicit-def: $vgpr40_vgpr41
                                        ; implicit-def: $vgpr126
                                        ; implicit-def: $vgpr32_vgpr33
                                        ; implicit-def: $vgpr24_vgpr25
                                        ; implicit-def: $vgpr125
                                        ; implicit-def: $vgpr16_vgpr17
                                        ; implicit-def: $vgpr8_vgpr9
                                        ; implicit-def: $vgpr1
                                        ; implicit-def: $vgpr130
                                        ; implicit-def: $vgpr129
                                        ; implicit-def: $vgpr128
                                        ; implicit-def: $vgpr127
                                        ; implicit-def: $sgpr7
                                        ; implicit-def: $sgpr14_sgpr15
                                        ; implicit-def: $vgpr78_vgpr79
                                        ; implicit-def: $vgpr74_vgpr75
                                        ; implicit-def: $vgpr66_vgpr67
                                        ; implicit-def: $vgpr58_vgpr59
                                        ; implicit-def: $vgpr50_vgpr51
                                        ; implicit-def: $vgpr42_vgpr43
                                        ; implicit-def: $vgpr34_vgpr35
                                        ; implicit-def: $vgpr26_vgpr27
                                        ; implicit-def: $vgpr18_vgpr19
	s_and_b64 vcc, exec, s[12:13]
	v_cmp_ne_u32_e64 s[2:3], 0, v0
	s_cbranch_vccz .LBB72_132
	s_branch .LBB72_129
.LBB72_66:
	s_or_b64 exec, exec, s[54:55]
                                        ; implicit-def: $vgpr10_vgpr11
	s_and_saveexec_b64 s[2:3], s[8:9]
	s_cbranch_execz .LBB72_47
.LBB72_67:
	global_load_dwordx2 v[10:11], v[6:7], off offset:512
	s_or_b64 exec, exec, s[2:3]
                                        ; implicit-def: $vgpr14_vgpr15
	s_and_saveexec_b64 s[2:3], s[14:15]
	s_cbranch_execnz .LBB72_48
.LBB72_68:
	s_or_b64 exec, exec, s[2:3]
                                        ; implicit-def: $vgpr18_vgpr19
	s_and_saveexec_b64 s[2:3], s[20:21]
	s_cbranch_execz .LBB72_49
.LBB72_69:
	global_load_dwordx2 v[18:19], v[6:7], off offset:1536
	s_or_b64 exec, exec, s[2:3]
                                        ; implicit-def: $vgpr20_vgpr21
	s_and_saveexec_b64 s[2:3], s[28:29]
	s_cbranch_execnz .LBB72_50
.LBB72_70:
	s_or_b64 exec, exec, s[2:3]
                                        ; implicit-def: $vgpr22_vgpr23
	s_and_saveexec_b64 s[2:3], s[34:35]
	s_cbranch_execz .LBB72_51
.LBB72_71:
	global_load_dwordx2 v[22:23], v[6:7], off offset:2560
	s_or_b64 exec, exec, s[2:3]
                                        ; implicit-def: $vgpr26_vgpr27
	s_and_saveexec_b64 s[2:3], s[38:39]
	s_cbranch_execnz .LBB72_52
.LBB72_72:
	s_or_b64 exec, exec, s[2:3]
                                        ; implicit-def: $vgpr30_vgpr31
	s_and_saveexec_b64 s[2:3], s[42:43]
	s_cbranch_execz .LBB72_53
.LBB72_73:
	global_load_dwordx2 v[30:31], v[6:7], off offset:3584
	s_or_b64 exec, exec, s[2:3]
                                        ; implicit-def: $vgpr34_vgpr35
	s_and_saveexec_b64 s[2:3], s[46:47]
	s_cbranch_execnz .LBB72_54
.LBB72_74:
	s_or_b64 exec, exec, s[2:3]
                                        ; implicit-def: $vgpr38_vgpr39
	s_and_saveexec_b64 s[2:3], s[44:45]
	s_cbranch_execz .LBB72_55
.LBB72_75:
	v_add_co_u32_e32 v38, vcc, 0x1000, v6
	v_addc_co_u32_e32 v39, vcc, 0, v7, vcc
	global_load_dwordx2 v[38:39], v[38:39], off offset:512
	s_or_b64 exec, exec, s[2:3]
                                        ; implicit-def: $vgpr42_vgpr43
	s_and_saveexec_b64 s[2:3], s[40:41]
	s_cbranch_execnz .LBB72_56
.LBB72_76:
	s_or_b64 exec, exec, s[2:3]
                                        ; implicit-def: $vgpr46_vgpr47
	s_and_saveexec_b64 s[2:3], s[36:37]
	s_cbranch_execz .LBB72_57
.LBB72_77:
	v_add_co_u32_e32 v46, vcc, 0x1000, v6
	v_addc_co_u32_e32 v47, vcc, 0, v7, vcc
	global_load_dwordx2 v[46:47], v[46:47], off offset:1536
	s_or_b64 exec, exec, s[2:3]
                                        ; implicit-def: $vgpr48_vgpr49
	s_and_saveexec_b64 s[2:3], s[30:31]
	s_cbranch_execnz .LBB72_58
.LBB72_78:
	s_or_b64 exec, exec, s[2:3]
                                        ; implicit-def: $vgpr50_vgpr51
	s_and_saveexec_b64 s[2:3], s[22:23]
	s_cbranch_execz .LBB72_59
.LBB72_79:
	v_add_co_u32_e32 v50, vcc, 0x1000, v6
	v_addc_co_u32_e32 v51, vcc, 0, v7, vcc
	global_load_dwordx2 v[50:51], v[50:51], off offset:2560
	s_or_b64 exec, exec, s[2:3]
                                        ; implicit-def: $vgpr52_vgpr53
	s_and_saveexec_b64 s[2:3], s[16:17]
	s_cbranch_execnz .LBB72_60
.LBB72_80:
	s_or_b64 exec, exec, s[2:3]
                                        ; implicit-def: $vgpr54_vgpr55
	s_and_saveexec_b64 s[2:3], s[10:11]
	s_cbranch_execz .LBB72_61
.LBB72_81:
	v_add_co_u32_e32 v54, vcc, 0x1000, v6
	v_addc_co_u32_e32 v55, vcc, 0, v7, vcc
	global_load_dwordx2 v[54:55], v[54:55], off offset:3584
	s_or_b64 exec, exec, s[2:3]
                                        ; implicit-def: $vgpr56_vgpr57
	s_and_saveexec_b64 s[2:3], s[48:49]
	s_cbranch_execnz .LBB72_62
.LBB72_82:
	s_or_b64 exec, exec, s[2:3]
                                        ; implicit-def: $vgpr58_vgpr59
	s_and_saveexec_b64 s[2:3], s[12:13]
	s_cbranch_execz .LBB72_63
.LBB72_83:
	v_add_co_u32_e32 v58, vcc, 0x2000, v6
	v_addc_co_u32_e32 v59, vcc, 0, v7, vcc
	global_load_dwordx2 v[58:59], v[58:59], off offset:512
	s_or_b64 exec, exec, s[2:3]
                                        ; implicit-def: $vgpr60_vgpr61
	s_and_saveexec_b64 s[2:3], s[18:19]
	s_cbranch_execnz .LBB72_64
.LBB72_84:
	s_or_b64 exec, exec, s[2:3]
                                        ; implicit-def: $vgpr62_vgpr63
	s_and_saveexec_b64 s[2:3], s[24:25]
	s_cbranch_execz .LBB72_86
.LBB72_85:
	v_add_co_u32_e32 v62, vcc, 0x2000, v6
	v_addc_co_u32_e32 v63, vcc, 0, v7, vcc
	global_load_dwordx2 v[62:63], v[62:63], off offset:1536
.LBB72_86:
	s_or_b64 exec, exec, s[2:3]
	v_mul_u32_u24_e32 v73, 21, v0
                                        ; implicit-def: $vgpr64_vgpr65
	s_and_saveexec_b64 s[2:3], s[26:27]
	s_cbranch_execz .LBB72_88
; %bb.87:
	v_add_co_u32_e32 v6, vcc, 0x2000, v6
	v_addc_co_u32_e32 v7, vcc, 0, v7, vcc
	global_load_dwordx2 v[64:65], v[6:7], off offset:2048
.LBB72_88:
	s_or_b64 exec, exec, s[2:3]
	v_lshl_add_u32 v69, v0, 2, v1
	s_waitcnt vmcnt(0)
	ds_write2st64_b64 v69, v[2:3], v[10:11] offset1:1
	ds_write2st64_b64 v69, v[14:15], v[18:19] offset0:2 offset1:3
	ds_write2st64_b64 v69, v[20:21], v[22:23] offset0:4 offset1:5
	;; [unrolled: 1-line block ×9, first 2 shown]
	ds_write_b64 v69, v[64:65] offset:10240
	v_pk_mov_b32 v[2:3], 0, 0
	v_cmp_gt_u32_e32 vcc, s64, v73
	s_mov_b64 s[10:11], 0
	s_mov_b64 s[12:13], 0
	s_mov_b32 s7, 0
	v_mov_b32_e32 v130, 0
	v_mov_b32_e32 v124, 0
	;; [unrolled: 1-line block ×5, first 2 shown]
	v_pk_mov_b32 v[10:11], v[2:3], v[2:3] op_sel:[0,1]
	v_pk_mov_b32 v[70:71], v[2:3], v[2:3] op_sel:[0,1]
	;; [unrolled: 1-line block ×9, first 2 shown]
	v_mov_b32_e32 v126, 0
	v_pk_mov_b32 v[38:39], v[2:3], v[2:3] op_sel:[0,1]
	v_pk_mov_b32 v[50:51], v[2:3], v[2:3] op_sel:[0,1]
	;; [unrolled: 1-line block ×5, first 2 shown]
	v_mov_b32_e32 v125, 0
	v_pk_mov_b32 v[34:35], v[2:3], v[2:3] op_sel:[0,1]
	v_pk_mov_b32 v[14:15], v[2:3], v[2:3] op_sel:[0,1]
	;; [unrolled: 1-line block ×5, first 2 shown]
	v_mov_b32_e32 v1, 0
	s_waitcnt lgkmcnt(0)
	; wave barrier
	s_waitcnt lgkmcnt(0)
                                        ; implicit-def: $sgpr8_sgpr9
                                        ; implicit-def: $vgpr84
                                        ; implicit-def: $vgpr83
                                        ; implicit-def: $vgpr85
                                        ; implicit-def: $vgpr86
	s_and_saveexec_b64 s[14:15], vcc
	s_cbranch_execz .LBB72_128
; %bb.89:
	s_movk_i32 s2, 0xa0
	v_mad_u32_u24 v2, v0, s2, v69
	ds_read_b64 v[2:3], v2
	s_waitcnt lgkmcnt(12)
	v_cmp_ne_u32_e32 vcc, v68, v36
	v_add_u32_e32 v6, 1, v73
	v_pk_mov_b32 v[10:11], 0, 0
	v_cndmask_b32_e64 v1, 0, 1, vcc
	v_cmp_gt_u32_e32 vcc, s64, v6
	s_mov_b64 s[2:3], 0
	s_mov_b64 s[20:21], 0
	v_mov_b32_e32 v130, 0
	v_mov_b32_e32 v124, 0
	;; [unrolled: 1-line block ×5, first 2 shown]
	v_pk_mov_b32 v[70:71], v[10:11], v[10:11] op_sel:[0,1]
	v_pk_mov_b32 v[78:79], v[10:11], v[10:11] op_sel:[0,1]
	;; [unrolled: 1-line block ×8, first 2 shown]
	v_mov_b32_e32 v126, 0
	v_pk_mov_b32 v[38:39], v[10:11], v[10:11] op_sel:[0,1]
	v_pk_mov_b32 v[50:51], v[10:11], v[10:11] op_sel:[0,1]
	;; [unrolled: 1-line block ×5, first 2 shown]
	v_mov_b32_e32 v125, 0
	v_pk_mov_b32 v[34:35], v[10:11], v[10:11] op_sel:[0,1]
	v_pk_mov_b32 v[14:15], v[10:11], v[10:11] op_sel:[0,1]
	;; [unrolled: 1-line block ×5, first 2 shown]
                                        ; implicit-def: $sgpr8_sgpr9
                                        ; implicit-def: $vgpr84
                                        ; implicit-def: $vgpr83
                                        ; implicit-def: $vgpr85
                                        ; implicit-def: $vgpr86
	s_and_saveexec_b64 s[16:17], vcc
	s_cbranch_execz .LBB72_127
; %bb.90:
	v_mul_u32_u24_e32 v6, 0xa0, v0
	v_add_u32_e32 v48, v69, v6
	ds_read2_b64 v[18:21], v48 offset0:1 offset1:2
	v_add_u32_e32 v6, 2, v73
	v_cmp_ne_u32_e64 s[10:11], v36, v37
	v_pk_mov_b32 v[10:11], 0, 0
	v_cmp_ne_u32_e32 vcc, v28, v29
	v_cmp_ne_u32_e64 s[2:3], v29, v32
	v_cmp_ne_u32_e64 s[8:9], v37, v28
	v_cndmask_b32_e64 v130, 0, 1, s[10:11]
	v_cmp_gt_u32_e64 s[10:11], s64, v6
	s_mov_b64 s[22:23], 0
	v_mov_b32_e32 v129, 0
	v_mov_b32_e32 v124, 0
	;; [unrolled: 1-line block ×4, first 2 shown]
	v_pk_mov_b32 v[70:71], v[10:11], v[10:11] op_sel:[0,1]
	v_pk_mov_b32 v[78:79], v[10:11], v[10:11] op_sel:[0,1]
	v_pk_mov_b32 v[62:63], v[10:11], v[10:11] op_sel:[0,1]
	v_pk_mov_b32 v[74:75], v[10:11], v[10:11] op_sel:[0,1]
	v_pk_mov_b32 v[54:55], v[10:11], v[10:11] op_sel:[0,1]
	v_pk_mov_b32 v[66:67], v[10:11], v[10:11] op_sel:[0,1]
	v_pk_mov_b32 v[46:47], v[10:11], v[10:11] op_sel:[0,1]
	v_pk_mov_b32 v[58:59], v[10:11], v[10:11] op_sel:[0,1]
	v_mov_b32_e32 v126, 0
	v_pk_mov_b32 v[38:39], v[10:11], v[10:11] op_sel:[0,1]
	v_pk_mov_b32 v[50:51], v[10:11], v[10:11] op_sel:[0,1]
	;; [unrolled: 1-line block ×5, first 2 shown]
	v_mov_b32_e32 v125, 0
	v_pk_mov_b32 v[34:35], v[10:11], v[10:11] op_sel:[0,1]
	v_pk_mov_b32 v[14:15], v[10:11], v[10:11] op_sel:[0,1]
	;; [unrolled: 1-line block ×4, first 2 shown]
                                        ; implicit-def: $sgpr24_sgpr25
                                        ; implicit-def: $vgpr84
                                        ; implicit-def: $vgpr83
                                        ; implicit-def: $vgpr85
                                        ; implicit-def: $vgpr86
	s_and_saveexec_b64 s[18:19], s[10:11]
	s_cbranch_execz .LBB72_126
; %bb.91:
	v_cndmask_b32_e64 v6, 0, 1, s[8:9]
	v_cndmask_b32_e64 v7, 0, 1, s[2:3]
	v_lshlrev_b16_e32 v6, 8, v6
	v_lshlrev_b16_e32 v7, 8, v7
	v_cndmask_b32_e64 v10, 0, 1, vcc
	v_or_b32_e32 v6, v130, v6
	v_or_b32_sdwa v7, v10, v7 dst_sel:WORD_1 dst_unused:UNUSED_PAD src0_sel:DWORD src1_sel:DWORD
	v_add_u32_e32 v10, 3, v73
	v_or_b32_sdwa v84, v6, v7 dst_sel:DWORD dst_unused:UNUSED_PAD src0_sel:WORD_0 src1_sel:DWORD
	v_cmp_gt_u32_e32 vcc, s64, v10
	v_pk_mov_b32 v[10:11], 0, 0
	v_and_b32_e32 v130, 0xffff, v84
	s_waitcnt lgkmcnt(0)
	v_mov_b32_e32 v6, v20
	v_mov_b32_e32 v7, v21
	s_mov_b64 s[2:3], 0
	v_mov_b32_e32 v129, 0
	v_mov_b32_e32 v124, 0
	;; [unrolled: 1-line block ×4, first 2 shown]
	v_pk_mov_b32 v[70:71], v[10:11], v[10:11] op_sel:[0,1]
	v_pk_mov_b32 v[78:79], v[10:11], v[10:11] op_sel:[0,1]
	v_pk_mov_b32 v[62:63], v[10:11], v[10:11] op_sel:[0,1]
	v_pk_mov_b32 v[74:75], v[10:11], v[10:11] op_sel:[0,1]
	v_pk_mov_b32 v[54:55], v[10:11], v[10:11] op_sel:[0,1]
	v_pk_mov_b32 v[66:67], v[10:11], v[10:11] op_sel:[0,1]
	v_pk_mov_b32 v[46:47], v[10:11], v[10:11] op_sel:[0,1]
	v_pk_mov_b32 v[58:59], v[10:11], v[10:11] op_sel:[0,1]
	v_mov_b32_e32 v126, 0
	v_pk_mov_b32 v[38:39], v[10:11], v[10:11] op_sel:[0,1]
	v_pk_mov_b32 v[50:51], v[10:11], v[10:11] op_sel:[0,1]
	;; [unrolled: 1-line block ×5, first 2 shown]
	v_mov_b32_e32 v125, 0
	v_pk_mov_b32 v[34:35], v[10:11], v[10:11] op_sel:[0,1]
	v_pk_mov_b32 v[14:15], v[10:11], v[10:11] op_sel:[0,1]
	;; [unrolled: 1-line block ×3, first 2 shown]
                                        ; implicit-def: $sgpr8_sgpr9
                                        ; implicit-def: $vgpr83
                                        ; implicit-def: $vgpr85
                                        ; implicit-def: $vgpr86
	s_and_saveexec_b64 s[20:21], vcc
	s_cbranch_execz .LBB72_125
; %bb.92:
	ds_read2_b64 v[26:29], v48 offset0:3 offset1:4
	v_add_u32_e32 v10, 4, v73
	v_cmp_gt_u32_e32 vcc, s64, v10
	v_pk_mov_b32 v[10:11], 0, 0
	v_and_b32_e32 v130, 0xffffff, v84
	s_mov_b64 s[8:9], 0
	v_mov_b32_e32 v129, 0
	v_mov_b32_e32 v124, 0
	;; [unrolled: 1-line block ×4, first 2 shown]
	v_pk_mov_b32 v[70:71], v[10:11], v[10:11] op_sel:[0,1]
	v_pk_mov_b32 v[78:79], v[10:11], v[10:11] op_sel:[0,1]
	;; [unrolled: 1-line block ×8, first 2 shown]
	v_mov_b32_e32 v126, 0
	v_pk_mov_b32 v[38:39], v[10:11], v[10:11] op_sel:[0,1]
	v_pk_mov_b32 v[50:51], v[10:11], v[10:11] op_sel:[0,1]
	;; [unrolled: 1-line block ×5, first 2 shown]
	v_mov_b32_e32 v125, 0
	v_pk_mov_b32 v[34:35], v[10:11], v[10:11] op_sel:[0,1]
	v_pk_mov_b32 v[14:15], v[10:11], v[10:11] op_sel:[0,1]
                                        ; implicit-def: $sgpr10_sgpr11
                                        ; implicit-def: $vgpr83
                                        ; implicit-def: $vgpr85
                                        ; implicit-def: $vgpr86
	s_and_saveexec_b64 s[22:23], vcc
	s_cbranch_execz .LBB72_124
; %bb.93:
	v_add_u32_e32 v10, 5, v73
	v_cmp_gt_u32_e32 vcc, s64, v10
	v_pk_mov_b32 v[10:11], 0, 0
	s_waitcnt lgkmcnt(0)
	v_mov_b32_e32 v14, v28
	v_mov_b32_e32 v15, v29
	;; [unrolled: 1-line block ×6, first 2 shown]
	v_pk_mov_b32 v[70:71], v[10:11], v[10:11] op_sel:[0,1]
	v_pk_mov_b32 v[78:79], v[10:11], v[10:11] op_sel:[0,1]
	;; [unrolled: 1-line block ×8, first 2 shown]
	v_mov_b32_e32 v126, 0
	v_pk_mov_b32 v[38:39], v[10:11], v[10:11] op_sel:[0,1]
	v_pk_mov_b32 v[50:51], v[10:11], v[10:11] op_sel:[0,1]
	;; [unrolled: 1-line block ×5, first 2 shown]
	v_mov_b32_e32 v125, 0
	v_pk_mov_b32 v[34:35], v[10:11], v[10:11] op_sel:[0,1]
                                        ; implicit-def: $sgpr10_sgpr11
                                        ; implicit-def: $vgpr83
                                        ; implicit-def: $vgpr85
                                        ; implicit-def: $vgpr86
	s_and_saveexec_b64 s[24:25], vcc
	s_cbranch_execz .LBB72_123
; %bb.94:
	ds_read2_b64 v[34:37], v48 offset0:5 offset1:6
	v_add_u32_e32 v10, 6, v73
	v_cmp_ne_u32_e32 vcc, v32, v44
	v_cndmask_b32_e64 v125, 0, 1, vcc
	v_cmp_gt_u32_e32 vcc, s64, v10
	v_pk_mov_b32 v[10:11], 0, 0
	s_mov_b64 s[30:31], 0
	v_mov_b32_e32 v129, 0
	v_mov_b32_e32 v124, 0
	;; [unrolled: 1-line block ×4, first 2 shown]
	v_pk_mov_b32 v[70:71], v[10:11], v[10:11] op_sel:[0,1]
	v_pk_mov_b32 v[78:79], v[10:11], v[10:11] op_sel:[0,1]
	;; [unrolled: 1-line block ×8, first 2 shown]
	v_mov_b32_e32 v126, 0
	v_pk_mov_b32 v[38:39], v[10:11], v[10:11] op_sel:[0,1]
	v_pk_mov_b32 v[50:51], v[10:11], v[10:11] op_sel:[0,1]
	;; [unrolled: 1-line block ×5, first 2 shown]
                                        ; implicit-def: $sgpr8_sgpr9
                                        ; implicit-def: $vgpr83
                                        ; implicit-def: $vgpr85
                                        ; implicit-def: $vgpr86
	s_and_saveexec_b64 s[26:27], vcc
	s_cbranch_execz .LBB72_122
; %bb.95:
	v_add_u32_e32 v10, 7, v73
	v_cmp_ne_u32_e64 s[10:11], v44, v45
	v_cndmask_b32_e64 v129, 0, 1, s[10:11]
	v_cmp_gt_u32_e64 s[10:11], s64, v10
	v_pk_mov_b32 v[10:11], 0, 0
	s_waitcnt lgkmcnt(0)
	v_mov_b32_e32 v22, v36
	v_mov_b32_e32 v23, v37
	v_cmp_ne_u32_e32 vcc, v40, v41
	v_cmp_ne_u32_e64 s[2:3], v41, v33
	v_cmp_ne_u32_e64 s[8:9], v45, v40
	s_mov_b64 s[34:35], 0
	v_mov_b32_e32 v128, 0
	v_mov_b32_e32 v124, 0
	;; [unrolled: 1-line block ×3, first 2 shown]
	v_pk_mov_b32 v[70:71], v[10:11], v[10:11] op_sel:[0,1]
	v_pk_mov_b32 v[78:79], v[10:11], v[10:11] op_sel:[0,1]
	;; [unrolled: 1-line block ×8, first 2 shown]
	v_mov_b32_e32 v126, 0
	v_pk_mov_b32 v[38:39], v[10:11], v[10:11] op_sel:[0,1]
	v_pk_mov_b32 v[50:51], v[10:11], v[10:11] op_sel:[0,1]
	;; [unrolled: 1-line block ×4, first 2 shown]
                                        ; implicit-def: $sgpr36_sgpr37
                                        ; implicit-def: $vgpr83
                                        ; implicit-def: $vgpr85
                                        ; implicit-def: $vgpr86
	s_and_saveexec_b64 s[28:29], s[10:11]
	s_cbranch_execz .LBB72_121
; %bb.96:
	v_cndmask_b32_e64 v10, 0, 1, s[8:9]
	v_cndmask_b32_e64 v11, 0, 1, s[2:3]
	v_lshlrev_b16_e32 v10, 8, v10
	v_lshlrev_b16_e32 v11, 8, v11
	v_cndmask_b32_e64 v20, 0, 1, vcc
	ds_read2_b64 v[42:45], v48 offset0:7 offset1:8
	v_or_b32_e32 v10, v129, v10
	v_or_b32_sdwa v11, v20, v11 dst_sel:WORD_1 dst_unused:UNUSED_PAD src0_sel:DWORD src1_sel:DWORD
	v_or_b32_sdwa v83, v10, v11 dst_sel:DWORD dst_unused:UNUSED_PAD src0_sel:WORD_0 src1_sel:DWORD
	v_add_u32_e32 v10, 8, v73
	v_cmp_gt_u32_e32 vcc, s64, v10
	v_pk_mov_b32 v[10:11], 0, 0
	v_and_b32_e32 v129, 0xffff, v83
	s_mov_b64 s[2:3], 0
	v_mov_b32_e32 v128, 0
	v_mov_b32_e32 v124, 0
	;; [unrolled: 1-line block ×3, first 2 shown]
	v_pk_mov_b32 v[70:71], v[10:11], v[10:11] op_sel:[0,1]
	v_pk_mov_b32 v[78:79], v[10:11], v[10:11] op_sel:[0,1]
	;; [unrolled: 1-line block ×8, first 2 shown]
	v_mov_b32_e32 v126, 0
	v_pk_mov_b32 v[38:39], v[10:11], v[10:11] op_sel:[0,1]
	v_pk_mov_b32 v[50:51], v[10:11], v[10:11] op_sel:[0,1]
	;; [unrolled: 1-line block ×3, first 2 shown]
                                        ; implicit-def: $sgpr8_sgpr9
                                        ; implicit-def: $vgpr85
                                        ; implicit-def: $vgpr86
	s_and_saveexec_b64 s[30:31], vcc
	s_cbranch_execz .LBB72_120
; %bb.97:
	v_add_u32_e32 v10, 9, v73
	v_cmp_gt_u32_e32 vcc, s64, v10
	v_pk_mov_b32 v[10:11], 0, 0
	s_waitcnt lgkmcnt(0)
	v_mov_b32_e32 v30, v44
	v_mov_b32_e32 v31, v45
	v_and_b32_e32 v129, 0xffffff, v83
	s_mov_b64 s[8:9], 0
	v_mov_b32_e32 v128, 0
	v_mov_b32_e32 v124, 0
	;; [unrolled: 1-line block ×3, first 2 shown]
	v_pk_mov_b32 v[70:71], v[10:11], v[10:11] op_sel:[0,1]
	v_pk_mov_b32 v[78:79], v[10:11], v[10:11] op_sel:[0,1]
	;; [unrolled: 1-line block ×8, first 2 shown]
	v_mov_b32_e32 v126, 0
	v_pk_mov_b32 v[38:39], v[10:11], v[10:11] op_sel:[0,1]
	v_pk_mov_b32 v[50:51], v[10:11], v[10:11] op_sel:[0,1]
                                        ; implicit-def: $sgpr10_sgpr11
                                        ; implicit-def: $vgpr85
                                        ; implicit-def: $vgpr86
	s_and_saveexec_b64 s[34:35], vcc
	s_cbranch_execz .LBB72_119
; %bb.98:
	ds_read2_b64 v[50:53], v48 offset0:9 offset1:10
	v_add_u32_e32 v10, 10, v73
	v_cmp_gt_u32_e32 vcc, s64, v10
	v_pk_mov_b32 v[10:11], 0, 0
	v_mov_b32_e32 v128, 0
	v_mov_b32_e32 v124, 0
	;; [unrolled: 1-line block ×3, first 2 shown]
	v_pk_mov_b32 v[70:71], v[10:11], v[10:11] op_sel:[0,1]
	v_pk_mov_b32 v[78:79], v[10:11], v[10:11] op_sel:[0,1]
	;; [unrolled: 1-line block ×8, first 2 shown]
	v_mov_b32_e32 v126, 0
	v_pk_mov_b32 v[38:39], v[10:11], v[10:11] op_sel:[0,1]
                                        ; implicit-def: $sgpr10_sgpr11
                                        ; implicit-def: $vgpr85
                                        ; implicit-def: $vgpr86
	s_and_saveexec_b64 s[36:37], vcc
	s_cbranch_execz .LBB72_118
; %bb.99:
	v_add_u32_e32 v10, 11, v73
	v_cmp_ne_u32_e32 vcc, v33, v24
	v_cndmask_b32_e64 v126, 0, 1, vcc
	v_cmp_gt_u32_e32 vcc, s64, v10
	v_pk_mov_b32 v[10:11], 0, 0
	s_waitcnt lgkmcnt(0)
	v_mov_b32_e32 v38, v52
	v_mov_b32_e32 v39, v53
	s_mov_b64 s[42:43], 0
	v_mov_b32_e32 v128, 0
	v_mov_b32_e32 v124, 0
	;; [unrolled: 1-line block ×3, first 2 shown]
	v_pk_mov_b32 v[70:71], v[10:11], v[10:11] op_sel:[0,1]
	v_pk_mov_b32 v[78:79], v[10:11], v[10:11] op_sel:[0,1]
	;; [unrolled: 1-line block ×8, first 2 shown]
                                        ; implicit-def: $sgpr8_sgpr9
                                        ; implicit-def: $vgpr85
                                        ; implicit-def: $vgpr86
	s_and_saveexec_b64 s[38:39], vcc
	s_cbranch_execz .LBB72_117
; %bb.100:
	ds_read2_b64 v[58:61], v48 offset0:11 offset1:12
	v_add_u32_e32 v10, 12, v73
	v_cmp_ne_u32_e64 s[10:11], v24, v25
	v_cndmask_b32_e64 v128, 0, 1, s[10:11]
	v_cmp_gt_u32_e64 s[10:11], s64, v10
	v_pk_mov_b32 v[10:11], 0, 0
	v_cmp_ne_u32_e32 vcc, v16, v17
	v_cmp_ne_u32_e64 s[2:3], v17, v72
	v_cmp_ne_u32_e64 s[8:9], v25, v16
	s_mov_b64 s[44:45], 0
	v_mov_b32_e32 v127, 0
	v_mov_b32_e32 v124, 0
	v_pk_mov_b32 v[70:71], v[10:11], v[10:11] op_sel:[0,1]
	v_pk_mov_b32 v[78:79], v[10:11], v[10:11] op_sel:[0,1]
	;; [unrolled: 1-line block ×7, first 2 shown]
                                        ; implicit-def: $sgpr46_sgpr47
                                        ; implicit-def: $vgpr85
                                        ; implicit-def: $vgpr86
	s_and_saveexec_b64 s[40:41], s[10:11]
	s_cbranch_execz .LBB72_116
; %bb.101:
	v_cndmask_b32_e64 v10, 0, 1, s[8:9]
	v_cndmask_b32_e64 v11, 0, 1, s[2:3]
	v_lshlrev_b16_e32 v10, 8, v10
	v_lshlrev_b16_e32 v11, 8, v11
	v_cndmask_b32_e64 v16, 0, 1, vcc
	v_or_b32_e32 v10, v128, v10
	v_or_b32_sdwa v11, v16, v11 dst_sel:WORD_1 dst_unused:UNUSED_PAD src0_sel:DWORD src1_sel:DWORD
	v_or_b32_sdwa v85, v10, v11 dst_sel:DWORD dst_unused:UNUSED_PAD src0_sel:WORD_0 src1_sel:DWORD
	v_add_u32_e32 v10, 13, v73
	v_cmp_gt_u32_e32 vcc, s64, v10
	v_pk_mov_b32 v[10:11], 0, 0
	v_and_b32_e32 v128, 0xffff, v85
	s_waitcnt lgkmcnt(0)
	v_mov_b32_e32 v46, v60
	v_mov_b32_e32 v47, v61
	s_mov_b64 s[2:3], 0
	v_mov_b32_e32 v127, 0
	v_mov_b32_e32 v124, 0
	v_pk_mov_b32 v[70:71], v[10:11], v[10:11] op_sel:[0,1]
	v_pk_mov_b32 v[78:79], v[10:11], v[10:11] op_sel:[0,1]
	v_pk_mov_b32 v[62:63], v[10:11], v[10:11] op_sel:[0,1]
	v_pk_mov_b32 v[74:75], v[10:11], v[10:11] op_sel:[0,1]
	v_pk_mov_b32 v[54:55], v[10:11], v[10:11] op_sel:[0,1]
	v_pk_mov_b32 v[66:67], v[10:11], v[10:11] op_sel:[0,1]
                                        ; implicit-def: $sgpr8_sgpr9
                                        ; implicit-def: $vgpr86
	s_and_saveexec_b64 s[42:43], vcc
	s_cbranch_execz .LBB72_115
; %bb.102:
	ds_read2_b64 v[66:69], v48 offset0:13 offset1:14
	v_add_u32_e32 v10, 14, v73
	v_cmp_gt_u32_e32 vcc, s64, v10
	v_pk_mov_b32 v[10:11], 0, 0
	v_and_b32_e32 v128, 0xffffff, v85
	s_mov_b64 s[8:9], 0
	v_mov_b32_e32 v127, 0
	v_mov_b32_e32 v124, 0
	v_pk_mov_b32 v[70:71], v[10:11], v[10:11] op_sel:[0,1]
	v_pk_mov_b32 v[78:79], v[10:11], v[10:11] op_sel:[0,1]
	;; [unrolled: 1-line block ×5, first 2 shown]
                                        ; implicit-def: $sgpr10_sgpr11
                                        ; implicit-def: $vgpr86
	s_and_saveexec_b64 s[44:45], vcc
	s_cbranch_execz .LBB72_114
; %bb.103:
	v_add_u32_e32 v10, 15, v73
	v_cmp_gt_u32_e32 vcc, s64, v10
	v_pk_mov_b32 v[10:11], 0, 0
	s_waitcnt lgkmcnt(0)
	v_mov_b32_e32 v54, v68
	v_mov_b32_e32 v55, v69
	;; [unrolled: 1-line block ×4, first 2 shown]
	v_pk_mov_b32 v[70:71], v[10:11], v[10:11] op_sel:[0,1]
	v_pk_mov_b32 v[78:79], v[10:11], v[10:11] op_sel:[0,1]
	;; [unrolled: 1-line block ×4, first 2 shown]
                                        ; implicit-def: $sgpr10_sgpr11
                                        ; implicit-def: $vgpr86
	s_and_saveexec_b64 s[46:47], vcc
	s_cbranch_execz .LBB72_113
; %bb.104:
	ds_read2_b64 v[74:77], v48 offset0:15 offset1:16
	v_add_u32_e32 v10, 16, v73
	v_cmp_ne_u32_e32 vcc, v72, v12
	v_cndmask_b32_e64 v124, 0, 1, vcc
	v_cmp_gt_u32_e32 vcc, s64, v10
	v_pk_mov_b32 v[10:11], 0, 0
	s_mov_b64 s[58:59], 0
	v_mov_b32_e32 v127, 0
	v_pk_mov_b32 v[70:71], v[10:11], v[10:11] op_sel:[0,1]
	v_pk_mov_b32 v[78:79], v[10:11], v[10:11] op_sel:[0,1]
	;; [unrolled: 1-line block ×3, first 2 shown]
                                        ; implicit-def: $sgpr8_sgpr9
                                        ; implicit-def: $vgpr86
	s_and_saveexec_b64 s[48:49], vcc
	s_cbranch_execz .LBB72_112
; %bb.105:
	v_add_u32_e32 v10, 17, v73
	v_cmp_ne_u32_e64 s[10:11], v12, v13
	v_cndmask_b32_e64 v127, 0, 1, s[10:11]
	v_cmp_gt_u32_e64 s[10:11], s64, v10
	v_pk_mov_b32 v[10:11], 0, 0
	s_waitcnt lgkmcnt(0)
	v_mov_b32_e32 v62, v76
	v_mov_b32_e32 v63, v77
	v_cmp_ne_u32_e32 vcc, v8, v9
	v_cmp_ne_u32_e64 s[2:3], v9, v4
	v_cmp_ne_u32_e64 s[8:9], v13, v8
	s_mov_b64 s[60:61], 0
	v_pk_mov_b32 v[70:71], v[10:11], v[10:11] op_sel:[0,1]
	v_pk_mov_b32 v[78:79], v[10:11], v[10:11] op_sel:[0,1]
                                        ; implicit-def: $sgpr62_sgpr63
                                        ; implicit-def: $vgpr86
	s_and_saveexec_b64 s[54:55], s[10:11]
	s_cbranch_execz .LBB72_111
; %bb.106:
	v_cndmask_b32_e64 v8, 0, 1, s[8:9]
	v_cndmask_b32_e64 v9, 0, 1, s[2:3]
	ds_read2_b64 v[78:81], v48 offset0:17 offset1:18
	v_lshlrev_b16_e32 v8, 8, v8
	v_lshlrev_b16_e32 v9, 8, v9
	v_cndmask_b32_e64 v10, 0, 1, vcc
	v_or_b32_e32 v8, v127, v8
	v_or_b32_sdwa v9, v10, v9 dst_sel:WORD_1 dst_unused:UNUSED_PAD src0_sel:DWORD src1_sel:DWORD
	v_or_b32_sdwa v86, v8, v9 dst_sel:DWORD dst_unused:UNUSED_PAD src0_sel:WORD_0 src1_sel:DWORD
	v_add_u32_e32 v8, 18, v73
	v_pk_mov_b32 v[10:11], 0, 0
	v_and_b32_e32 v127, 0xffff, v86
	v_cmp_gt_u32_e32 vcc, s64, v8
	s_mov_b64 s[2:3], 0
	v_pk_mov_b32 v[70:71], v[10:11], v[10:11] op_sel:[0,1]
                                        ; implicit-def: $sgpr10_sgpr11
	s_and_saveexec_b64 s[8:9], vcc
	s_cbranch_execz .LBB72_110
; %bb.107:
	v_add_u32_e32 v8, 19, v73
	s_waitcnt lgkmcnt(0)
	v_mov_b32_e32 v70, v80
	v_mov_b32_e32 v71, v81
	v_cmp_gt_u32_e32 vcc, s64, v8
	v_and_b32_e32 v127, 0xffffff, v86
	v_pk_mov_b32 v[10:11], 0, 0
                                        ; implicit-def: $sgpr10_sgpr11
	s_and_saveexec_b64 s[58:59], vcc
	s_xor_b64 s[58:59], exec, s[58:59]
	s_cbranch_execz .LBB72_109
; %bb.108:
	ds_read2_b64 v[10:13], v48 offset0:19 offset1:20
	v_add_u32_e32 v8, 20, v73
	v_cmp_ne_u32_e32 vcc, v4, v5
	v_cmp_gt_u32_e64 s[2:3], s64, v8
	s_and_b64 s[10:11], vcc, exec
	s_and_b64 s[2:3], s[2:3], exec
	s_waitcnt lgkmcnt(0)
	v_pk_mov_b32 v[72:73], v[10:11], v[10:11] op_sel:[0,1]
	v_mov_b32_e32 v127, v86
.LBB72_109:
	s_or_b64 exec, exec, s[58:59]
	s_and_b64 s[10:11], s[10:11], exec
	s_and_b64 s[60:61], s[2:3], exec
.LBB72_110:
	s_or_b64 exec, exec, s[8:9]
	s_and_b64 s[62:63], s[10:11], exec
	s_and_b64 s[58:59], s[60:61], exec
	s_waitcnt lgkmcnt(0)
	v_pk_mov_b32 v[64:65], v[78:79], v[78:79] op_sel:[0,1]
	v_pk_mov_b32 v[56:57], v[74:75], v[74:75] op_sel:[0,1]
	;; [unrolled: 1-line block ×9, first 2 shown]
.LBB72_111:
	s_or_b64 exec, exec, s[54:55]
	s_and_b64 s[8:9], s[62:63], exec
	s_and_b64 s[2:3], s[58:59], exec
.LBB72_112:
	s_or_b64 exec, exec, s[48:49]
	s_and_b64 s[10:11], s[8:9], exec
	s_and_b64 s[8:9], s[2:3], exec
.LBB72_113:
	s_or_b64 exec, exec, s[46:47]
	s_and_b64 s[10:11], s[10:11], exec
	s_and_b64 s[2:3], s[8:9], exec
	v_mov_b32_e32 v128, v85
.LBB72_114:
	s_or_b64 exec, exec, s[44:45]
	s_and_b64 s[8:9], s[10:11], exec
	s_and_b64 s[44:45], s[2:3], exec
.LBB72_115:
	s_or_b64 exec, exec, s[42:43]
	s_and_b64 s[46:47], s[8:9], exec
	s_and_b64 s[42:43], s[44:45], exec
.LBB72_116:
	s_or_b64 exec, exec, s[40:41]
	s_and_b64 s[8:9], s[46:47], exec
	s_and_b64 s[2:3], s[42:43], exec
.LBB72_117:
	s_or_b64 exec, exec, s[38:39]
	s_and_b64 s[10:11], s[8:9], exec
	s_and_b64 s[8:9], s[2:3], exec
.LBB72_118:
	s_or_b64 exec, exec, s[36:37]
	s_and_b64 s[10:11], s[10:11], exec
	s_and_b64 s[2:3], s[8:9], exec
	v_mov_b32_e32 v129, v83
.LBB72_119:
	s_or_b64 exec, exec, s[34:35]
	s_and_b64 s[8:9], s[10:11], exec
	s_and_b64 s[34:35], s[2:3], exec
.LBB72_120:
	s_or_b64 exec, exec, s[30:31]
	s_and_b64 s[36:37], s[8:9], exec
	s_and_b64 s[30:31], s[34:35], exec
.LBB72_121:
	s_or_b64 exec, exec, s[28:29]
	s_and_b64 s[8:9], s[36:37], exec
	s_and_b64 s[2:3], s[30:31], exec
.LBB72_122:
	s_or_b64 exec, exec, s[26:27]
	s_and_b64 s[10:11], s[8:9], exec
	s_and_b64 s[8:9], s[2:3], exec
.LBB72_123:
	s_or_b64 exec, exec, s[24:25]
	s_and_b64 s[10:11], s[10:11], exec
	s_and_b64 s[2:3], s[8:9], exec
	v_mov_b32_e32 v130, v84
.LBB72_124:
	s_or_b64 exec, exec, s[22:23]
	s_and_b64 s[8:9], s[10:11], exec
	s_and_b64 s[22:23], s[2:3], exec
.LBB72_125:
	s_or_b64 exec, exec, s[20:21]
	s_and_b64 s[24:25], s[8:9], exec
	s_and_b64 s[20:21], s[22:23], exec
.LBB72_126:
	s_or_b64 exec, exec, s[18:19]
	s_and_b64 s[8:9], s[24:25], exec
	s_and_b64 s[2:3], s[20:21], exec
.LBB72_127:
	s_or_b64 exec, exec, s[16:17]
	s_and_b64 s[8:9], s[8:9], exec
	s_and_b64 s[10:11], s[2:3], exec
.LBB72_128:
	s_or_b64 exec, exec, s[14:15]
	s_mov_b64 s[14:15], 0
	s_and_b64 vcc, exec, s[12:13]
	v_cmp_ne_u32_e64 s[2:3], 0, v0
	s_cbranch_vccz .LBB72_132
.LBB72_129:
	v_mov_b32_e32 v1, s57
	s_waitcnt lgkmcnt(0)
	v_add_co_u32_e32 v2, vcc, s56, v82
	v_addc_co_u32_e32 v1, vcc, 0, v1, vcc
	s_movk_i32 s7, 0x1000
	v_add_co_u32_e32 v2, vcc, s7, v2
	v_addc_co_u32_e32 v3, vcc, 0, v1, vcc
	global_load_dword v4, v82, s[56:57]
	global_load_dword v5, v82, s[56:57] offset:256
	global_load_dword v6, v82, s[56:57] offset:512
	;; [unrolled: 1-line block ×15, first 2 shown]
	global_load_dword v1, v[2:3], off
	global_load_dword v20, v[2:3], off offset:256
	global_load_dword v21, v[2:3], off offset:512
	;; [unrolled: 1-line block ×4, first 2 shown]
	s_movk_i32 s9, 0x50
	s_sub_u32 s8, 0, s6
	v_mad_u32_u24 v25, v0, s9, v82
	s_subb_u32 s9, 0, 0
	s_cmp_eq_u64 s[8:9], s[52:53]
	s_cselect_b32 s8, 0, -4
	s_cselect_b32 s9, 0, -1
	s_add_u32 s8, s56, s8
	s_addc_u32 s9, s57, s9
	s_movk_i32 s10, 0xffb0
	v_mad_i32_i24 v22, v0, s10, v25
	s_waitcnt vmcnt(19)
	ds_write2st64_b32 v82, v4, v5 offset1:1
	s_waitcnt vmcnt(17)
	ds_write2st64_b32 v82, v6, v7 offset0:2 offset1:3
	s_waitcnt vmcnt(15)
	ds_write2st64_b32 v82, v8, v9 offset0:4 offset1:5
	;; [unrolled: 2-line block ×9, first 2 shown]
	s_waitcnt vmcnt(0)
	ds_write_b32 v82, v24 offset:5120
	s_waitcnt lgkmcnt(0)
	; wave barrier
	s_waitcnt lgkmcnt(0)
	s_load_dword s8, s[8:9], 0x0
	ds_read2_b32 v[2:3], v25 offset0:4 offset1:9
	ds_read2_b32 v[20:21], v25 offset0:19 offset1:20
	;; [unrolled: 1-line block ×4, first 2 shown]
	ds_read_b32 v23, v25 offset:56
	ds_read2_b32 v[14:15], v25 offset0:12 offset1:13
	ds_read2_b32 v[12:13], v25 offset0:10 offset1:11
	;; [unrolled: 1-line block ×5, first 2 shown]
	ds_read2_b32 v[10:11], v25 offset1:1
	s_waitcnt lgkmcnt(0)
	ds_write_b32 v22, v21 offset:5376
	s_waitcnt lgkmcnt(0)
	v_mov_b32_e32 v1, s8
	; wave barrier
	s_and_saveexec_b64 s[8:9], s[2:3]
	s_cbranch_execz .LBB72_131
; %bb.130:
	ds_read_b32 v1, v22 offset:5372
.LBB72_131:
	s_or_b64 exec, exec, s[8:9]
	v_lshlrev_b32_e32 v40, 3, v0
	v_mov_b32_e32 v24, s51
	v_add_co_u32_e32 v42, vcc, s50, v40
	v_addc_co_u32_e32 v43, vcc, 0, v24, vcc
	s_waitcnt lgkmcnt(0)
	; wave barrier
	s_waitcnt lgkmcnt(0)
	global_load_dwordx2 v[24:25], v40, s[50:51]
	global_load_dwordx2 v[26:27], v40, s[50:51] offset:512
	global_load_dwordx2 v[28:29], v40, s[50:51] offset:1024
	global_load_dwordx2 v[30:31], v40, s[50:51] offset:1536
	global_load_dwordx2 v[32:33], v40, s[50:51] offset:2048
	global_load_dwordx2 v[34:35], v40, s[50:51] offset:2560
	global_load_dwordx2 v[36:37], v40, s[50:51] offset:3072
	global_load_dwordx2 v[38:39], v40, s[50:51] offset:3584
	v_add_co_u32_e32 v40, vcc, s7, v42
	v_addc_co_u32_e32 v41, vcc, 0, v43, vcc
	s_movk_i32 s2, 0x2000
	v_add_co_u32_e32 v42, vcc, s2, v42
	v_addc_co_u32_e32 v43, vcc, 0, v43, vcc
	global_load_dwordx2 v[44:45], v[40:41], off offset:512
	global_load_dwordx2 v[46:47], v[40:41], off offset:1024
	;; [unrolled: 1-line block ×6, first 2 shown]
	global_load_dwordx2 v[56:57], v[42:43], off offset:-4096
	global_load_dwordx2 v[58:59], v[40:41], off offset:3584
	global_load_dwordx2 v[60:61], v[42:43], off
	global_load_dwordx2 v[62:63], v[42:43], off offset:512
	global_load_dwordx2 v[64:65], v[42:43], off offset:1024
	;; [unrolled: 1-line block ×4, first 2 shown]
	v_cmp_ne_u32_e32 vcc, v17, v18
	v_cmp_ne_u32_e64 s[8:9], v20, v21
	v_cndmask_b32_e64 v21, 0, 1, vcc
	v_cmp_ne_u32_e32 vcc, v16, v17
	v_cndmask_b32_e64 v17, 0, 1, vcc
	v_cmp_ne_u32_e32 vcc, v19, v20
	;; [unrolled: 2-line block ×6, first 2 shown]
	v_lshlrev_b16_e32 v16, 8, v16
	v_cndmask_b32_e64 v13, 0, 1, vcc
	v_cmp_ne_u32_e32 vcc, v15, v23
	v_or_b32_e32 v13, v13, v16
	v_cndmask_b32_e64 v16, 0, 1, vcc
	v_cmp_ne_u32_e32 vcc, v14, v15
	v_cndmask_b32_e64 v14, 0, 1, vcc
	v_cmp_ne_u32_e32 vcc, v3, v12
	;; [unrolled: 2-line block ×6, first 2 shown]
	v_lshlrev_b16_e32 v12, 8, v12
	v_lshlrev_b16_e32 v3, 8, v3
	v_cndmask_b32_e64 v8, 0, 1, vcc
	v_cmp_ne_u32_e32 vcc, v2, v6
	v_or_b32_e32 v7, v7, v12
	v_or_b32_sdwa v3, v8, v3 dst_sel:WORD_1 dst_unused:UNUSED_PAD src0_sel:DWORD src1_sel:DWORD
	v_cndmask_b32_e64 v125, 0, 1, vcc
	v_cmp_ne_u32_e32 vcc, v11, v4
	v_or_b32_sdwa v83, v7, v3 dst_sel:DWORD dst_unused:UNUSED_PAD src0_sel:WORD_0 src1_sel:DWORD
	v_cndmask_b32_e64 v3, 0, 1, vcc
	v_cmp_ne_u32_e32 vcc, v10, v11
	v_cndmask_b32_e64 v6, 0, 1, vcc
	v_cmp_ne_u32_e32 vcc, v5, v2
	v_lshlrev_b16_e32 v21, 8, v21
	v_lshlrev_b16_e32 v20, 8, v20
	v_lshlrev_b16_e32 v3, 8, v3
	v_cndmask_b32_e64 v2, 0, 1, vcc
	v_cmp_ne_u32_e32 vcc, v4, v5
	v_or_b32_e32 v17, v17, v21
	v_or_b32_sdwa v18, v18, v20 dst_sel:WORD_1 dst_unused:UNUSED_PAD src0_sel:DWORD src1_sel:DWORD
	v_or_b32_e32 v11, v6, v3
	v_lshlrev_b16_e32 v2, 8, v2
	v_cndmask_b32_e64 v3, 0, 1, vcc
	v_or_b32_sdwa v86, v17, v18 dst_sel:DWORD dst_unused:UNUSED_PAD src0_sel:WORD_0 src1_sel:DWORD
	v_lshlrev_b16_e32 v16, 8, v16
	v_or_b32_sdwa v18, v3, v2 dst_sel:WORD_1 dst_unused:UNUSED_PAD src0_sel:DWORD src1_sel:DWORD
	v_lshl_add_u32 v2, v0, 2, v22
	s_movk_i32 s2, 0xa0
	v_or_b32_sdwa v14, v14, v16 dst_sel:WORD_1 dst_unused:UNUSED_PAD src0_sel:DWORD src1_sel:DWORD
	v_mad_u32_u24 v12, v0, s2, v2
	v_or_b32_sdwa v85, v13, v14 dst_sel:DWORD dst_unused:UNUSED_PAD src0_sel:WORD_0 src1_sel:DWORD
	v_cmp_ne_u32_e32 vcc, v1, v10
	v_or_b32_sdwa v84, v11, v18 dst_sel:DWORD dst_unused:UNUSED_PAD src0_sel:WORD_0 src1_sel:DWORD
	v_cndmask_b32_e64 v1, 0, 1, vcc
	s_mov_b64 s[10:11], -1
                                        ; implicit-def: $vgpr130
                                        ; implicit-def: $vgpr129
                                        ; implicit-def: $vgpr128
                                        ; implicit-def: $vgpr127
                                        ; implicit-def: $sgpr7
                                        ; implicit-def: $sgpr14_sgpr15
                                        ; implicit-def: $vgpr78_vgpr79
                                        ; implicit-def: $vgpr74_vgpr75
                                        ; implicit-def: $vgpr42_vgpr43
                                        ; implicit-def: $vgpr18_vgpr19
	s_waitcnt vmcnt(19)
	ds_write2st64_b64 v2, v[24:25], v[26:27] offset1:1
	s_waitcnt vmcnt(17)
	ds_write2st64_b64 v2, v[28:29], v[30:31] offset0:2 offset1:3
	s_waitcnt vmcnt(15)
	ds_write2st64_b64 v2, v[32:33], v[34:35] offset0:4 offset1:5
	;; [unrolled: 2-line block ×4, first 2 shown]
	ds_write2st64_b64 v2, v[46:47], v[48:49] offset0:10 offset1:11
	ds_write2st64_b64 v2, v[50:51], v[52:53] offset0:12 offset1:13
	s_waitcnt vmcnt(5)
	ds_write2st64_b64 v2, v[54:55], v[58:59] offset0:14 offset1:15
	s_waitcnt vmcnt(3)
	;; [unrolled: 2-line block ×4, first 2 shown]
	ds_write_b64 v2, v[68:69] offset:10240
	s_waitcnt lgkmcnt(0)
	; wave barrier
	s_waitcnt lgkmcnt(0)
	ds_read2_b64 v[2:5], v12 offset1:1
	ds_read2_b64 v[6:9], v12 offset0:2 offset1:3
	ds_read2_b64 v[14:17], v12 offset0:4 offset1:5
	ds_read2_b64 v[22:25], v12 offset0:6 offset1:7
	ds_read2_b64 v[30:33], v12 offset0:8 offset1:9
	ds_read2_b64 v[38:41], v12 offset0:10 offset1:11
	ds_read2_b64 v[46:49], v12 offset0:12 offset1:13
	ds_read2_b64 v[54:57], v12 offset0:14 offset1:15
	ds_read2_b64 v[62:65], v12 offset0:16 offset1:17
	ds_read2_b64 v[70:73], v12 offset0:18 offset1:19
	ds_read_b64 v[12:13], v12 offset:160
                                        ; implicit-def: $vgpr66_vgpr67
                                        ; implicit-def: $vgpr58_vgpr59
                                        ; implicit-def: $vgpr50_vgpr51
                                        ; implicit-def: $vgpr34_vgpr35
                                        ; implicit-def: $vgpr26_vgpr27
.LBB72_132:
	s_waitcnt lgkmcnt(0)
	v_pk_mov_b32 v[20:21], s[14:15], s[14:15] op_sel:[0,1]
	v_mov_b32_e32 v36, s7
	s_and_saveexec_b64 s[2:3], s[10:11]
	s_cbranch_execz .LBB72_134
; %bb.133:
	v_cndmask_b32_e64 v36, 0, 1, s[8:9]
	v_pk_mov_b32 v[18:19], v[4:5], v[4:5] op_sel:[0,1]
	v_pk_mov_b32 v[26:27], v[8:9], v[8:9] op_sel:[0,1]
	;; [unrolled: 1-line block ×11, first 2 shown]
	v_mov_b32_e32 v127, v86
	v_mov_b32_e32 v128, v85
	;; [unrolled: 1-line block ×4, first 2 shown]
.LBB72_134:
	s_or_b64 exec, exec, s[2:3]
	v_and_b32_e32 v135, 1, v125
	v_and_b32_e32 v133, 1, v126
	v_and_b32_e32 v41, 1, v124
	v_and_b32_e32 v40, 1, v36
	s_cmp_lg_u32 s6, 0
	v_lshrrev_b32_e32 v136, 8, v130
	v_cmp_eq_u32_e32 vcc, 1, v135
	v_lshrrev_b32_e32 v134, 8, v129
	v_cmp_eq_u32_e64 s[48:49], 1, v133
	v_lshrrev_b32_e32 v132, 8, v128
	v_cmp_eq_u32_e64 s[50:51], 1, v41
	;; [unrolled: 2-line block ×3, first 2 shown]
	v_mbcnt_lo_u32_b32 v37, -1, 0
	s_waitcnt lgkmcnt(0)
	; wave barrier
	s_cbranch_scc0 .LBB72_193
; %bb.135:
	v_mov_b32_e32 v8, 0
	v_cmp_eq_u16_sdwa s[2:3], v130, v8 src0_sel:BYTE_0 src1_sel:DWORD
	v_cmp_lt_u64_e64 s[8:9], v[2:3], v[18:19]
	v_and_b32_e32 v4, 1, v1
	s_and_b64 s[8:9], s[2:3], s[8:9]
	v_cmp_eq_u32_e64 s[46:47], 1, v4
	v_cndmask_b32_e64 v5, v19, v3, s[8:9]
	v_cndmask_b32_e64 v4, v18, v2, s[8:9]
	v_and_b32_e32 v9, 1, v130
	v_cmp_eq_u16_sdwa s[70:71], v136, v8 src0_sel:BYTE_0 src1_sel:DWORD
	v_cmp_lt_u64_e64 s[8:9], v[4:5], v[6:7]
	s_movk_i32 s7, 0xff
	v_cmp_eq_u32_e64 s[52:53], 1, v9
	s_and_b64 s[8:9], s[70:71], s[8:9]
	v_and_b32_e32 v9, 0x100, v130
	v_cndmask_b32_e64 v5, v7, v5, s[8:9]
	v_cndmask_b32_e64 v4, v6, v4, s[8:9]
	v_cmp_ne_u32_e64 s[56:57], 0, v9
	v_and_b32_sdwa v9, v130, s7 dst_sel:DWORD dst_unused:UNUSED_PAD src0_sel:WORD_1 src1_sel:DWORD
	v_cmp_eq_u16_e64 s[8:9], 0, v9
	v_cmp_lt_u64_e64 s[10:11], v[4:5], v[26:27]
	s_and_b64 s[10:11], s[8:9], s[10:11]
	v_cndmask_b32_e64 v5, v27, v5, s[10:11]
	v_cndmask_b32_e64 v4, v26, v4, s[10:11]
	v_cmp_eq_u16_sdwa s[10:11], v130, v8 src0_sel:BYTE_3 src1_sel:DWORD
	v_cmp_lt_u64_e64 s[12:13], v[4:5], v[14:15]
	s_and_b64 s[12:13], s[10:11], s[12:13]
	v_cndmask_b32_e64 v5, v15, v5, s[12:13]
	v_cndmask_b32_e64 v4, v14, v4, s[12:13]
	v_cmp_eq_u16_sdwa s[14:15], v125, v8 src0_sel:BYTE_0 src1_sel:DWORD
	v_cmp_lt_u64_e64 s[12:13], v[4:5], v[34:35]
	s_and_b64 s[12:13], s[14:15], s[12:13]
	v_cndmask_b32_e64 v5, v35, v5, s[12:13]
	v_cndmask_b32_e64 v4, v34, v4, s[12:13]
	v_cmp_eq_u16_sdwa s[12:13], v129, v8 src0_sel:BYTE_0 src1_sel:DWORD
	v_cmp_lt_u64_e64 s[16:17], v[4:5], v[22:23]
	v_and_b32_e32 v9, 0x10000, v130
	s_and_b64 s[16:17], s[12:13], s[16:17]
	v_cmp_ne_u32_e64 s[58:59], 0, v9
	v_and_b32_e32 v9, 0x1000000, v130
	v_cndmask_b32_e64 v5, v23, v5, s[16:17]
	v_cndmask_b32_e64 v4, v22, v4, s[16:17]
	v_cmp_ne_u32_e64 s[60:61], 0, v9
	v_and_b32_e32 v9, 1, v129
	v_cmp_eq_u16_sdwa s[16:17], v134, v8 src0_sel:BYTE_0 src1_sel:DWORD
	v_cmp_lt_u64_e64 s[18:19], v[4:5], v[42:43]
	v_cmp_eq_u32_e64 s[62:63], 1, v9
	s_and_b64 s[18:19], s[16:17], s[18:19]
	v_and_b32_e32 v9, 0x100, v129
	v_cndmask_b32_e64 v5, v43, v5, s[18:19]
	v_cndmask_b32_e64 v4, v42, v4, s[18:19]
	v_cmp_ne_u32_e64 s[64:65], 0, v9
	v_and_b32_sdwa v9, v129, s7 dst_sel:DWORD dst_unused:UNUSED_PAD src0_sel:WORD_1 src1_sel:DWORD
	v_cmp_eq_u16_e64 s[18:19], 0, v9
	v_cmp_lt_u64_e64 s[20:21], v[4:5], v[30:31]
	s_and_b64 s[20:21], s[18:19], s[20:21]
	v_cndmask_b32_e64 v5, v31, v5, s[20:21]
	v_cndmask_b32_e64 v4, v30, v4, s[20:21]
	v_cmp_eq_u16_sdwa s[20:21], v129, v8 src0_sel:BYTE_3 src1_sel:DWORD
	v_cmp_lt_u64_e64 s[22:23], v[4:5], v[50:51]
	s_and_b64 s[22:23], s[20:21], s[22:23]
	v_cndmask_b32_e64 v5, v51, v5, s[22:23]
	v_cndmask_b32_e64 v4, v50, v4, s[22:23]
	v_cmp_eq_u16_sdwa s[24:25], v126, v8 src0_sel:BYTE_0 src1_sel:DWORD
	v_cmp_lt_u64_e64 s[22:23], v[4:5], v[38:39]
	s_and_b64 s[22:23], s[24:25], s[22:23]
	v_cndmask_b32_e64 v5, v39, v5, s[22:23]
	v_cndmask_b32_e64 v4, v38, v4, s[22:23]
	v_cmp_eq_u16_sdwa s[22:23], v128, v8 src0_sel:BYTE_0 src1_sel:DWORD
	v_cmp_lt_u64_e64 s[26:27], v[4:5], v[58:59]
	v_and_b32_e32 v9, 0x10000, v129
	s_and_b64 s[26:27], s[22:23], s[26:27]
	v_cmp_ne_u32_e64 s[66:67], 0, v9
	v_and_b32_e32 v9, 0x1000000, v129
	v_cndmask_b32_e64 v5, v59, v5, s[26:27]
	v_cndmask_b32_e64 v4, v58, v4, s[26:27]
	v_cmp_ne_u32_e64 s[68:69], 0, v9
	v_and_b32_e32 v9, 1, v128
	v_cmp_eq_u16_sdwa s[26:27], v132, v8 src0_sel:BYTE_0 src1_sel:DWORD
	v_cmp_lt_u64_e64 s[28:29], v[4:5], v[46:47]
	v_cmp_eq_u32_e64 s[72:73], 1, v9
	s_and_b64 s[28:29], s[26:27], s[28:29]
	v_and_b32_e32 v9, 0x100, v128
	v_cndmask_b32_e64 v5, v47, v5, s[28:29]
	v_cndmask_b32_e64 v4, v46, v4, s[28:29]
	v_cmp_ne_u32_e64 s[74:75], 0, v9
	v_and_b32_sdwa v9, v128, s7 dst_sel:DWORD dst_unused:UNUSED_PAD src0_sel:WORD_1 src1_sel:DWORD
	v_cmp_eq_u16_e64 s[28:29], 0, v9
	v_cmp_lt_u64_e64 s[30:31], v[4:5], v[66:67]
	s_and_b64 s[30:31], s[28:29], s[30:31]
	v_cndmask_b32_e64 v5, v67, v5, s[30:31]
	v_cndmask_b32_e64 v4, v66, v4, s[30:31]
	v_cmp_eq_u16_sdwa s[30:31], v128, v8 src0_sel:BYTE_3 src1_sel:DWORD
	v_cmp_lt_u64_e64 s[34:35], v[4:5], v[54:55]
	s_and_b64 s[34:35], s[30:31], s[34:35]
	v_cndmask_b32_e64 v5, v55, v5, s[34:35]
	v_cndmask_b32_e64 v4, v54, v4, s[34:35]
	v_cmp_eq_u16_sdwa s[36:37], v124, v8 src0_sel:BYTE_0 src1_sel:DWORD
	v_cmp_lt_u64_e64 s[34:35], v[4:5], v[74:75]
	s_and_b64 s[34:35], s[36:37], s[34:35]
	v_cndmask_b32_e64 v5, v75, v5, s[34:35]
	v_cndmask_b32_e64 v4, v74, v4, s[34:35]
	v_and_b32_e32 v9, 0x10000, v128
	v_cmp_eq_u16_sdwa s[34:35], v127, v8 src0_sel:BYTE_0 src1_sel:DWORD
	v_cmp_lt_u64_e64 s[38:39], v[4:5], v[62:63]
	v_cmp_ne_u32_e64 s[76:77], 0, v9
	v_and_b32_e32 v9, 0x1000000, v128
	s_and_b64 s[38:39], s[34:35], s[38:39]
	v_cmp_ne_u32_e64 s[78:79], 0, v9
	v_cndmask_b32_e64 v5, v63, v5, s[38:39]
	v_cndmask_b32_e64 v4, v62, v4, s[38:39]
	v_and_b32_e32 v9, 1, v127
	v_cmp_eq_u32_e64 s[80:81], 1, v9
	v_cmp_eq_u16_sdwa s[38:39], v131, v8 src0_sel:BYTE_0 src1_sel:DWORD
	v_cmp_lt_u64_e64 s[40:41], v[4:5], v[78:79]
	v_and_b32_e32 v9, 0x100, v127
	s_and_b64 s[40:41], s[38:39], s[40:41]
	v_cmp_ne_u32_e64 s[82:83], 0, v9
	v_and_b32_sdwa v9, v127, s7 dst_sel:DWORD dst_unused:UNUSED_PAD src0_sel:WORD_1 src1_sel:DWORD
	v_cndmask_b32_e64 v5, v79, v5, s[40:41]
	v_cndmask_b32_e64 v4, v78, v4, s[40:41]
	v_cmp_eq_u16_e64 s[40:41], 0, v9
	v_and_b32_e32 v9, 0x10000, v127
	v_cmp_ne_u32_e64 s[84:85], 0, v9
	v_and_b32_e32 v9, 0x1000000, v127
	v_cmp_ne_u32_e64 s[86:87], 0, v9
	s_or_b64 s[54:55], s[54:55], s[86:87]
	s_or_b64 s[54:55], s[54:55], s[84:85]
	;; [unrolled: 1-line block ×12, first 2 shown]
	v_cmp_lt_u64_e64 s[42:43], v[4:5], v[70:71]
	s_or_b64 s[48:49], s[48:49], s[64:65]
	s_and_b64 s[42:43], s[40:41], s[42:43]
	s_or_b64 s[48:49], s[48:49], s[62:63]
	v_cndmask_b32_e64 v5, v71, v5, s[42:43]
	v_cndmask_b32_e64 v4, v70, v4, s[42:43]
	s_or_b64 s[48:49], s[48:49], vcc
	v_cmp_eq_u16_sdwa s[42:43], v127, v8 src0_sel:BYTE_3 src1_sel:DWORD
	v_cmp_lt_u64_e64 s[44:45], v[4:5], v[10:11]
	s_or_b64 s[48:49], s[48:49], s[60:61]
	s_and_b64 s[44:45], s[42:43], s[44:45]
	s_or_b64 s[48:49], s[48:49], s[58:59]
	v_cndmask_b32_e64 v5, v11, v5, s[44:45]
	v_cndmask_b32_e64 v4, v10, v4, s[44:45]
	s_or_b64 s[48:49], s[48:49], s[56:57]
	v_cmp_eq_u16_sdwa s[44:45], v36, v8 src0_sel:BYTE_0 src1_sel:DWORD
	v_cmp_lt_u64_e64 s[88:89], v[4:5], v[20:21]
	s_or_b64 s[48:49], s[48:49], s[52:53]
	s_and_b64 s[88:89], s[44:45], s[88:89]
	s_or_b64 vcc, s[48:49], s[46:47]
	v_mbcnt_hi_u32_b32 v13, -1, v37
	v_cndmask_b32_e64 v5, v21, v5, s[88:89]
	v_cndmask_b32_e64 v4, v20, v4, s[88:89]
	v_and_b32_e32 v17, 15, v13
	v_cndmask_b32_e64 v16, 0, 1, vcc
	v_cndmask_b32_e64 v12, 0, 1, vcc
	v_mov_b32_dpp v8, v4 row_shr:1 row_mask:0xf bank_mask:0xf
	v_mov_b32_dpp v9, v5 row_shr:1 row_mask:0xf bank_mask:0xf
	;; [unrolled: 1-line block ×3, first 2 shown]
	v_cmp_ne_u32_e64 s[48:49], 0, v17
	s_and_saveexec_b64 s[50:51], s[48:49]
; %bb.136:
	v_and_b32_e32 v16, 1, v24
	v_cmp_lt_u64_e64 s[48:49], v[8:9], v[4:5]
	v_or_b32_e32 v12, v16, v12
	v_cndmask_b32_e64 v8, v4, v8, s[48:49]
	v_cndmask_b32_e64 v9, v5, v9, s[48:49]
	v_cndmask_b32_e32 v5, v9, v5, vcc
	v_cndmask_b32_e32 v4, v8, v4, vcc
	v_and_b32_e32 v16, 0xffff, v12
; %bb.137:
	s_or_b64 exec, exec, s[50:51]
	v_mov_b32_dpp v8, v4 row_shr:2 row_mask:0xf bank_mask:0xf
	v_mov_b32_dpp v9, v5 row_shr:2 row_mask:0xf bank_mask:0xf
	;; [unrolled: 1-line block ×3, first 2 shown]
	v_cmp_lt_u32_e32 vcc, 1, v17
	s_and_saveexec_b64 s[50:51], vcc
	s_cbranch_execz .LBB72_139
; %bb.138:
	v_and_b32_e32 v16, 1, v12
	v_cmp_eq_u32_e32 vcc, 1, v16
	v_and_b32_e32 v16, 1, v24
	v_cmp_eq_u32_e64 s[48:49], 1, v16
	s_or_b64 s[52:53], vcc, s[48:49]
	v_cmp_eq_u16_e32 vcc, 0, v12
	v_cmp_lt_u64_e64 s[48:49], v[8:9], v[4:5]
	v_cndmask_b32_e64 v24, 0, 1, s[52:53]
	s_and_b64 vcc, vcc, s[48:49]
	v_cndmask_b32_e32 v5, v5, v9, vcc
	v_cndmask_b32_e32 v4, v4, v8, vcc
	v_cndmask_b32_e64 v16, 0, 1, s[52:53]
	v_mov_b32_e32 v12, v24
.LBB72_139:
	s_or_b64 exec, exec, s[50:51]
	v_mov_b32_dpp v8, v4 row_shr:4 row_mask:0xf bank_mask:0xf
	v_mov_b32_dpp v9, v5 row_shr:4 row_mask:0xf bank_mask:0xf
	;; [unrolled: 1-line block ×3, first 2 shown]
	v_cmp_lt_u32_e32 vcc, 3, v17
	s_and_saveexec_b64 s[50:51], vcc
	s_load_dwordx8 s[72:79], s[4:5], 0x30
	s_cbranch_execz .LBB72_141
; %bb.140:
	v_and_b32_e32 v16, 1, v12
	v_cmp_eq_u32_e32 vcc, 1, v16
	v_and_b32_e32 v16, 1, v24
	v_cmp_eq_u32_e64 s[48:49], 1, v16
	s_or_b64 s[52:53], vcc, s[48:49]
	v_cmp_eq_u16_e32 vcc, 0, v12
	v_cmp_lt_u64_e64 s[48:49], v[8:9], v[4:5]
	v_cndmask_b32_e64 v24, 0, 1, s[52:53]
	s_and_b64 vcc, vcc, s[48:49]
	v_cndmask_b32_e32 v5, v5, v9, vcc
	v_cndmask_b32_e32 v4, v4, v8, vcc
	v_cndmask_b32_e64 v16, 0, 1, s[52:53]
	v_mov_b32_e32 v12, v24
.LBB72_141:
	s_or_b64 exec, exec, s[50:51]
	v_mov_b32_dpp v8, v4 row_shr:8 row_mask:0xf bank_mask:0xf
	v_mov_b32_dpp v9, v5 row_shr:8 row_mask:0xf bank_mask:0xf
	;; [unrolled: 1-line block ×3, first 2 shown]
	v_cmp_lt_u32_e32 vcc, 7, v17
	s_and_saveexec_b64 s[50:51], vcc
	s_cbranch_execz .LBB72_143
; %bb.142:
	v_and_b32_e32 v16, 1, v12
	v_cmp_eq_u32_e32 vcc, 1, v16
	v_and_b32_e32 v16, 1, v24
	v_cmp_eq_u32_e64 s[48:49], 1, v16
	s_or_b64 s[52:53], vcc, s[48:49]
	v_cmp_eq_u16_e32 vcc, 0, v12
	v_cmp_lt_u64_e64 s[48:49], v[8:9], v[4:5]
	v_cndmask_b32_e64 v17, 0, 1, s[52:53]
	s_and_b64 vcc, vcc, s[48:49]
	v_cndmask_b32_e32 v5, v5, v9, vcc
	v_cndmask_b32_e32 v4, v4, v8, vcc
	v_cndmask_b32_e64 v16, 0, 1, s[52:53]
	v_mov_b32_e32 v12, v17
.LBB72_143:
	s_or_b64 exec, exec, s[50:51]
	v_and_b32_e32 v24, 16, v13
	v_mov_b32_dpp v8, v4 row_bcast:15 row_mask:0xf bank_mask:0xf
	v_mov_b32_dpp v9, v5 row_bcast:15 row_mask:0xf bank_mask:0xf
	;; [unrolled: 1-line block ×3, first 2 shown]
	v_cmp_ne_u32_e32 vcc, 0, v24
	s_and_saveexec_b64 s[50:51], vcc
	s_cbranch_execz .LBB72_145
; %bb.144:
	v_and_b32_e32 v16, 1, v12
	v_cmp_eq_u32_e32 vcc, 1, v16
	v_and_b32_e32 v16, 1, v17
	v_cmp_eq_u32_e64 s[48:49], 1, v16
	s_or_b64 s[52:53], vcc, s[48:49]
	v_cmp_eq_u16_e32 vcc, 0, v12
	v_cmp_lt_u64_e64 s[48:49], v[8:9], v[4:5]
	v_cndmask_b32_e64 v17, 0, 1, s[52:53]
	s_and_b64 vcc, vcc, s[48:49]
	v_cndmask_b32_e32 v5, v5, v9, vcc
	v_cndmask_b32_e32 v4, v4, v8, vcc
	v_cndmask_b32_e64 v16, 0, 1, s[52:53]
	v_mov_b32_e32 v12, v17
.LBB72_145:
	s_or_b64 exec, exec, s[50:51]
	v_mov_b32_dpp v8, v4 row_bcast:31 row_mask:0xf bank_mask:0xf
	v_mov_b32_dpp v9, v5 row_bcast:31 row_mask:0xf bank_mask:0xf
	;; [unrolled: 1-line block ×3, first 2 shown]
	v_cmp_lt_u32_e32 vcc, 31, v13
	s_and_saveexec_b64 s[50:51], vcc
	s_cbranch_execz .LBB72_147
; %bb.146:
	v_and_b32_e32 v17, 1, v12
	v_and_b32_e32 v16, 1, v16
	v_cmp_eq_u32_e32 vcc, 1, v17
	v_cmp_eq_u32_e64 s[48:49], 1, v16
	s_or_b64 s[48:49], vcc, s[48:49]
	v_cndmask_b32_e64 v16, 0, 1, s[48:49]
	v_cmp_eq_u16_e32 vcc, 0, v12
	v_cmp_lt_u64_e64 s[48:49], v[8:9], v[4:5]
	s_and_b64 vcc, vcc, s[48:49]
	v_cndmask_b32_e32 v5, v5, v9, vcc
	v_cndmask_b32_e32 v4, v4, v8, vcc
	v_mov_b32_e32 v12, v16
.LBB72_147:
	s_or_b64 exec, exec, s[50:51]
	v_cmp_eq_u32_e32 vcc, 63, v0
	s_and_saveexec_b64 s[48:49], vcc
	s_cbranch_execz .LBB72_149
; %bb.148:
	v_mov_b32_e32 v8, 0
	ds_write_b64 v8, v[4:5]
	ds_write_b8 v8, v12 offset:8
.LBB72_149:
	s_or_b64 exec, exec, s[48:49]
	v_add_u32_e32 v8, -1, v13
	v_and_b32_e32 v9, 64, v13
	v_cmp_lt_i32_e32 vcc, v8, v9
	v_cndmask_b32_e32 v8, v8, v13, vcc
	v_lshlrev_b32_e32 v8, 2, v8
	v_and_b32_e32 v9, 0xffff, v12
	ds_bpermute_b32 v4, v8, v4
	ds_bpermute_b32 v5, v8, v5
	;; [unrolled: 1-line block ×3, first 2 shown]
	v_cmp_gt_u32_e32 vcc, 64, v0
	s_waitcnt lgkmcnt(0)
	; wave barrier
	s_waitcnt lgkmcnt(0)
	s_and_saveexec_b64 s[52:53], vcc
	s_cbranch_execz .LBB72_192
; %bb.150:
	v_mov_b32_e32 v17, 0
	ds_read_b64 v[8:9], v17
	ds_read_u8 v45, v17 offset:8
	s_mov_b32 s55, 0
	v_cmp_eq_u32_e64 s[48:49], 0, v13
	s_and_saveexec_b64 s[50:51], s[48:49]
	s_cbranch_execz .LBB72_152
; %bb.151:
	s_add_i32 s54, s6, 64
	s_lshl_b64 s[56:57], s[54:55], 4
	s_add_u32 s56, s72, s56
	s_addc_u32 s57, s73, s57
	v_mov_b32_e32 v12, s54
	v_mov_b32_e32 v16, 1
	s_waitcnt lgkmcnt(1)
	global_store_dwordx2 v17, v[8:9], s[56:57]
	s_waitcnt lgkmcnt(0)
	global_store_byte v17, v45, s[56:57] offset:8
	s_waitcnt vmcnt(0)
	buffer_wbinvl1_vol
	global_store_byte v12, v16, s[76:77]
.LBB72_152:
	s_or_b64 exec, exec, s[50:51]
	v_xad_u32 v12, v13, -1, s6
	v_add_u32_e32 v16, 64, v12
	global_load_ubyte v48, v16, s[76:77] glc
	s_waitcnt vmcnt(0)
	v_cmp_eq_u16_e32 vcc, 0, v48
	s_and_saveexec_b64 s[50:51], vcc
	s_cbranch_execz .LBB72_156
; %bb.153:
	v_mov_b32_e32 v25, s77
	v_add_co_u32_e32 v24, vcc, s76, v16
	v_addc_co_u32_e32 v25, vcc, 0, v25, vcc
	s_mov_b64 s[54:55], 0
.LBB72_154:                             ; =>This Inner Loop Header: Depth=1
	global_load_ubyte v48, v[24:25], off glc
	s_waitcnt vmcnt(0)
	v_cmp_ne_u16_e32 vcc, 0, v48
	s_or_b64 s[54:55], vcc, s[54:55]
	s_andn2_b64 exec, exec, s[54:55]
	s_cbranch_execnz .LBB72_154
; %bb.155:
	s_or_b64 exec, exec, s[54:55]
.LBB72_156:
	s_or_b64 exec, exec, s[50:51]
	v_mov_b32_e32 v24, s75
	v_mov_b32_e32 v25, s73
	v_cmp_eq_u16_e32 vcc, 1, v48
	v_cndmask_b32_e32 v24, v24, v25, vcc
	v_mov_b32_e32 v25, s74
	v_mov_b32_e32 v28, s72
	v_cndmask_b32_e32 v25, v25, v28, vcc
	v_lshlrev_b64 v[16:17], 4, v[16:17]
	v_add_co_u32_e32 v16, vcc, v25, v16
	v_addc_co_u32_e32 v17, vcc, v24, v17, vcc
	s_waitcnt lgkmcnt(0)
	buffer_wbinvl1_vol
	global_load_dwordx2 v[28:29], v[16:17], off
	global_load_ubyte v32, v[16:17], off offset:8
	v_cmp_eq_u16_e32 vcc, 2, v48
	v_lshlrev_b64 v[16:17], v13, -1
	v_and_b32_e32 v33, 63, v13
	v_and_b32_e32 v24, vcc_hi, v17
	v_and_b32_e32 v52, vcc_lo, v16
	v_cmp_ne_u32_e32 vcc, 63, v33
	v_addc_co_u32_e32 v25, vcc, 0, v13, vcc
	v_or_b32_e32 v24, 0x80000000, v24
	v_lshlrev_b32_e32 v49, 2, v25
	v_ffbl_b32_e32 v24, v24
	v_add_u32_e32 v56, 32, v24
	v_ffbl_b32_e32 v52, v52
	v_min_u32_e32 v72, v52, v56
	v_add_u32_e32 v52, 1, v13
	v_cmp_le_u32_e32 vcc, v52, v72
	s_waitcnt vmcnt(1)
	ds_bpermute_b32 v24, v49, v28
	s_waitcnt vmcnt(0)
	v_and_b32_e32 v73, 1, v32
	ds_bpermute_b32 v25, v49, v29
	ds_bpermute_b32 v53, v49, v73
	s_and_saveexec_b64 s[50:51], vcc
	s_cbranch_execz .LBB72_158
; %bb.157:
	v_mov_b32_e32 v56, 0
	v_cmp_eq_u16_sdwa s[54:55], v32, v56 src0_sel:BYTE_0 src1_sel:DWORD
	s_waitcnt lgkmcnt(1)
	v_cmp_lt_u64_e32 vcc, v[24:25], v[28:29]
	s_and_b64 vcc, s[54:55], vcc
	v_cndmask_b32_e32 v28, v28, v24, vcc
	s_waitcnt lgkmcnt(0)
	v_and_b32_e32 v24, 1, v53
	v_or_b32_e32 v32, v24, v32
	v_cndmask_b32_e32 v29, v29, v25, vcc
	v_and_b32_e32 v73, 0xff, v32
.LBB72_158:
	s_or_b64 exec, exec, s[50:51]
	v_cmp_gt_u32_e32 vcc, 62, v33
	s_waitcnt lgkmcnt(2)
	v_cndmask_b32_e64 v24, 0, 1, vcc
	v_lshlrev_b32_e32 v24, 1, v24
	s_waitcnt lgkmcnt(0)
	v_add_lshl_u32 v53, v24, v13, 2
	ds_bpermute_b32 v24, v53, v28
	ds_bpermute_b32 v25, v53, v29
	ds_bpermute_b32 v57, v53, v73
	v_add_u32_e32 v56, 2, v13
	v_cmp_le_u32_e32 vcc, v56, v72
	s_and_saveexec_b64 s[54:55], vcc
	s_cbranch_execz .LBB72_160
; %bb.159:
	v_mov_b32_e32 v60, 0
	v_cmp_eq_u16_sdwa s[50:51], v32, v60 src0_sel:BYTE_0 src1_sel:DWORD
	s_waitcnt lgkmcnt(1)
	v_cmp_lt_u64_e32 vcc, v[24:25], v[28:29]
	s_and_b64 vcc, s[50:51], vcc
	v_cndmask_b32_e32 v28, v28, v24, vcc
	v_and_b32_e32 v24, 1, v32
	v_cndmask_b32_e32 v29, v29, v25, vcc
	v_cmp_eq_u32_e32 vcc, 1, v24
	s_waitcnt lgkmcnt(0)
	v_and_b32_e32 v24, 1, v57
	v_cmp_eq_u32_e64 s[50:51], 1, v24
	s_or_b64 s[50:51], vcc, s[50:51]
	v_cndmask_b32_e64 v32, 0, 1, s[50:51]
	v_cndmask_b32_e64 v73, 0, 1, s[50:51]
.LBB72_160:
	s_or_b64 exec, exec, s[54:55]
	v_cmp_gt_u32_e32 vcc, 60, v33
	s_waitcnt lgkmcnt(2)
	v_cndmask_b32_e64 v24, 0, 1, vcc
	v_lshlrev_b32_e32 v24, 2, v24
	s_waitcnt lgkmcnt(0)
	v_add_lshl_u32 v57, v24, v13, 2
	ds_bpermute_b32 v24, v57, v28
	ds_bpermute_b32 v25, v57, v29
	ds_bpermute_b32 v61, v57, v73
	v_add_u32_e32 v60, 4, v13
	v_cmp_le_u32_e32 vcc, v60, v72
	s_and_saveexec_b64 s[54:55], vcc
	s_cbranch_execz .LBB72_162
; %bb.161:
	v_mov_b32_e32 v64, 0
	v_cmp_eq_u16_sdwa s[50:51], v32, v64 src0_sel:BYTE_0 src1_sel:DWORD
	s_waitcnt lgkmcnt(1)
	v_cmp_lt_u64_e32 vcc, v[24:25], v[28:29]
	s_and_b64 vcc, s[50:51], vcc
	v_cndmask_b32_e32 v28, v28, v24, vcc
	v_and_b32_e32 v24, 1, v32
	v_cndmask_b32_e32 v29, v29, v25, vcc
	v_cmp_eq_u32_e32 vcc, 1, v24
	s_waitcnt lgkmcnt(0)
	v_and_b32_e32 v24, 1, v61
	v_cmp_eq_u32_e64 s[50:51], 1, v24
	s_or_b64 s[50:51], vcc, s[50:51]
	v_cndmask_b32_e64 v32, 0, 1, s[50:51]
	v_cndmask_b32_e64 v73, 0, 1, s[50:51]
.LBB72_162:
	;; [unrolled: 31-line block ×4, first 2 shown]
	s_or_b64 exec, exec, s[54:55]
	v_cmp_gt_u32_e32 vcc, 32, v33
	s_waitcnt lgkmcnt(2)
	v_cndmask_b32_e64 v24, 0, 1, vcc
	v_lshlrev_b32_e32 v24, 5, v24
	s_waitcnt lgkmcnt(0)
	v_add_lshl_u32 v69, v24, v13, 2
	ds_bpermute_b32 v24, v69, v28
	ds_bpermute_b32 v25, v69, v29
	;; [unrolled: 1-line block ×3, first 2 shown]
	v_add_u32_e32 v73, 32, v13
	v_cmp_le_u32_e32 vcc, v73, v72
	s_and_saveexec_b64 s[54:55], vcc
	s_cbranch_execz .LBB72_168
; %bb.167:
	v_mov_b32_e32 v13, 0
	s_waitcnt lgkmcnt(1)
	v_cmp_lt_u64_e32 vcc, v[24:25], v[28:29]
	v_cmp_eq_u16_sdwa s[50:51], v32, v13 src0_sel:BYTE_0 src1_sel:DWORD
	v_cndmask_b32_e32 v25, v29, v25, vcc
	s_and_b64 vcc, s[50:51], vcc
	v_and_b32_e32 v13, 1, v32
	v_cndmask_b32_e32 v28, v28, v24, vcc
	v_cmp_eq_u32_e32 vcc, 1, v13
	s_waitcnt lgkmcnt(0)
	v_and_b32_e32 v13, 1, v33
	v_cndmask_b32_e64 v29, v29, v25, s[50:51]
	v_cmp_eq_u32_e64 s[50:51], 1, v13
	s_or_b64 s[50:51], vcc, s[50:51]
	v_cndmask_b32_e64 v32, 0, 1, s[50:51]
.LBB72_168:
	s_or_b64 exec, exec, s[54:55]
	v_mov_b32_e32 v13, 0
	v_mov_b32_e32 v76, 2
	s_branch .LBB72_170
.LBB72_169:                             ;   in Loop: Header=BB72_170 Depth=1
	s_or_b64 exec, exec, s[56:57]
	v_cmp_lt_u64_e32 vcc, v[28:29], v[24:25]
	v_cmp_eq_u16_sdwa s[50:51], v72, v13 src0_sel:BYTE_0 src1_sel:DWORD
	v_cndmask_b32_e32 v29, v25, v29, vcc
	s_and_b64 vcc, s[50:51], vcc
	s_waitcnt lgkmcnt(2)
	v_and_b32_e32 v32, 1, v72
	v_cndmask_b32_e32 v28, v24, v28, vcc
	v_cmp_eq_u32_e32 vcc, 1, v32
	v_cndmask_b32_e64 v29, v25, v29, s[50:51]
	s_or_b64 s[50:51], vcc, s[54:55]
	v_subrev_u32_e32 v12, 64, v12
	v_cndmask_b32_e64 v32, 0, 1, s[50:51]
.LBB72_170:                             ; =>This Loop Header: Depth=1
                                        ;     Child Loop BB72_173 Depth 2
	v_cmp_ne_u16_sdwa s[50:51], v48, v76 src0_sel:BYTE_0 src1_sel:DWORD
	s_waitcnt lgkmcnt(2)
	v_cndmask_b32_e64 v24, 0, 1, s[50:51]
	;;#ASMSTART
	;;#ASMEND
	v_cmp_ne_u32_e32 vcc, 0, v24
	v_mov_b32_e32 v72, v32
	s_cmp_lg_u64 vcc, exec
	s_waitcnt lgkmcnt(1)
	v_pk_mov_b32 v[24:25], v[28:29], v[28:29] op_sel:[0,1]
	s_cbranch_scc1 .LBB72_187
; %bb.171:                              ;   in Loop: Header=BB72_170 Depth=1
	global_load_ubyte v48, v12, s[76:77] glc
	s_waitcnt vmcnt(0)
	v_cmp_eq_u16_e32 vcc, 0, v48
	s_and_saveexec_b64 s[50:51], vcc
	s_cbranch_execz .LBB72_175
; %bb.172:                              ;   in Loop: Header=BB72_170 Depth=1
	v_mov_b32_e32 v29, s77
	v_add_co_u32_e32 v28, vcc, s76, v12
	v_addc_co_u32_e32 v29, vcc, 0, v29, vcc
	s_mov_b64 s[54:55], 0
.LBB72_173:                             ;   Parent Loop BB72_170 Depth=1
                                        ; =>  This Inner Loop Header: Depth=2
	global_load_ubyte v48, v[28:29], off glc
	s_waitcnt vmcnt(0)
	v_cmp_ne_u16_e32 vcc, 0, v48
	s_or_b64 s[54:55], vcc, s[54:55]
	s_andn2_b64 exec, exec, s[54:55]
	s_cbranch_execnz .LBB72_173
; %bb.174:                              ;   in Loop: Header=BB72_170 Depth=1
	s_or_b64 exec, exec, s[54:55]
.LBB72_175:                             ;   in Loop: Header=BB72_170 Depth=1
	s_or_b64 exec, exec, s[50:51]
	v_mov_b32_e32 v28, s75
	v_mov_b32_e32 v29, s73
	v_cmp_eq_u16_e32 vcc, 1, v48
	s_waitcnt lgkmcnt(0)
	v_cndmask_b32_e32 v33, v28, v29, vcc
	v_mov_b32_e32 v28, s74
	v_mov_b32_e32 v29, s72
	v_cndmask_b32_e32 v32, v28, v29, vcc
	v_lshlrev_b64 v[28:29], 4, v[12:13]
	v_add_co_u32_e32 v32, vcc, v32, v28
	v_addc_co_u32_e32 v33, vcc, v33, v29, vcc
	buffer_wbinvl1_vol
	global_load_dwordx2 v[28:29], v[32:33], off
	global_load_ubyte v77, v[32:33], off offset:8
	v_cmp_eq_u16_e32 vcc, 2, v48
	v_and_b32_e32 v32, vcc_hi, v17
	v_or_b32_e32 v32, 0x80000000, v32
	v_ffbl_b32_e32 v32, v32
	v_add_u32_e32 v83, 32, v32
	v_and_b32_e32 v80, vcc_lo, v16
	v_ffbl_b32_e32 v80, v80
	v_min_u32_e32 v80, v80, v83
	v_cmp_le_u32_e32 vcc, v52, v80
	s_waitcnt vmcnt(1)
	ds_bpermute_b32 v32, v49, v28
	s_waitcnt vmcnt(0)
	v_and_b32_e32 v81, 1, v77
	ds_bpermute_b32 v33, v49, v29
	ds_bpermute_b32 v82, v49, v81
	v_cmp_eq_u32_e64 s[54:55], 1, v81
	s_and_saveexec_b64 s[50:51], vcc
	s_cbranch_execz .LBB72_177
; %bb.176:                              ;   in Loop: Header=BB72_170 Depth=1
	v_cmp_eq_u16_sdwa s[56:57], v77, v13 src0_sel:BYTE_0 src1_sel:DWORD
	s_waitcnt lgkmcnt(1)
	v_cmp_lt_u64_e32 vcc, v[32:33], v[28:29]
	s_and_b64 vcc, s[56:57], vcc
	v_cndmask_b32_e32 v28, v28, v32, vcc
	s_waitcnt lgkmcnt(0)
	v_and_b32_e32 v32, 1, v82
	v_or_b32_e32 v77, v32, v77
	v_and_b32_e32 v32, 1, v77
	v_cndmask_b32_e32 v29, v29, v33, vcc
	v_cmp_eq_u32_e32 vcc, 1, v32
	s_andn2_b64 s[54:55], s[54:55], exec
	s_and_b64 s[56:57], vcc, exec
	v_and_b32_e32 v81, 0xff, v77
	s_or_b64 s[54:55], s[54:55], s[56:57]
.LBB72_177:                             ;   in Loop: Header=BB72_170 Depth=1
	s_or_b64 exec, exec, s[50:51]
	s_waitcnt lgkmcnt(2)
	ds_bpermute_b32 v32, v53, v28
	s_waitcnt lgkmcnt(2)
	ds_bpermute_b32 v33, v53, v29
	s_waitcnt lgkmcnt(2)
	ds_bpermute_b32 v82, v53, v81
	v_cmp_le_u32_e32 vcc, v56, v80
	s_and_saveexec_b64 s[56:57], vcc
	s_cbranch_execz .LBB72_179
; %bb.178:                              ;   in Loop: Header=BB72_170 Depth=1
	v_cmp_eq_u16_sdwa s[50:51], v77, v13 src0_sel:BYTE_0 src1_sel:DWORD
	s_waitcnt lgkmcnt(1)
	v_cmp_lt_u64_e32 vcc, v[32:33], v[28:29]
	s_and_b64 vcc, s[50:51], vcc
	v_cndmask_b32_e32 v28, v28, v32, vcc
	v_and_b32_e32 v32, 1, v77
	v_cndmask_b32_e32 v29, v29, v33, vcc
	v_cmp_eq_u32_e32 vcc, 1, v32
	s_waitcnt lgkmcnt(0)
	v_and_b32_e32 v32, 1, v82
	v_cmp_eq_u32_e64 s[50:51], 1, v32
	s_or_b64 s[50:51], vcc, s[50:51]
	v_cndmask_b32_e64 v77, 0, 1, s[50:51]
	v_cndmask_b32_e64 v81, 0, 1, s[50:51]
	s_andn2_b64 s[54:55], s[54:55], exec
	s_and_b64 s[50:51], s[50:51], exec
	s_or_b64 s[54:55], s[54:55], s[50:51]
.LBB72_179:                             ;   in Loop: Header=BB72_170 Depth=1
	s_or_b64 exec, exec, s[56:57]
	s_waitcnt lgkmcnt(2)
	ds_bpermute_b32 v32, v57, v28
	s_waitcnt lgkmcnt(2)
	ds_bpermute_b32 v33, v57, v29
	s_waitcnt lgkmcnt(2)
	ds_bpermute_b32 v82, v57, v81
	v_cmp_le_u32_e32 vcc, v60, v80
	s_and_saveexec_b64 s[56:57], vcc
	s_cbranch_execz .LBB72_181
; %bb.180:                              ;   in Loop: Header=BB72_170 Depth=1
	v_cmp_eq_u16_sdwa s[50:51], v77, v13 src0_sel:BYTE_0 src1_sel:DWORD
	s_waitcnt lgkmcnt(1)
	v_cmp_lt_u64_e32 vcc, v[32:33], v[28:29]
	s_and_b64 vcc, s[50:51], vcc
	v_cndmask_b32_e32 v28, v28, v32, vcc
	v_and_b32_e32 v32, 1, v77
	v_cndmask_b32_e32 v29, v29, v33, vcc
	v_cmp_eq_u32_e32 vcc, 1, v32
	s_waitcnt lgkmcnt(0)
	v_and_b32_e32 v32, 1, v82
	v_cmp_eq_u32_e64 s[50:51], 1, v32
	s_or_b64 s[50:51], vcc, s[50:51]
	v_cndmask_b32_e64 v77, 0, 1, s[50:51]
	v_cndmask_b32_e64 v81, 0, 1, s[50:51]
	s_andn2_b64 s[54:55], s[54:55], exec
	s_and_b64 s[50:51], s[50:51], exec
	s_or_b64 s[54:55], s[54:55], s[50:51]
.LBB72_181:                             ;   in Loop: Header=BB72_170 Depth=1
	;; [unrolled: 29-line block ×4, first 2 shown]
	s_or_b64 exec, exec, s[56:57]
	s_waitcnt lgkmcnt(2)
	ds_bpermute_b32 v32, v69, v28
	s_waitcnt lgkmcnt(2)
	ds_bpermute_b32 v33, v69, v29
	ds_bpermute_b32 v81, v69, v81
	v_cmp_le_u32_e32 vcc, v73, v80
	s_and_saveexec_b64 s[56:57], vcc
	s_cbranch_execz .LBB72_169
; %bb.186:                              ;   in Loop: Header=BB72_170 Depth=1
	s_waitcnt lgkmcnt(1)
	v_cmp_lt_u64_e32 vcc, v[32:33], v[28:29]
	v_cmp_eq_u16_sdwa s[50:51], v77, v13 src0_sel:BYTE_0 src1_sel:DWORD
	v_cndmask_b32_e32 v33, v29, v33, vcc
	s_and_b64 vcc, s[50:51], vcc
	v_cndmask_b32_e32 v28, v28, v32, vcc
	v_and_b32_e32 v32, 1, v77
	v_cmp_eq_u32_e32 vcc, 1, v32
	s_waitcnt lgkmcnt(0)
	v_and_b32_e32 v32, 1, v81
	v_cndmask_b32_e64 v29, v29, v33, s[50:51]
	v_cmp_eq_u32_e64 s[50:51], 1, v32
	s_or_b64 s[50:51], vcc, s[50:51]
	s_andn2_b64 s[54:55], s[54:55], exec
	s_and_b64 s[50:51], s[50:51], exec
	s_or_b64 s[54:55], s[54:55], s[50:51]
	s_branch .LBB72_169
.LBB72_187:                             ;   in Loop: Header=BB72_170 Depth=1
                                        ; implicit-def: $vgpr32
                                        ; implicit-def: $vgpr28_vgpr29
                                        ; implicit-def: $vgpr48
	s_cbranch_execz .LBB72_170
; %bb.188:
	s_and_saveexec_b64 s[50:51], s[48:49]
	s_cbranch_execz .LBB72_190
; %bb.189:
	v_mov_b32_e32 v12, 0
	v_cmp_lt_u64_e32 vcc, v[24:25], v[8:9]
	s_mov_b32 s7, 0
	v_cndmask_b32_e32 v13, v9, v25, vcc
	v_cmp_eq_u16_sdwa s[48:49], v45, v12 src0_sel:BYTE_0 src1_sel:DWORD
	s_add_i32 s6, s6, 64
	v_cndmask_b32_e64 v9, v9, v13, s[48:49]
	s_and_b64 vcc, s[48:49], vcc
	s_lshl_b64 s[48:49], s[6:7], 4
	s_add_u32 s48, s74, s48
	v_cndmask_b32_e32 v8, v8, v24, vcc
	v_or_b32_e32 v13, v45, v72
	s_addc_u32 s49, s75, s49
	v_and_b32_e32 v13, 1, v13
	global_store_dwordx2 v12, v[8:9], s[48:49]
	global_store_byte v12, v13, s[48:49] offset:8
	v_mov_b32_e32 v8, s6
	v_mov_b32_e32 v9, 2
	s_waitcnt vmcnt(0) lgkmcnt(0)
	buffer_wbinvl1_vol
	global_store_byte v8, v9, s[76:77]
.LBB72_190:
	s_or_b64 exec, exec, s[50:51]
	v_cmp_eq_u32_e32 vcc, 0, v0
	s_and_b64 exec, exec, vcc
	s_cbranch_execz .LBB72_192
; %bb.191:
	v_mov_b32_e32 v8, 0
	ds_write_b64 v8, v[24:25]
	ds_write_b8 v8, v72 offset:8
.LBB72_192:
	s_or_b64 exec, exec, s[52:53]
	v_mov_b32_e32 v12, 0
	v_and_b32_e32 v13, 1, v44
	s_waitcnt lgkmcnt(0)
	; wave barrier
	s_waitcnt lgkmcnt(0)
	ds_read_b64 v[8:9], v12
	v_cmp_eq_u32_e32 vcc, 1, v13
	v_cmp_eq_u16_sdwa s[6:7], v1, v12 src0_sel:BYTE_0 src1_sel:DWORD
	s_or_b64 s[46:47], s[46:47], vcc
	v_cmp_lt_u64_e32 vcc, v[4:5], v[2:3]
	s_and_b64 vcc, s[6:7], vcc
	v_cndmask_b32_e64 v13, 0, 1, s[46:47]
	v_cndmask_b32_e32 v4, v2, v4, vcc
	v_cndmask_b32_e32 v5, v3, v5, vcc
	v_cmp_eq_u32_e32 vcc, 0, v0
	v_cndmask_b32_e32 v13, v13, v1, vcc
	v_cndmask_b32_e32 v5, v5, v3, vcc
	;; [unrolled: 1-line block ×3, first 2 shown]
	s_waitcnt lgkmcnt(0)
	v_cmp_lt_u64_e32 vcc, v[8:9], v[4:5]
	v_cmp_eq_u16_sdwa s[6:7], v13, v12 src0_sel:BYTE_0 src1_sel:DWORD
	v_cndmask_b32_e32 v9, v5, v9, vcc
	s_and_b64 vcc, s[6:7], vcc
	v_cndmask_b32_e64 v123, v5, v9, s[6:7]
	v_cndmask_b32_e32 v122, v4, v8, vcc
	v_cmp_lt_u64_e32 vcc, v[122:123], v[18:19]
	v_cndmask_b32_e32 v4, v19, v123, vcc
	s_and_b64 vcc, s[2:3], vcc
	v_cndmask_b32_e64 v83, v19, v4, s[2:3]
	v_cndmask_b32_e32 v82, v18, v122, vcc
	v_cmp_lt_u64_e32 vcc, v[82:83], v[6:7]
	;; [unrolled: 5-line block ×20, first 2 shown]
	v_cndmask_b32_e32 v4, v21, v77, vcc
	s_and_b64 vcc, s[44:45], vcc
	v_cndmask_b32_e64 v121, v21, v4, s[44:45]
	v_cndmask_b32_e32 v120, v20, v76, vcc
	s_branch .LBB72_215
.LBB72_193:
                                        ; implicit-def: $vgpr122_vgpr123
                                        ; implicit-def: $vgpr120_vgpr121
                                        ; implicit-def: $vgpr76_vgpr77
                                        ; implicit-def: $vgpr72_vgpr73
                                        ; implicit-def: $vgpr68_vgpr69
                                        ; implicit-def: $vgpr64_vgpr65
                                        ; implicit-def: $vgpr60_vgpr61
                                        ; implicit-def: $vgpr56_vgpr57
                                        ; implicit-def: $vgpr52_vgpr53
                                        ; implicit-def: $vgpr48_vgpr49
                                        ; implicit-def: $vgpr44_vgpr45
                                        ; implicit-def: $vgpr116_vgpr117_vgpr118_vgpr119
                                        ; implicit-def: $vgpr112_vgpr113_vgpr114_vgpr115
                                        ; implicit-def: $vgpr108_vgpr109_vgpr110_vgpr111
                                        ; implicit-def: $vgpr104_vgpr105_vgpr106_vgpr107
                                        ; implicit-def: $vgpr100_vgpr101_vgpr102_vgpr103
                                        ; implicit-def: $vgpr96_vgpr97_vgpr98_vgpr99
                                        ; implicit-def: $vgpr92_vgpr93_vgpr94_vgpr95
                                        ; implicit-def: $vgpr88_vgpr89_vgpr90_vgpr91
                                        ; implicit-def: $vgpr84_vgpr85_vgpr86_vgpr87
                                        ; implicit-def: $vgpr80_vgpr81_vgpr82_vgpr83
	s_cbranch_execz .LBB72_215
; %bb.194:
	s_cmp_lg_u64 s[92:93], 0
	s_cselect_b64 s[6:7], -1, 0
	v_cmp_eq_u32_e32 vcc, 0, v0
	v_cmp_ne_u32_e64 s[2:3], 0, v0
	s_and_b64 s[6:7], vcc, s[6:7]
	s_and_saveexec_b64 s[10:11], s[6:7]
	s_cbranch_execz .LBB72_196
; %bb.195:
	v_mov_b32_e32 v4, 0
	global_load_ubyte v5, v4, s[92:93] offset:8
	s_load_dwordx2 s[12:13], s[92:93], 0x0
	v_cmp_eq_u16_sdwa s[8:9], v1, v4 src0_sel:BYTE_0 src1_sel:DWORD
	s_waitcnt lgkmcnt(0)
	v_mov_b32_e32 v8, s13
	v_cmp_lt_u64_e64 s[6:7], s[12:13], v[2:3]
	v_cndmask_b32_e64 v8, v3, v8, s[6:7]
	v_mov_b32_e32 v4, s12
	s_and_b64 s[6:7], s[8:9], s[6:7]
	v_cndmask_b32_e64 v3, v3, v8, s[8:9]
	v_cndmask_b32_e64 v2, v2, v4, s[6:7]
	s_waitcnt vmcnt(0)
	v_or_b32_e32 v1, v1, v5
	v_and_b32_e32 v1, 1, v1
.LBB72_196:
	s_or_b64 exec, exec, s[10:11]
	v_and_b32_e32 v4, 1, v1
	v_cmp_eq_u32_e64 s[48:49], 1, v4
	v_mov_b32_e32 v4, 0
	v_cmp_eq_u16_sdwa s[46:47], v130, v4 src0_sel:BYTE_0 src1_sel:DWORD
	v_cmp_lt_u64_e64 s[6:7], v[2:3], v[18:19]
	s_and_b64 s[6:7], s[46:47], s[6:7]
	v_cndmask_b32_e64 v83, v19, v3, s[6:7]
	v_cndmask_b32_e64 v82, v18, v2, s[6:7]
	v_cmp_eq_u16_sdwa s[42:43], v136, v4 src0_sel:BYTE_0 src1_sel:DWORD
	v_cmp_lt_u64_e64 s[6:7], v[82:83], v[6:7]
	s_movk_i32 s8, 0xff
	s_and_b64 s[6:7], s[42:43], s[6:7]
	v_cndmask_b32_e64 v85, v7, v83, s[6:7]
	v_cndmask_b32_e64 v84, v6, v82, s[6:7]
	v_and_b32_sdwa v5, v130, s8 dst_sel:DWORD dst_unused:UNUSED_PAD src0_sel:WORD_1 src1_sel:DWORD
	v_cmp_eq_u16_e64 s[44:45], 0, v5
	v_cmp_lt_u64_e64 s[6:7], v[84:85], v[26:27]
	s_and_b64 s[6:7], s[44:45], s[6:7]
	v_cndmask_b32_e64 v45, v27, v85, s[6:7]
	v_cndmask_b32_e64 v44, v26, v84, s[6:7]
	v_cmp_eq_u16_sdwa s[40:41], v130, v4 src0_sel:BYTE_3 src1_sel:DWORD
	v_cmp_lt_u64_e64 s[6:7], v[44:45], v[14:15]
	s_and_b64 s[6:7], s[40:41], s[6:7]
	v_cndmask_b32_e64 v89, v15, v45, s[6:7]
	v_cndmask_b32_e64 v88, v14, v44, s[6:7]
	v_cmp_eq_u16_sdwa s[36:37], v125, v4 src0_sel:BYTE_0 src1_sel:DWORD
	v_cmp_lt_u64_e64 s[6:7], v[88:89], v[34:35]
	s_and_b64 s[6:7], s[36:37], s[6:7]
	v_cndmask_b32_e64 v49, v35, v89, s[6:7]
	v_cndmask_b32_e64 v48, v34, v88, s[6:7]
	v_cmp_eq_u16_sdwa s[38:39], v129, v4 src0_sel:BYTE_0 src1_sel:DWORD
	v_cmp_lt_u64_e64 s[6:7], v[48:49], v[22:23]
	s_and_b64 s[6:7], s[38:39], s[6:7]
	v_cndmask_b32_e64 v93, v23, v49, s[6:7]
	v_cndmask_b32_e64 v92, v22, v48, s[6:7]
	v_cmp_eq_u16_sdwa s[30:31], v134, v4 src0_sel:BYTE_0 src1_sel:DWORD
	v_cmp_lt_u64_e64 s[6:7], v[92:93], v[42:43]
	s_and_b64 s[6:7], s[30:31], s[6:7]
	v_cndmask_b32_e64 v53, v43, v93, s[6:7]
	v_cndmask_b32_e64 v52, v42, v92, s[6:7]
	v_and_b32_sdwa v5, v129, s8 dst_sel:DWORD dst_unused:UNUSED_PAD src0_sel:WORD_1 src1_sel:DWORD
	v_cmp_eq_u16_e64 s[34:35], 0, v5
	v_cmp_lt_u64_e64 s[6:7], v[52:53], v[30:31]
	s_and_b64 s[6:7], s[34:35], s[6:7]
	v_cndmask_b32_e64 v97, v31, v53, s[6:7]
	v_cndmask_b32_e64 v96, v30, v52, s[6:7]
	v_cmp_eq_u16_sdwa s[28:29], v129, v4 src0_sel:BYTE_3 src1_sel:DWORD
	v_cmp_lt_u64_e64 s[6:7], v[96:97], v[50:51]
	s_and_b64 s[6:7], s[28:29], s[6:7]
	v_cndmask_b32_e64 v57, v51, v97, s[6:7]
	v_cndmask_b32_e64 v56, v50, v96, s[6:7]
	v_cmp_eq_u16_sdwa s[24:25], v126, v4 src0_sel:BYTE_0 src1_sel:DWORD
	v_cmp_lt_u64_e64 s[6:7], v[56:57], v[38:39]
	s_and_b64 s[6:7], s[24:25], s[6:7]
	v_cndmask_b32_e64 v101, v39, v57, s[6:7]
	v_cndmask_b32_e64 v100, v38, v56, s[6:7]
	v_cmp_eq_u16_sdwa s[26:27], v128, v4 src0_sel:BYTE_0 src1_sel:DWORD
	v_cmp_lt_u64_e64 s[6:7], v[100:101], v[58:59]
	s_and_b64 s[6:7], s[26:27], s[6:7]
	v_cndmask_b32_e64 v61, v59, v101, s[6:7]
	v_cndmask_b32_e64 v60, v58, v100, s[6:7]
	v_cmp_eq_u16_sdwa s[20:21], v132, v4 src0_sel:BYTE_0 src1_sel:DWORD
	v_cmp_lt_u64_e64 s[6:7], v[60:61], v[46:47]
	s_and_b64 s[6:7], s[20:21], s[6:7]
	v_cndmask_b32_e64 v105, v47, v61, s[6:7]
	v_cndmask_b32_e64 v104, v46, v60, s[6:7]
	v_and_b32_sdwa v5, v128, s8 dst_sel:DWORD dst_unused:UNUSED_PAD src0_sel:WORD_1 src1_sel:DWORD
	v_cmp_eq_u16_e64 s[22:23], 0, v5
	v_cmp_lt_u64_e64 s[6:7], v[104:105], v[66:67]
	s_and_b64 s[6:7], s[22:23], s[6:7]
	v_cndmask_b32_e64 v65, v67, v105, s[6:7]
	v_cndmask_b32_e64 v64, v66, v104, s[6:7]
	v_cmp_eq_u16_sdwa s[18:19], v128, v4 src0_sel:BYTE_3 src1_sel:DWORD
	v_cmp_lt_u64_e64 s[6:7], v[64:65], v[54:55]
	s_and_b64 s[6:7], s[18:19], s[6:7]
	v_cndmask_b32_e64 v109, v55, v65, s[6:7]
	v_cndmask_b32_e64 v108, v54, v64, s[6:7]
	v_cmp_eq_u16_sdwa s[14:15], v124, v4 src0_sel:BYTE_0 src1_sel:DWORD
	v_cmp_lt_u64_e64 s[6:7], v[108:109], v[74:75]
	s_and_b64 s[6:7], s[14:15], s[6:7]
	v_cndmask_b32_e64 v69, v75, v109, s[6:7]
	v_cndmask_b32_e64 v68, v74, v108, s[6:7]
	v_cmp_eq_u16_sdwa s[16:17], v127, v4 src0_sel:BYTE_0 src1_sel:DWORD
	v_cmp_lt_u64_e64 s[6:7], v[68:69], v[62:63]
	s_and_b64 s[6:7], s[16:17], s[6:7]
	v_cndmask_b32_e64 v113, v63, v69, s[6:7]
	v_cndmask_b32_e64 v112, v62, v68, s[6:7]
	v_cmp_eq_u16_sdwa s[10:11], v131, v4 src0_sel:BYTE_0 src1_sel:DWORD
	v_cmp_lt_u64_e64 s[6:7], v[112:113], v[78:79]
	s_and_b64 s[6:7], s[10:11], s[6:7]
	v_cndmask_b32_e64 v73, v79, v113, s[6:7]
	v_cndmask_b32_e64 v72, v78, v112, s[6:7]
	v_and_b32_sdwa v5, v127, s8 dst_sel:DWORD dst_unused:UNUSED_PAD src0_sel:WORD_1 src1_sel:DWORD
	v_cmp_eq_u16_e64 s[12:13], 0, v5
	v_cmp_lt_u64_e64 s[6:7], v[72:73], v[70:71]
	s_and_b64 s[6:7], s[12:13], s[6:7]
	v_cndmask_b32_e64 v117, v71, v73, s[6:7]
	v_cndmask_b32_e64 v116, v70, v72, s[6:7]
	v_cmp_eq_u16_sdwa s[8:9], v127, v4 src0_sel:BYTE_3 src1_sel:DWORD
	v_cmp_lt_u64_e64 s[6:7], v[116:117], v[10:11]
	s_and_b64 s[6:7], s[8:9], s[6:7]
	v_cndmask_b32_e64 v77, v11, v117, s[6:7]
	v_cndmask_b32_e64 v76, v10, v116, s[6:7]
	v_cmp_eq_u16_sdwa s[6:7], v36, v4 src0_sel:BYTE_0 src1_sel:DWORD
	v_or_b32_e32 v4, v127, v128
	v_or3_b32 v4, v4, v129, v130
	v_lshrrev_b16_e32 v8, 7, v4
	v_and_b32_e32 v5, 1, v4
	v_and_b32_e32 v8, 2, v8
	v_or_b32_e32 v5, v5, v8
	v_lshrrev_b32_e32 v8, 23, v4
	v_mov_b32_e32 v9, 1
	v_and_b32_e32 v8, 2, v8
	v_and_b32_sdwa v4, v4, v9 dst_sel:DWORD dst_unused:UNUSED_PAD src0_sel:WORD_1 src1_sel:DWORD
	v_or_b32_e32 v4, v4, v8
	v_cmp_lt_u64_e64 s[56:57], v[76:77], v[20:21]
	v_lshlrev_b16_e32 v4, 2, v4
	s_and_b64 s[56:57], s[6:7], s[56:57]
	v_or_b32_e32 v4, v5, v4
	v_cndmask_b32_e64 v121, v21, v77, s[56:57]
	v_cndmask_b32_e64 v120, v20, v76, s[56:57]
	v_cmp_eq_u32_e64 s[56:57], 1, v40
	v_cmp_ne_u16_e64 s[58:59], 0, v4
	v_cmp_eq_u32_e64 s[54:55], 1, v41
	s_or_b64 s[56:57], s[58:59], s[56:57]
	v_cmp_eq_u32_e64 s[52:53], 1, v133
	s_or_b64 s[54:55], s[56:57], s[54:55]
	;; [unrolled: 2-line block ×3, first 2 shown]
	s_or_b64 s[50:51], s[52:53], s[50:51]
	s_or_b64 s[48:49], s[50:51], s[48:49]
	v_mbcnt_hi_u32_b32 v16, -1, v37
	v_and_b32_e32 v25, 15, v16
	v_cndmask_b32_e64 v24, 0, 1, s[48:49]
	v_cndmask_b32_e64 v17, 0, 1, s[48:49]
	v_mov_b32_dpp v12, v120 row_shr:1 row_mask:0xf bank_mask:0xf
	v_mov_b32_dpp v13, v121 row_shr:1 row_mask:0xf bank_mask:0xf
	;; [unrolled: 1-line block ×3, first 2 shown]
	v_cmp_ne_u32_e64 s[50:51], 0, v25
	v_mov_b32_e32 v4, v120
	v_mov_b32_e32 v5, v121
	v_pk_mov_b32 v[8:9], v[120:121], v[120:121] op_sel:[0,1]
	s_and_saveexec_b64 s[52:53], s[50:51]
; %bb.197:
	v_and_b32_e32 v4, 1, v28
	v_cmp_lt_u64_e64 s[50:51], v[12:13], v[120:121]
	v_or_b32_e32 v17, v4, v17
	v_cndmask_b32_e64 v4, v120, v12, s[50:51]
	v_cndmask_b32_e64 v5, v121, v13, s[50:51]
	;; [unrolled: 1-line block ×4, first 2 shown]
	v_and_b32_e32 v24, 0xffff, v17
	v_pk_mov_b32 v[8:9], v[4:5], v[4:5] op_sel:[0,1]
; %bb.198:
	s_or_b64 exec, exec, s[52:53]
	v_mov_b32_dpp v12, v4 row_shr:2 row_mask:0xf bank_mask:0xf
	v_mov_b32_dpp v13, v5 row_shr:2 row_mask:0xf bank_mask:0xf
	v_mov_b32_dpp v28, v24 row_shr:2 row_mask:0xf bank_mask:0xf
	v_cmp_lt_u32_e64 s[48:49], 1, v25
	s_and_saveexec_b64 s[52:53], s[48:49]
	s_cbranch_execz .LBB72_200
; %bb.199:
	v_and_b32_e32 v4, 1, v17
	v_cmp_eq_u32_e64 s[48:49], 1, v4
	v_and_b32_e32 v4, 1, v28
	v_cmp_eq_u32_e64 s[50:51], 1, v4
	s_or_b64 s[54:55], s[48:49], s[50:51]
	v_cmp_eq_u16_e64 s[48:49], 0, v17
	v_cmp_lt_u64_e64 s[50:51], v[12:13], v[8:9]
	s_and_b64 s[48:49], s[48:49], s[50:51]
	v_cndmask_b32_e64 v28, 0, 1, s[54:55]
	v_cndmask_b32_e64 v5, v9, v13, s[48:49]
	v_cndmask_b32_e64 v4, v8, v12, s[48:49]
	v_cndmask_b32_e64 v24, 0, 1, s[54:55]
	v_mov_b32_e32 v17, v28
	v_pk_mov_b32 v[8:9], v[4:5], v[4:5] op_sel:[0,1]
.LBB72_200:
	s_or_b64 exec, exec, s[52:53]
	v_mov_b32_dpp v12, v4 row_shr:4 row_mask:0xf bank_mask:0xf
	v_mov_b32_dpp v13, v5 row_shr:4 row_mask:0xf bank_mask:0xf
	v_mov_b32_dpp v28, v24 row_shr:4 row_mask:0xf bank_mask:0xf
	v_cmp_lt_u32_e64 s[48:49], 3, v25
	s_and_saveexec_b64 s[52:53], s[48:49]
	s_cbranch_execz .LBB72_202
; %bb.201:
	v_and_b32_e32 v4, 1, v17
	v_cmp_eq_u32_e64 s[48:49], 1, v4
	v_and_b32_e32 v4, 1, v28
	v_cmp_eq_u32_e64 s[50:51], 1, v4
	s_or_b64 s[54:55], s[48:49], s[50:51]
	v_cmp_eq_u16_e64 s[48:49], 0, v17
	v_cmp_lt_u64_e64 s[50:51], v[12:13], v[8:9]
	s_and_b64 s[48:49], s[48:49], s[50:51]
	v_cndmask_b32_e64 v28, 0, 1, s[54:55]
	v_cndmask_b32_e64 v5, v9, v13, s[48:49]
	v_cndmask_b32_e64 v4, v8, v12, s[48:49]
	v_cndmask_b32_e64 v24, 0, 1, s[54:55]
	v_mov_b32_e32 v17, v28
	v_pk_mov_b32 v[8:9], v[4:5], v[4:5] op_sel:[0,1]
.LBB72_202:
	;; [unrolled: 23-line block ×3, first 2 shown]
	s_or_b64 exec, exec, s[52:53]
	v_and_b32_e32 v28, 16, v16
	v_mov_b32_dpp v12, v4 row_bcast:15 row_mask:0xf bank_mask:0xf
	v_mov_b32_dpp v13, v5 row_bcast:15 row_mask:0xf bank_mask:0xf
	;; [unrolled: 1-line block ×3, first 2 shown]
	v_cmp_ne_u32_e64 s[48:49], 0, v28
	s_and_saveexec_b64 s[52:53], s[48:49]
	s_cbranch_execz .LBB72_206
; %bb.205:
	v_and_b32_e32 v4, 1, v17
	v_cmp_eq_u32_e64 s[48:49], 1, v4
	v_and_b32_e32 v4, 1, v25
	v_cmp_eq_u32_e64 s[50:51], 1, v4
	s_or_b64 s[54:55], s[48:49], s[50:51]
	v_cmp_eq_u16_e64 s[48:49], 0, v17
	v_cmp_lt_u64_e64 s[50:51], v[12:13], v[8:9]
	s_and_b64 s[48:49], s[48:49], s[50:51]
	v_cndmask_b32_e64 v25, 0, 1, s[54:55]
	v_cndmask_b32_e64 v5, v9, v13, s[48:49]
	;; [unrolled: 1-line block ×4, first 2 shown]
	v_mov_b32_e32 v17, v25
	v_pk_mov_b32 v[8:9], v[4:5], v[4:5] op_sel:[0,1]
.LBB72_206:
	s_or_b64 exec, exec, s[52:53]
	v_mov_b32_dpp v12, v4 row_bcast:31 row_mask:0xf bank_mask:0xf
	v_mov_b32_dpp v13, v5 row_bcast:31 row_mask:0xf bank_mask:0xf
	;; [unrolled: 1-line block ×3, first 2 shown]
	v_cmp_lt_u32_e64 s[48:49], 31, v16
	s_and_saveexec_b64 s[52:53], s[48:49]
	s_cbranch_execz .LBB72_208
; %bb.207:
	v_and_b32_e32 v4, 1, v17
	v_cmp_eq_u32_e64 s[48:49], 1, v4
	v_and_b32_e32 v4, 1, v24
	v_cmp_eq_u32_e64 s[50:51], 1, v4
	s_or_b64 s[48:49], s[48:49], s[50:51]
	v_cndmask_b32_e64 v24, 0, 1, s[48:49]
	v_cmp_eq_u16_e64 s[48:49], 0, v17
	v_cmp_lt_u64_e64 s[50:51], v[12:13], v[8:9]
	s_and_b64 s[48:49], s[48:49], s[50:51]
	v_cndmask_b32_e64 v5, v9, v13, s[48:49]
	v_cndmask_b32_e64 v4, v8, v12, s[48:49]
	v_mov_b32_e32 v17, v24
	v_pk_mov_b32 v[8:9], v[4:5], v[4:5] op_sel:[0,1]
.LBB72_208:
	s_or_b64 exec, exec, s[52:53]
	v_cmp_eq_u32_e64 s[48:49], 63, v0
	s_and_saveexec_b64 s[50:51], s[48:49]
	s_cbranch_execz .LBB72_210
; %bb.209:
	v_mov_b32_e32 v12, 0
	ds_write_b64 v12, v[8:9]
	ds_write_b8 v12, v17 offset:8
.LBB72_210:
	s_or_b64 exec, exec, s[50:51]
	v_add_u32_e32 v8, -1, v16
	v_and_b32_e32 v9, 64, v16
	v_cmp_lt_i32_e64 s[48:49], v8, v9
	v_cndmask_b32_e64 v8, v8, v16, s[48:49]
	v_lshlrev_b32_e32 v8, 2, v8
	ds_bpermute_b32 v4, v8, v4
	ds_bpermute_b32 v5, v8, v5
	s_waitcnt lgkmcnt(0)
	; wave barrier
	s_waitcnt lgkmcnt(0)
	s_and_saveexec_b64 s[50:51], s[2:3]
	s_cbranch_execz .LBB72_212
; %bb.211:
	v_mov_b32_e32 v8, 0
	v_cmp_lt_u64_e64 s[2:3], v[4:5], v[2:3]
	v_cmp_eq_u16_sdwa s[48:49], v1, v8 src0_sel:BYTE_0 src1_sel:DWORD
	v_cndmask_b32_e64 v5, v3, v5, s[2:3]
	s_and_b64 s[2:3], s[48:49], s[2:3]
	v_cndmask_b32_e64 v3, v3, v5, s[48:49]
	v_cndmask_b32_e64 v2, v2, v4, s[2:3]
	v_cmp_lt_u64_e64 s[2:3], v[2:3], v[18:19]
	v_cndmask_b32_e64 v1, v19, v3, s[2:3]
	s_and_b64 s[2:3], s[46:47], s[2:3]
	v_cndmask_b32_e64 v83, v19, v1, s[46:47]
	v_cndmask_b32_e64 v82, v18, v2, s[2:3]
	v_cmp_lt_u64_e64 s[2:3], v[82:83], v[6:7]
	;; [unrolled: 5-line block ×20, first 2 shown]
	v_cndmask_b32_e64 v1, v21, v77, s[2:3]
	s_and_b64 s[2:3], s[6:7], s[2:3]
	v_cndmask_b32_e64 v121, v21, v1, s[6:7]
	v_cndmask_b32_e64 v120, v20, v76, s[2:3]
.LBB72_212:
	s_or_b64 exec, exec, s[50:51]
	s_and_saveexec_b64 s[2:3], vcc
	s_cbranch_execz .LBB72_214
; %bb.213:
	v_mov_b32_e32 v1, 0
	ds_read_b64 v[4:5], v1
	ds_read_u8 v6, v1 offset:8
	v_mov_b32_e32 v7, 2
	s_waitcnt lgkmcnt(1)
	global_store_dwordx2 v1, v[4:5], s[74:75] offset:1024
	s_waitcnt lgkmcnt(0)
	global_store_byte v1, v6, s[74:75] offset:1032
	s_waitcnt vmcnt(0)
	buffer_wbinvl1_vol
	global_store_byte v1, v7, s[76:77] offset:64
.LBB72_214:
	s_or_b64 exec, exec, s[2:3]
	v_pk_mov_b32 v[122:123], v[2:3], v[2:3] op_sel:[0,1]
.LBB72_215:
	s_load_dwordx2 s[2:3], s[4:5], 0x18
	v_lshlrev_b32_e32 v46, 3, v0
	s_waitcnt lgkmcnt(0)
	s_add_u32 s2, s2, s90
	s_addc_u32 s3, s3, s91
	s_and_b64 vcc, exec, s[0:1]
	s_cbranch_vccz .LBB72_257
; %bb.216:
	s_movk_i32 s0, 0xa8
	v_mul_i32_i24_e32 v50, 0xffffff60, v0
	v_mul_u32_u24_e32 v47, 0xa8, v0
	v_mad_u32_u24 v2, v0, s0, v50
	s_waitcnt lgkmcnt(0)
	; wave barrier
	ds_write2_b64 v47, v[122:123], v[82:83] offset1:1
	ds_write2_b64 v47, v[84:85], v[44:45] offset0:2 offset1:3
	ds_write2_b64 v47, v[88:89], v[48:49] offset0:4 offset1:5
	;; [unrolled: 1-line block ×9, first 2 shown]
	ds_write_b64 v47, v[120:121] offset:160
	s_waitcnt lgkmcnt(0)
	; wave barrier
	s_waitcnt lgkmcnt(0)
	ds_read2st64_b64 v[38:41], v2 offset0:1 offset1:2
	ds_read2st64_b64 v[34:37], v2 offset0:3 offset1:4
	ds_read2st64_b64 v[30:33], v2 offset0:5 offset1:6
	ds_read2st64_b64 v[26:29], v2 offset0:7 offset1:8
	ds_read2st64_b64 v[22:25], v2 offset0:9 offset1:10
	ds_read2st64_b64 v[18:21], v2 offset0:11 offset1:12
	ds_read2st64_b64 v[14:17], v2 offset0:13 offset1:14
	ds_read2st64_b64 v[10:13], v2 offset0:15 offset1:16
	ds_read2st64_b64 v[6:9], v2 offset0:17 offset1:18
	ds_read2st64_b64 v[2:5], v2 offset0:19 offset1:20
	v_mov_b32_e32 v43, s3
	v_add_co_u32_e32 v42, vcc, s2, v46
	s_add_i32 s33, s33, s78
	v_addc_co_u32_e32 v43, vcc, 0, v43, vcc
	v_mov_b32_e32 v1, 0
	v_cmp_gt_u32_e32 vcc, s33, v0
	s_and_saveexec_b64 s[0:1], vcc
	s_cbranch_execz .LBB72_218
; %bb.217:
	v_add_u32_e32 v47, v47, v50
	ds_read_b64 v[50:51], v47
	s_waitcnt lgkmcnt(0)
	global_store_dwordx2 v[42:43], v[50:51], off
.LBB72_218:
	s_or_b64 exec, exec, s[0:1]
	v_or_b32_e32 v47, 64, v0
	v_cmp_gt_u32_e32 vcc, s33, v47
	s_and_saveexec_b64 s[0:1], vcc
	s_cbranch_execz .LBB72_220
; %bb.219:
	s_waitcnt lgkmcnt(9)
	global_store_dwordx2 v[42:43], v[38:39], off offset:512
.LBB72_220:
	s_or_b64 exec, exec, s[0:1]
	s_waitcnt lgkmcnt(9)
	v_or_b32_e32 v38, 0x80, v0
	v_cmp_gt_u32_e32 vcc, s33, v38
	s_and_saveexec_b64 s[0:1], vcc
	s_cbranch_execz .LBB72_222
; %bb.221:
	global_store_dwordx2 v[42:43], v[40:41], off offset:1024
.LBB72_222:
	s_or_b64 exec, exec, s[0:1]
	v_or_b32_e32 v38, 0xc0, v0
	v_cmp_gt_u32_e32 vcc, s33, v38
	s_and_saveexec_b64 s[0:1], vcc
	s_cbranch_execz .LBB72_224
; %bb.223:
	s_waitcnt lgkmcnt(8)
	global_store_dwordx2 v[42:43], v[34:35], off offset:1536
.LBB72_224:
	s_or_b64 exec, exec, s[0:1]
	s_waitcnt lgkmcnt(8)
	v_or_b32_e32 v34, 0x100, v0
	v_cmp_gt_u32_e32 vcc, s33, v34
	s_and_saveexec_b64 s[0:1], vcc
	s_cbranch_execz .LBB72_226
; %bb.225:
	global_store_dwordx2 v[42:43], v[36:37], off offset:2048
.LBB72_226:
	;; [unrolled: 18-line block ×3, first 2 shown]
	s_or_b64 exec, exec, s[0:1]
	v_or_b32_e32 v30, 0x1c0, v0
	v_cmp_gt_u32_e32 vcc, s33, v30
	s_and_saveexec_b64 s[0:1], vcc
	s_cbranch_execz .LBB72_232
; %bb.231:
	s_waitcnt lgkmcnt(6)
	global_store_dwordx2 v[42:43], v[26:27], off offset:3584
.LBB72_232:
	s_or_b64 exec, exec, s[0:1]
	s_waitcnt lgkmcnt(6)
	v_or_b32_e32 v26, 0x200, v0
	v_cmp_gt_u32_e32 vcc, s33, v26
	s_and_saveexec_b64 s[0:1], vcc
	s_cbranch_execz .LBB72_234
; %bb.233:
	v_add_co_u32_e32 v26, vcc, 0x1000, v42
	v_addc_co_u32_e32 v27, vcc, 0, v43, vcc
	global_store_dwordx2 v[26:27], v[28:29], off
.LBB72_234:
	s_or_b64 exec, exec, s[0:1]
	v_or_b32_e32 v26, 0x240, v0
	v_cmp_gt_u32_e32 vcc, s33, v26
	s_and_saveexec_b64 s[0:1], vcc
	s_cbranch_execz .LBB72_236
; %bb.235:
	v_add_co_u32_e32 v26, vcc, 0x1000, v42
	v_addc_co_u32_e32 v27, vcc, 0, v43, vcc
	s_waitcnt lgkmcnt(5)
	global_store_dwordx2 v[26:27], v[22:23], off offset:512
.LBB72_236:
	s_or_b64 exec, exec, s[0:1]
	s_waitcnt lgkmcnt(5)
	v_or_b32_e32 v22, 0x280, v0
	v_cmp_gt_u32_e32 vcc, s33, v22
	s_and_saveexec_b64 s[0:1], vcc
	s_cbranch_execz .LBB72_238
; %bb.237:
	v_add_co_u32_e32 v22, vcc, 0x1000, v42
	v_addc_co_u32_e32 v23, vcc, 0, v43, vcc
	global_store_dwordx2 v[22:23], v[24:25], off offset:1024
.LBB72_238:
	s_or_b64 exec, exec, s[0:1]
	v_or_b32_e32 v22, 0x2c0, v0
	v_cmp_gt_u32_e32 vcc, s33, v22
	s_and_saveexec_b64 s[0:1], vcc
	s_cbranch_execz .LBB72_240
; %bb.239:
	v_add_co_u32_e32 v22, vcc, 0x1000, v42
	v_addc_co_u32_e32 v23, vcc, 0, v43, vcc
	s_waitcnt lgkmcnt(4)
	global_store_dwordx2 v[22:23], v[18:19], off offset:1536
.LBB72_240:
	s_or_b64 exec, exec, s[0:1]
	s_waitcnt lgkmcnt(4)
	v_or_b32_e32 v18, 0x300, v0
	v_cmp_gt_u32_e32 vcc, s33, v18
	s_and_saveexec_b64 s[0:1], vcc
	s_cbranch_execz .LBB72_242
; %bb.241:
	v_add_co_u32_e32 v18, vcc, 0x1000, v42
	v_addc_co_u32_e32 v19, vcc, 0, v43, vcc
	global_store_dwordx2 v[18:19], v[20:21], off offset:2048
.LBB72_242:
	;; [unrolled: 22-line block ×3, first 2 shown]
	s_or_b64 exec, exec, s[0:1]
	v_or_b32_e32 v14, 0x3c0, v0
	v_cmp_gt_u32_e32 vcc, s33, v14
	s_and_saveexec_b64 s[0:1], vcc
	s_cbranch_execz .LBB72_248
; %bb.247:
	v_add_co_u32_e32 v14, vcc, 0x1000, v42
	v_addc_co_u32_e32 v15, vcc, 0, v43, vcc
	s_waitcnt lgkmcnt(2)
	global_store_dwordx2 v[14:15], v[10:11], off offset:3584
.LBB72_248:
	s_or_b64 exec, exec, s[0:1]
	s_waitcnt lgkmcnt(2)
	v_or_b32_e32 v10, 0x400, v0
	v_cmp_gt_u32_e32 vcc, s33, v10
	s_and_saveexec_b64 s[0:1], vcc
	s_cbranch_execz .LBB72_250
; %bb.249:
	v_add_co_u32_e32 v10, vcc, 0x2000, v42
	v_addc_co_u32_e32 v11, vcc, 0, v43, vcc
	global_store_dwordx2 v[10:11], v[12:13], off
.LBB72_250:
	s_or_b64 exec, exec, s[0:1]
	v_or_b32_e32 v10, 0x440, v0
	v_cmp_gt_u32_e32 vcc, s33, v10
	s_and_saveexec_b64 s[0:1], vcc
	s_cbranch_execz .LBB72_252
; %bb.251:
	v_add_co_u32_e32 v10, vcc, 0x2000, v42
	v_addc_co_u32_e32 v11, vcc, 0, v43, vcc
	s_waitcnt lgkmcnt(1)
	global_store_dwordx2 v[10:11], v[6:7], off offset:512
.LBB72_252:
	s_or_b64 exec, exec, s[0:1]
	s_waitcnt lgkmcnt(1)
	v_or_b32_e32 v6, 0x480, v0
	v_cmp_gt_u32_e32 vcc, s33, v6
	s_and_saveexec_b64 s[0:1], vcc
	s_cbranch_execz .LBB72_254
; %bb.253:
	v_add_co_u32_e32 v6, vcc, 0x2000, v42
	v_addc_co_u32_e32 v7, vcc, 0, v43, vcc
	global_store_dwordx2 v[6:7], v[8:9], off offset:1024
.LBB72_254:
	s_or_b64 exec, exec, s[0:1]
	v_or_b32_e32 v6, 0x4c0, v0
	v_cmp_gt_u32_e32 vcc, s33, v6
	s_and_saveexec_b64 s[0:1], vcc
	s_cbranch_execz .LBB72_256
; %bb.255:
	v_add_co_u32_e32 v6, vcc, 0x2000, v42
	v_addc_co_u32_e32 v7, vcc, 0, v43, vcc
	s_waitcnt lgkmcnt(0)
	global_store_dwordx2 v[6:7], v[2:3], off offset:1536
.LBB72_256:
	s_or_b64 exec, exec, s[0:1]
	s_waitcnt lgkmcnt(0)
	v_or_b32_e32 v2, 0x500, v0
	v_cmp_gt_u32_e64 s[0:1], s33, v2
	s_branch .LBB72_259
.LBB72_257:
	s_mov_b64 s[0:1], 0
                                        ; implicit-def: $vgpr4_vgpr5
	s_cbranch_execz .LBB72_259
; %bb.258:
	s_movk_i32 s4, 0xa8
	v_mul_i32_i24_e32 v2, 0xffffff60, v0
	v_mul_u32_u24_e32 v1, 0xa8, v0
	v_mad_u32_u24 v2, v0, s4, v2
	s_waitcnt lgkmcnt(0)
	; wave barrier
	ds_write2_b64 v1, v[122:123], v[82:83] offset1:1
	ds_write2_b64 v1, v[84:85], v[44:45] offset0:2 offset1:3
	ds_write2_b64 v1, v[88:89], v[48:49] offset0:4 offset1:5
	;; [unrolled: 1-line block ×9, first 2 shown]
	ds_write_b64 v1, v[120:121] offset:160
	s_waitcnt lgkmcnt(0)
	; wave barrier
	s_waitcnt lgkmcnt(0)
	ds_read2st64_b64 v[6:9], v2 offset1:1
	ds_read2st64_b64 v[10:13], v2 offset0:2 offset1:3
	ds_read2st64_b64 v[14:17], v2 offset0:4 offset1:5
	;; [unrolled: 1-line block ×9, first 2 shown]
	ds_read_b64 v[4:5], v2 offset:10240
	v_mov_b32_e32 v2, s3
	v_add_co_u32_e32 v47, vcc, s2, v46
	v_addc_co_u32_e32 v48, vcc, 0, v2, vcc
	s_movk_i32 s4, 0x1000
	v_add_co_u32_e32 v2, vcc, s4, v47
	v_addc_co_u32_e32 v3, vcc, 0, v48, vcc
	s_waitcnt lgkmcnt(10)
	global_store_dwordx2 v46, v[6:7], s[2:3]
	global_store_dwordx2 v46, v[8:9], s[2:3] offset:512
	s_waitcnt lgkmcnt(9)
	global_store_dwordx2 v46, v[10:11], s[2:3] offset:1024
	global_store_dwordx2 v46, v[12:13], s[2:3] offset:1536
	s_waitcnt lgkmcnt(8)
	global_store_dwordx2 v46, v[14:15], s[2:3] offset:2048
	;; [unrolled: 3-line block ×3, first 2 shown]
	global_store_dwordx2 v46, v[20:21], s[2:3] offset:3584
	s_waitcnt lgkmcnt(6)
	global_store_dwordx2 v[2:3], v[22:23], off
	global_store_dwordx2 v[2:3], v[24:25], off offset:512
	s_waitcnt lgkmcnt(5)
	global_store_dwordx2 v[2:3], v[26:27], off offset:1024
	global_store_dwordx2 v[2:3], v[28:29], off offset:1536
	s_waitcnt lgkmcnt(4)
	global_store_dwordx2 v[2:3], v[30:31], off offset:2048
	;; [unrolled: 3-line block ×3, first 2 shown]
	global_store_dwordx2 v[2:3], v[36:37], off offset:3584
	v_add_co_u32_e32 v2, vcc, 0x2000, v47
	v_mov_b32_e32 v1, 0
	v_addc_co_u32_e32 v3, vcc, 0, v48, vcc
	s_or_b64 s[0:1], s[0:1], exec
	s_waitcnt lgkmcnt(2)
	global_store_dwordx2 v[2:3], v[38:39], off
	global_store_dwordx2 v[2:3], v[40:41], off offset:512
	s_waitcnt lgkmcnt(1)
	global_store_dwordx2 v[2:3], v[42:43], off offset:1024
	global_store_dwordx2 v[2:3], v[44:45], off offset:1536
.LBB72_259:
	s_and_saveexec_b64 s[4:5], s[0:1]
	s_cbranch_execz .LBB72_261
; %bb.260:
	v_lshlrev_b64 v[0:1], 3, v[0:1]
	v_mov_b32_e32 v2, s3
	v_add_co_u32_e32 v0, vcc, s2, v0
	v_addc_co_u32_e32 v1, vcc, v2, v1, vcc
	v_add_co_u32_e32 v0, vcc, 0x2000, v0
	v_addc_co_u32_e32 v1, vcc, 0, v1, vcc
	s_waitcnt lgkmcnt(0)
	global_store_dwordx2 v[0:1], v[4:5], off offset:2048
	s_endpgm
.LBB72_261:
	s_endpgm
	.section	.rodata,"a",@progbits
	.p2align	6, 0x0
	.amdhsa_kernel _ZN7rocprim6detail25device_scan_by_key_kernelILNS0_25lookback_scan_determinismE0ELb0ENS0_26wrapped_scan_by_key_configINS_14default_configEiyEEPiN6hipcub22TransformInputIteratorIyNS7_6CastOpIyEEPylEESB_yNS7_8EqualityENS7_3MinENS0_19lookback_scan_stateINS_5tupleIJybEEELb0ELb0EEEyEEvT2_T3_T4_T5_T6_T7_T8_mmmPKNSG_IJT9_bEEE
		.amdhsa_group_segment_fixed_size 10752
		.amdhsa_private_segment_fixed_size 0
		.amdhsa_kernarg_size 104
		.amdhsa_user_sgpr_count 6
		.amdhsa_user_sgpr_private_segment_buffer 1
		.amdhsa_user_sgpr_dispatch_ptr 0
		.amdhsa_user_sgpr_queue_ptr 0
		.amdhsa_user_sgpr_kernarg_segment_ptr 1
		.amdhsa_user_sgpr_dispatch_id 0
		.amdhsa_user_sgpr_flat_scratch_init 0
		.amdhsa_user_sgpr_kernarg_preload_length 0
		.amdhsa_user_sgpr_kernarg_preload_offset 0
		.amdhsa_user_sgpr_private_segment_size 0
		.amdhsa_uses_dynamic_stack 0
		.amdhsa_system_sgpr_private_segment_wavefront_offset 0
		.amdhsa_system_sgpr_workgroup_id_x 1
		.amdhsa_system_sgpr_workgroup_id_y 0
		.amdhsa_system_sgpr_workgroup_id_z 0
		.amdhsa_system_sgpr_workgroup_info 0
		.amdhsa_system_vgpr_workitem_id 0
		.amdhsa_next_free_vgpr 137
		.amdhsa_next_free_sgpr 94
		.amdhsa_accum_offset 140
		.amdhsa_reserve_vcc 1
		.amdhsa_reserve_flat_scratch 0
		.amdhsa_float_round_mode_32 0
		.amdhsa_float_round_mode_16_64 0
		.amdhsa_float_denorm_mode_32 3
		.amdhsa_float_denorm_mode_16_64 3
		.amdhsa_dx10_clamp 1
		.amdhsa_ieee_mode 1
		.amdhsa_fp16_overflow 0
		.amdhsa_tg_split 0
		.amdhsa_exception_fp_ieee_invalid_op 0
		.amdhsa_exception_fp_denorm_src 0
		.amdhsa_exception_fp_ieee_div_zero 0
		.amdhsa_exception_fp_ieee_overflow 0
		.amdhsa_exception_fp_ieee_underflow 0
		.amdhsa_exception_fp_ieee_inexact 0
		.amdhsa_exception_int_div_zero 0
	.end_amdhsa_kernel
	.section	.text._ZN7rocprim6detail25device_scan_by_key_kernelILNS0_25lookback_scan_determinismE0ELb0ENS0_26wrapped_scan_by_key_configINS_14default_configEiyEEPiN6hipcub22TransformInputIteratorIyNS7_6CastOpIyEEPylEESB_yNS7_8EqualityENS7_3MinENS0_19lookback_scan_stateINS_5tupleIJybEEELb0ELb0EEEyEEvT2_T3_T4_T5_T6_T7_T8_mmmPKNSG_IJT9_bEEE,"axG",@progbits,_ZN7rocprim6detail25device_scan_by_key_kernelILNS0_25lookback_scan_determinismE0ELb0ENS0_26wrapped_scan_by_key_configINS_14default_configEiyEEPiN6hipcub22TransformInputIteratorIyNS7_6CastOpIyEEPylEESB_yNS7_8EqualityENS7_3MinENS0_19lookback_scan_stateINS_5tupleIJybEEELb0ELb0EEEyEEvT2_T3_T4_T5_T6_T7_T8_mmmPKNSG_IJT9_bEEE,comdat
.Lfunc_end72:
	.size	_ZN7rocprim6detail25device_scan_by_key_kernelILNS0_25lookback_scan_determinismE0ELb0ENS0_26wrapped_scan_by_key_configINS_14default_configEiyEEPiN6hipcub22TransformInputIteratorIyNS7_6CastOpIyEEPylEESB_yNS7_8EqualityENS7_3MinENS0_19lookback_scan_stateINS_5tupleIJybEEELb0ELb0EEEyEEvT2_T3_T4_T5_T6_T7_T8_mmmPKNSG_IJT9_bEEE, .Lfunc_end72-_ZN7rocprim6detail25device_scan_by_key_kernelILNS0_25lookback_scan_determinismE0ELb0ENS0_26wrapped_scan_by_key_configINS_14default_configEiyEEPiN6hipcub22TransformInputIteratorIyNS7_6CastOpIyEEPylEESB_yNS7_8EqualityENS7_3MinENS0_19lookback_scan_stateINS_5tupleIJybEEELb0ELb0EEEyEEvT2_T3_T4_T5_T6_T7_T8_mmmPKNSG_IJT9_bEEE
                                        ; -- End function
	.section	.AMDGPU.csdata,"",@progbits
; Kernel info:
; codeLenInByte = 16724
; NumSgprs: 98
; NumVgprs: 137
; NumAgprs: 0
; TotalNumVgprs: 137
; ScratchSize: 0
; MemoryBound: 0
; FloatMode: 240
; IeeeMode: 1
; LDSByteSize: 10752 bytes/workgroup (compile time only)
; SGPRBlocks: 12
; VGPRBlocks: 17
; NumSGPRsForWavesPerEU: 98
; NumVGPRsForWavesPerEU: 137
; AccumOffset: 140
; Occupancy: 2
; WaveLimiterHint : 1
; COMPUTE_PGM_RSRC2:SCRATCH_EN: 0
; COMPUTE_PGM_RSRC2:USER_SGPR: 6
; COMPUTE_PGM_RSRC2:TRAP_HANDLER: 0
; COMPUTE_PGM_RSRC2:TGID_X_EN: 1
; COMPUTE_PGM_RSRC2:TGID_Y_EN: 0
; COMPUTE_PGM_RSRC2:TGID_Z_EN: 0
; COMPUTE_PGM_RSRC2:TIDIG_COMP_CNT: 0
; COMPUTE_PGM_RSRC3_GFX90A:ACCUM_OFFSET: 34
; COMPUTE_PGM_RSRC3_GFX90A:TG_SPLIT: 0
	.section	.text._ZN7rocprim6detail20lookback_scan_kernelILNS0_25lookback_scan_determinismE0ELb1ENS0_19wrapped_scan_configINS_14default_configEiEEN6hipcub22TransformInputIteratorIiNS6_6CastOpIiEEPilEEPlNS6_3SumEiiNS0_19lookback_scan_stateIiLb1ELb1EEEEEvT2_T3_mT5_T4_T7_jPT6_SM_bb,"axG",@progbits,_ZN7rocprim6detail20lookback_scan_kernelILNS0_25lookback_scan_determinismE0ELb1ENS0_19wrapped_scan_configINS_14default_configEiEEN6hipcub22TransformInputIteratorIiNS6_6CastOpIiEEPilEEPlNS6_3SumEiiNS0_19lookback_scan_stateIiLb1ELb1EEEEEvT2_T3_mT5_T4_T7_jPT6_SM_bb,comdat
	.protected	_ZN7rocprim6detail20lookback_scan_kernelILNS0_25lookback_scan_determinismE0ELb1ENS0_19wrapped_scan_configINS_14default_configEiEEN6hipcub22TransformInputIteratorIiNS6_6CastOpIiEEPilEEPlNS6_3SumEiiNS0_19lookback_scan_stateIiLb1ELb1EEEEEvT2_T3_mT5_T4_T7_jPT6_SM_bb ; -- Begin function _ZN7rocprim6detail20lookback_scan_kernelILNS0_25lookback_scan_determinismE0ELb1ENS0_19wrapped_scan_configINS_14default_configEiEEN6hipcub22TransformInputIteratorIiNS6_6CastOpIiEEPilEEPlNS6_3SumEiiNS0_19lookback_scan_stateIiLb1ELb1EEEEEvT2_T3_mT5_T4_T7_jPT6_SM_bb
	.globl	_ZN7rocprim6detail20lookback_scan_kernelILNS0_25lookback_scan_determinismE0ELb1ENS0_19wrapped_scan_configINS_14default_configEiEEN6hipcub22TransformInputIteratorIiNS6_6CastOpIiEEPilEEPlNS6_3SumEiiNS0_19lookback_scan_stateIiLb1ELb1EEEEEvT2_T3_mT5_T4_T7_jPT6_SM_bb
	.p2align	8
	.type	_ZN7rocprim6detail20lookback_scan_kernelILNS0_25lookback_scan_determinismE0ELb1ENS0_19wrapped_scan_configINS_14default_configEiEEN6hipcub22TransformInputIteratorIiNS6_6CastOpIiEEPilEEPlNS6_3SumEiiNS0_19lookback_scan_stateIiLb1ELb1EEEEEvT2_T3_mT5_T4_T7_jPT6_SM_bb,@function
_ZN7rocprim6detail20lookback_scan_kernelILNS0_25lookback_scan_determinismE0ELb1ENS0_19wrapped_scan_configINS_14default_configEiEEN6hipcub22TransformInputIteratorIiNS6_6CastOpIiEEPilEEPlNS6_3SumEiiNS0_19lookback_scan_stateIiLb1ELb1EEEEEvT2_T3_mT5_T4_T7_jPT6_SM_bb: ; @_ZN7rocprim6detail20lookback_scan_kernelILNS0_25lookback_scan_determinismE0ELb1ENS0_19wrapped_scan_configINS_14default_configEiEEN6hipcub22TransformInputIteratorIiNS6_6CastOpIiEEPilEEPlNS6_3SumEiiNS0_19lookback_scan_stateIiLb1ELb1EEEEEvT2_T3_mT5_T4_T7_jPT6_SM_bb
; %bb.0:
	s_endpgm
	.section	.rodata,"a",@progbits
	.p2align	6, 0x0
	.amdhsa_kernel _ZN7rocprim6detail20lookback_scan_kernelILNS0_25lookback_scan_determinismE0ELb1ENS0_19wrapped_scan_configINS_14default_configEiEEN6hipcub22TransformInputIteratorIiNS6_6CastOpIiEEPilEEPlNS6_3SumEiiNS0_19lookback_scan_stateIiLb1ELb1EEEEEvT2_T3_mT5_T4_T7_jPT6_SM_bb
		.amdhsa_group_segment_fixed_size 0
		.amdhsa_private_segment_fixed_size 0
		.amdhsa_kernarg_size 76
		.amdhsa_user_sgpr_count 6
		.amdhsa_user_sgpr_private_segment_buffer 1
		.amdhsa_user_sgpr_dispatch_ptr 0
		.amdhsa_user_sgpr_queue_ptr 0
		.amdhsa_user_sgpr_kernarg_segment_ptr 1
		.amdhsa_user_sgpr_dispatch_id 0
		.amdhsa_user_sgpr_flat_scratch_init 0
		.amdhsa_user_sgpr_kernarg_preload_length 0
		.amdhsa_user_sgpr_kernarg_preload_offset 0
		.amdhsa_user_sgpr_private_segment_size 0
		.amdhsa_uses_dynamic_stack 0
		.amdhsa_system_sgpr_private_segment_wavefront_offset 0
		.amdhsa_system_sgpr_workgroup_id_x 1
		.amdhsa_system_sgpr_workgroup_id_y 0
		.amdhsa_system_sgpr_workgroup_id_z 0
		.amdhsa_system_sgpr_workgroup_info 0
		.amdhsa_system_vgpr_workitem_id 0
		.amdhsa_next_free_vgpr 1
		.amdhsa_next_free_sgpr 0
		.amdhsa_accum_offset 4
		.amdhsa_reserve_vcc 0
		.amdhsa_reserve_flat_scratch 0
		.amdhsa_float_round_mode_32 0
		.amdhsa_float_round_mode_16_64 0
		.amdhsa_float_denorm_mode_32 3
		.amdhsa_float_denorm_mode_16_64 3
		.amdhsa_dx10_clamp 1
		.amdhsa_ieee_mode 1
		.amdhsa_fp16_overflow 0
		.amdhsa_tg_split 0
		.amdhsa_exception_fp_ieee_invalid_op 0
		.amdhsa_exception_fp_denorm_src 0
		.amdhsa_exception_fp_ieee_div_zero 0
		.amdhsa_exception_fp_ieee_overflow 0
		.amdhsa_exception_fp_ieee_underflow 0
		.amdhsa_exception_fp_ieee_inexact 0
		.amdhsa_exception_int_div_zero 0
	.end_amdhsa_kernel
	.section	.text._ZN7rocprim6detail20lookback_scan_kernelILNS0_25lookback_scan_determinismE0ELb1ENS0_19wrapped_scan_configINS_14default_configEiEEN6hipcub22TransformInputIteratorIiNS6_6CastOpIiEEPilEEPlNS6_3SumEiiNS0_19lookback_scan_stateIiLb1ELb1EEEEEvT2_T3_mT5_T4_T7_jPT6_SM_bb,"axG",@progbits,_ZN7rocprim6detail20lookback_scan_kernelILNS0_25lookback_scan_determinismE0ELb1ENS0_19wrapped_scan_configINS_14default_configEiEEN6hipcub22TransformInputIteratorIiNS6_6CastOpIiEEPilEEPlNS6_3SumEiiNS0_19lookback_scan_stateIiLb1ELb1EEEEEvT2_T3_mT5_T4_T7_jPT6_SM_bb,comdat
.Lfunc_end73:
	.size	_ZN7rocprim6detail20lookback_scan_kernelILNS0_25lookback_scan_determinismE0ELb1ENS0_19wrapped_scan_configINS_14default_configEiEEN6hipcub22TransformInputIteratorIiNS6_6CastOpIiEEPilEEPlNS6_3SumEiiNS0_19lookback_scan_stateIiLb1ELb1EEEEEvT2_T3_mT5_T4_T7_jPT6_SM_bb, .Lfunc_end73-_ZN7rocprim6detail20lookback_scan_kernelILNS0_25lookback_scan_determinismE0ELb1ENS0_19wrapped_scan_configINS_14default_configEiEEN6hipcub22TransformInputIteratorIiNS6_6CastOpIiEEPilEEPlNS6_3SumEiiNS0_19lookback_scan_stateIiLb1ELb1EEEEEvT2_T3_mT5_T4_T7_jPT6_SM_bb
                                        ; -- End function
	.section	.AMDGPU.csdata,"",@progbits
; Kernel info:
; codeLenInByte = 4
; NumSgprs: 4
; NumVgprs: 0
; NumAgprs: 0
; TotalNumVgprs: 0
; ScratchSize: 0
; MemoryBound: 0
; FloatMode: 240
; IeeeMode: 1
; LDSByteSize: 0 bytes/workgroup (compile time only)
; SGPRBlocks: 0
; VGPRBlocks: 0
; NumSGPRsForWavesPerEU: 4
; NumVGPRsForWavesPerEU: 1
; AccumOffset: 4
; Occupancy: 8
; WaveLimiterHint : 0
; COMPUTE_PGM_RSRC2:SCRATCH_EN: 0
; COMPUTE_PGM_RSRC2:USER_SGPR: 6
; COMPUTE_PGM_RSRC2:TRAP_HANDLER: 0
; COMPUTE_PGM_RSRC2:TGID_X_EN: 1
; COMPUTE_PGM_RSRC2:TGID_Y_EN: 0
; COMPUTE_PGM_RSRC2:TGID_Z_EN: 0
; COMPUTE_PGM_RSRC2:TIDIG_COMP_CNT: 0
; COMPUTE_PGM_RSRC3_GFX90A:ACCUM_OFFSET: 0
; COMPUTE_PGM_RSRC3_GFX90A:TG_SPLIT: 0
	.section	.text._ZN7rocprim6detail20lookback_scan_kernelILNS0_25lookback_scan_determinismE0ELb1ENS0_19wrapped_scan_configINS_14default_configEiEEN6hipcub22TransformInputIteratorIiNS6_6CastOpIiEEPilEEPlNS6_3SumEiiNS0_19lookback_scan_stateIiLb0ELb1EEEEEvT2_T3_mT5_T4_T7_jPT6_SM_bb,"axG",@progbits,_ZN7rocprim6detail20lookback_scan_kernelILNS0_25lookback_scan_determinismE0ELb1ENS0_19wrapped_scan_configINS_14default_configEiEEN6hipcub22TransformInputIteratorIiNS6_6CastOpIiEEPilEEPlNS6_3SumEiiNS0_19lookback_scan_stateIiLb0ELb1EEEEEvT2_T3_mT5_T4_T7_jPT6_SM_bb,comdat
	.protected	_ZN7rocprim6detail20lookback_scan_kernelILNS0_25lookback_scan_determinismE0ELb1ENS0_19wrapped_scan_configINS_14default_configEiEEN6hipcub22TransformInputIteratorIiNS6_6CastOpIiEEPilEEPlNS6_3SumEiiNS0_19lookback_scan_stateIiLb0ELb1EEEEEvT2_T3_mT5_T4_T7_jPT6_SM_bb ; -- Begin function _ZN7rocprim6detail20lookback_scan_kernelILNS0_25lookback_scan_determinismE0ELb1ENS0_19wrapped_scan_configINS_14default_configEiEEN6hipcub22TransformInputIteratorIiNS6_6CastOpIiEEPilEEPlNS6_3SumEiiNS0_19lookback_scan_stateIiLb0ELb1EEEEEvT2_T3_mT5_T4_T7_jPT6_SM_bb
	.globl	_ZN7rocprim6detail20lookback_scan_kernelILNS0_25lookback_scan_determinismE0ELb1ENS0_19wrapped_scan_configINS_14default_configEiEEN6hipcub22TransformInputIteratorIiNS6_6CastOpIiEEPilEEPlNS6_3SumEiiNS0_19lookback_scan_stateIiLb0ELb1EEEEEvT2_T3_mT5_T4_T7_jPT6_SM_bb
	.p2align	8
	.type	_ZN7rocprim6detail20lookback_scan_kernelILNS0_25lookback_scan_determinismE0ELb1ENS0_19wrapped_scan_configINS_14default_configEiEEN6hipcub22TransformInputIteratorIiNS6_6CastOpIiEEPilEEPlNS6_3SumEiiNS0_19lookback_scan_stateIiLb0ELb1EEEEEvT2_T3_mT5_T4_T7_jPT6_SM_bb,@function
_ZN7rocprim6detail20lookback_scan_kernelILNS0_25lookback_scan_determinismE0ELb1ENS0_19wrapped_scan_configINS_14default_configEiEEN6hipcub22TransformInputIteratorIiNS6_6CastOpIiEEPilEEPlNS6_3SumEiiNS0_19lookback_scan_stateIiLb0ELb1EEEEEvT2_T3_mT5_T4_T7_jPT6_SM_bb: ; @_ZN7rocprim6detail20lookback_scan_kernelILNS0_25lookback_scan_determinismE0ELb1ENS0_19wrapped_scan_configINS_14default_configEiEEN6hipcub22TransformInputIteratorIiNS6_6CastOpIiEEPilEEPlNS6_3SumEiiNS0_19lookback_scan_stateIiLb0ELb1EEEEEvT2_T3_mT5_T4_T7_jPT6_SM_bb
; %bb.0:
	s_load_dword s0, s[4:5], 0x30
	s_load_dwordx2 s[24:25], s[4:5], 0x0
	s_load_dwordx4 s[20:23], s[4:5], 0x10
	s_mul_i32 s18, s6, 0x500
	s_mov_b32 s19, 0
	s_waitcnt lgkmcnt(0)
	s_add_i32 s0, s0, -1
	s_mul_i32 s1, s0, 0x500
	s_sub_u32 s26, s22, s1
	s_subb_u32 s27, s23, 0
	s_cmp_lg_u32 s6, s0
	s_cselect_b64 s[22:23], -1, 0
	s_lshl_b64 s[0:1], s[18:19], 2
	s_add_u32 s2, s24, s0
	s_addc_u32 s3, s25, s1
	s_mov_b64 s[0:1], -1
	s_and_b64 vcc, exec, s[22:23]
	v_lshlrev_b32_e32 v23, 2, v0
	s_cbranch_vccz .LBB74_2
; %bb.1:
	v_mov_b32_e32 v1, s3
	v_add_co_u32_e32 v2, vcc, s2, v23
	v_addc_co_u32_e32 v1, vcc, 0, v1, vcc
	v_add_co_u32_e32 v2, vcc, 0x1000, v2
	v_addc_co_u32_e32 v3, vcc, 0, v1, vcc
	global_load_dword v4, v23, s[2:3]
	global_load_dword v5, v23, s[2:3] offset:512
	global_load_dword v6, v23, s[2:3] offset:1024
	;; [unrolled: 1-line block ×7, first 2 shown]
	global_load_dword v1, v[2:3], off
	global_load_dword v12, v[2:3], off offset:512
	s_mov_b64 s[0:1], 0
	s_waitcnt vmcnt(8)
	ds_write2st64_b32 v23, v4, v5 offset1:2
	s_waitcnt vmcnt(6)
	ds_write2st64_b32 v23, v6, v7 offset0:4 offset1:6
	s_waitcnt vmcnt(4)
	ds_write2st64_b32 v23, v8, v9 offset0:8 offset1:10
	;; [unrolled: 2-line block ×4, first 2 shown]
	s_waitcnt lgkmcnt(0)
	s_barrier
.LBB74_2:
	s_andn2_b64 vcc, exec, s[0:1]
	v_cmp_gt_u32_e64 s[0:1], s26, v0
	s_cbranch_vccnz .LBB74_24
; %bb.3:
	s_load_dword s8, s[2:3], 0x0
	v_mov_b32_e32 v1, s3
	v_add_co_u32_e32 v12, vcc, s2, v23
	v_addc_co_u32_e32 v13, vcc, 0, v1, vcc
	s_waitcnt lgkmcnt(0)
	s_mov_b32 s9, s8
	s_mov_b32 s10, s8
	;; [unrolled: 1-line block ×9, first 2 shown]
	v_pk_mov_b32 v[2:3], s[8:9], s[8:9] op_sel:[0,1]
	v_pk_mov_b32 v[4:5], s[10:11], s[10:11] op_sel:[0,1]
	;; [unrolled: 1-line block ×5, first 2 shown]
	v_mov_b32_e32 v1, s8
	s_and_saveexec_b64 s[2:3], s[0:1]
	s_cbranch_execz .LBB74_5
; %bb.4:
	global_load_dword v1, v[12:13], off
	v_pk_mov_b32 v[2:3], s[8:9], s[8:9] op_sel:[0,1]
	v_pk_mov_b32 v[4:5], s[10:11], s[10:11] op_sel:[0,1]
	;; [unrolled: 1-line block ×5, first 2 shown]
                                        ; kill: def $vgpr2 killed $vgpr1 killed $exec
.LBB74_5:
	s_or_b64 exec, exec, s[2:3]
	v_or_b32_e32 v2, 0x80, v0
	v_cmp_gt_u32_e32 vcc, s26, v2
	s_and_saveexec_b64 s[0:1], vcc
	s_cbranch_execz .LBB74_7
; %bb.6:
	global_load_dword v3, v[12:13], off offset:512
.LBB74_7:
	s_or_b64 exec, exec, s[0:1]
	v_or_b32_e32 v2, 0x100, v0
	v_cmp_gt_u32_e32 vcc, s26, v2
	s_and_saveexec_b64 s[0:1], vcc
	s_cbranch_execz .LBB74_9
; %bb.8:
	global_load_dword v4, v[12:13], off offset:1024
.LBB74_9:
	;; [unrolled: 8-line block ×7, first 2 shown]
	s_or_b64 exec, exec, s[0:1]
	v_or_b32_e32 v2, 0x400, v0
	v_cmp_gt_u32_e32 vcc, s26, v2
	s_and_saveexec_b64 s[0:1], vcc
	s_cbranch_execz .LBB74_21
; %bb.20:
	v_add_co_u32_e32 v14, vcc, 0x1000, v12
	v_addc_co_u32_e32 v15, vcc, 0, v13, vcc
	global_load_dword v10, v[14:15], off
.LBB74_21:
	s_or_b64 exec, exec, s[0:1]
	v_or_b32_e32 v2, 0x480, v0
	v_cmp_gt_u32_e32 vcc, s26, v2
	s_and_saveexec_b64 s[0:1], vcc
	s_cbranch_execz .LBB74_23
; %bb.22:
	v_add_co_u32_e32 v12, vcc, 0x1000, v12
	v_addc_co_u32_e32 v13, vcc, 0, v13, vcc
	global_load_dword v11, v[12:13], off offset:512
.LBB74_23:
	s_or_b64 exec, exec, s[0:1]
	s_waitcnt vmcnt(0)
	ds_write2st64_b32 v23, v1, v3 offset1:2
	ds_write2st64_b32 v23, v4, v5 offset0:4 offset1:6
	ds_write2st64_b32 v23, v6, v7 offset0:8 offset1:10
	;; [unrolled: 1-line block ×4, first 2 shown]
	s_waitcnt lgkmcnt(0)
	s_barrier
.LBB74_24:
	v_mul_u32_u24_e32 v22, 10, v0
	v_lshlrev_b32_e32 v1, 2, v22
	s_load_dwordx2 s[8:9], s[4:5], 0x28
	s_waitcnt lgkmcnt(0)
	ds_read2_b64 v[16:19], v1 offset1:1
	ds_read2_b64 v[12:15], v1 offset0:2 offset1:3
	ds_read_b64 v[20:21], v1 offset:32
	s_cmp_lg_u32 s6, 0
	v_lshrrev_b32_e32 v24, 5, v0
	s_waitcnt lgkmcnt(2)
	v_add_u32_e32 v2, v17, v16
	v_add3_u32 v25, v2, v18, v19
	v_cmp_gt_u32_e32 vcc, 64, v0
	s_waitcnt lgkmcnt(0)
	s_barrier
	s_cbranch_scc0 .LBB74_49
; %bb.25:
	v_add3_u32 v2, v25, v12, v13
	v_add3_u32 v2, v2, v14, v15
	;; [unrolled: 1-line block ×3, first 2 shown]
	v_add_lshl_u32 v3, v24, v0, 2
	ds_write_b32 v3, v2
	s_waitcnt lgkmcnt(0)
	s_barrier
	s_and_saveexec_b64 s[2:3], vcc
	s_cbranch_execz .LBB74_27
; %bb.26:
	v_lshlrev_b32_e32 v3, 1, v0
	v_lshrrev_b32_e32 v4, 4, v0
	v_add_lshl_u32 v3, v4, v3, 2
	ds_read2_b32 v[4:5], v3 offset1:1
	v_mbcnt_lo_u32_b32 v6, -1, 0
	v_mbcnt_hi_u32_b32 v6, -1, v6
	v_and_b32_e32 v7, 15, v6
	v_cmp_ne_u32_e64 s[0:1], 0, v7
	s_waitcnt lgkmcnt(0)
	v_add_u32_e32 v8, v5, v4
	s_nop 1
	v_mov_b32_dpp v9, v8 row_shr:1 row_mask:0xf bank_mask:0xf
	v_cndmask_b32_e64 v9, 0, v9, s[0:1]
	v_add_u32_e32 v8, v9, v8
	v_cmp_lt_u32_e64 s[0:1], 1, v7
	s_nop 0
	v_mov_b32_dpp v9, v8 row_shr:2 row_mask:0xf bank_mask:0xf
	v_cndmask_b32_e64 v9, 0, v9, s[0:1]
	v_add_u32_e32 v8, v8, v9
	v_cmp_lt_u32_e64 s[0:1], 3, v7
	;; [unrolled: 5-line block ×3, first 2 shown]
	s_nop 0
	v_mov_b32_dpp v9, v8 row_shr:8 row_mask:0xf bank_mask:0xf
	v_cndmask_b32_e64 v7, 0, v9, s[0:1]
	v_add_u32_e32 v7, v8, v7
	v_bfe_i32 v9, v6, 4, 1
	v_cmp_lt_u32_e64 s[0:1], 31, v6
	v_mov_b32_dpp v8, v7 row_bcast:15 row_mask:0xf bank_mask:0xf
	v_and_b32_e32 v8, v9, v8
	v_add_u32_e32 v7, v7, v8
	v_and_b32_e32 v9, 64, v6
	s_nop 0
	v_mov_b32_dpp v8, v7 row_bcast:31 row_mask:0xf bank_mask:0xf
	v_cndmask_b32_e64 v8, 0, v8, s[0:1]
	v_add_u32_e32 v7, v7, v8
	v_add_u32_e32 v8, -1, v6
	v_cmp_lt_i32_e64 s[0:1], v8, v9
	v_cndmask_b32_e64 v6, v8, v6, s[0:1]
	v_lshlrev_b32_e32 v6, 2, v6
	ds_bpermute_b32 v6, v6, v7
	v_cmp_eq_u32_e64 s[0:1], 0, v0
	s_waitcnt lgkmcnt(0)
	v_add_u32_e32 v4, v6, v4
	v_cndmask_b32_e64 v2, v4, v2, s[0:1]
	v_add_u32_e32 v4, v2, v5
	ds_write2_b32 v3, v2, v4 offset1:1
.LBB74_27:
	s_or_b64 exec, exec, s[2:3]
	v_cmp_eq_u32_e64 s[0:1], 0, v0
	v_cmp_ne_u32_e64 s[2:3], 0, v0
	v_mov_b32_e32 v26, 0
	s_waitcnt lgkmcnt(0)
	s_barrier
	s_and_saveexec_b64 s[10:11], s[2:3]
	s_cbranch_execz .LBB74_29
; %bb.28:
	v_add_u32_e32 v2, -1, v0
	v_lshrrev_b32_e32 v3, 5, v2
	v_add_lshl_u32 v2, v3, v2, 2
	ds_read_b32 v26, v2
.LBB74_29:
	s_or_b64 exec, exec, s[10:11]
	s_and_saveexec_b64 s[10:11], vcc
	s_cbranch_execz .LBB74_48
; %bb.30:
	v_mov_b32_e32 v9, 0
	ds_read_b32 v2, v9 offset:520
	v_mbcnt_lo_u32_b32 v3, -1, 0
	v_mbcnt_hi_u32_b32 v5, -1, v3
	s_mov_b32 s15, 0
	v_cmp_eq_u32_e64 s[2:3], 0, v5
	s_and_saveexec_b64 s[12:13], s[2:3]
	s_cbranch_execz .LBB74_32
; %bb.31:
	s_add_i32 s14, s6, 64
	s_lshl_b64 s[14:15], s[14:15], 3
	s_add_u32 s14, s8, s14
	s_addc_u32 s15, s9, s15
	v_mov_b32_e32 v3, 1
	s_waitcnt lgkmcnt(0)
	global_store_dwordx2 v9, v[2:3], s[14:15]
.LBB74_32:
	s_or_b64 exec, exec, s[12:13]
	v_xad_u32 v4, v5, -1, s6
	v_add_u32_e32 v8, 64, v4
	v_lshlrev_b64 v[6:7], 3, v[8:9]
	v_mov_b32_e32 v3, s9
	v_add_co_u32_e32 v10, vcc, s8, v6
	v_addc_co_u32_e32 v11, vcc, v3, v7, vcc
	global_load_dwordx2 v[6:7], v[10:11], off glc
	s_waitcnt vmcnt(0)
	v_cmp_eq_u16_sdwa s[14:15], v7, v9 src0_sel:BYTE_0 src1_sel:DWORD
	s_and_saveexec_b64 s[12:13], s[14:15]
	s_cbranch_execz .LBB74_36
; %bb.33:
	s_mov_b64 s[14:15], 0
	v_mov_b32_e32 v3, 0
.LBB74_34:                              ; =>This Inner Loop Header: Depth=1
	global_load_dwordx2 v[6:7], v[10:11], off glc
	s_waitcnt vmcnt(0)
	v_cmp_ne_u16_sdwa s[16:17], v7, v3 src0_sel:BYTE_0 src1_sel:DWORD
	s_or_b64 s[14:15], s[16:17], s[14:15]
	s_andn2_b64 exec, exec, s[14:15]
	s_cbranch_execnz .LBB74_34
; %bb.35:
	s_or_b64 exec, exec, s[14:15]
.LBB74_36:
	s_or_b64 exec, exec, s[12:13]
	v_and_b32_e32 v35, 63, v5
	v_mov_b32_e32 v3, 2
	v_cmp_ne_u32_e32 vcc, 63, v35
	v_cmp_eq_u16_sdwa s[12:13], v7, v3 src0_sel:BYTE_0 src1_sel:DWORD
	v_lshlrev_b64 v[8:9], v5, -1
	v_addc_co_u32_e32 v27, vcc, 0, v5, vcc
	v_and_b32_e32 v10, s13, v9
	v_lshlrev_b32_e32 v27, 2, v27
	v_or_b32_e32 v10, 0x80000000, v10
	ds_bpermute_b32 v29, v27, v6
	v_and_b32_e32 v11, s12, v8
	v_ffbl_b32_e32 v10, v10
	v_add_u32_e32 v10, 32, v10
	v_ffbl_b32_e32 v11, v11
	v_min_u32_e32 v10, v11, v10
	v_add_u32_e32 v28, 1, v5
	v_cmp_le_u32_e32 vcc, v28, v10
	s_waitcnt lgkmcnt(0)
	v_cndmask_b32_e32 v11, 0, v29, vcc
	v_cmp_gt_u32_e32 vcc, 62, v35
	v_add_u32_e32 v6, v11, v6
	v_cndmask_b32_e64 v11, 0, 1, vcc
	v_lshlrev_b32_e32 v11, 1, v11
	v_add_lshl_u32 v29, v11, v5, 2
	ds_bpermute_b32 v11, v29, v6
	v_add_u32_e32 v30, 2, v5
	v_cmp_le_u32_e32 vcc, v30, v10
	v_add_u32_e32 v32, 4, v5
	v_add_u32_e32 v34, 8, v5
	s_waitcnt lgkmcnt(0)
	v_cndmask_b32_e32 v11, 0, v11, vcc
	v_cmp_gt_u32_e32 vcc, 60, v35
	v_add_u32_e32 v6, v6, v11
	v_cndmask_b32_e64 v11, 0, 1, vcc
	v_lshlrev_b32_e32 v11, 2, v11
	v_add_lshl_u32 v31, v11, v5, 2
	ds_bpermute_b32 v11, v31, v6
	v_cmp_le_u32_e32 vcc, v32, v10
	v_add_u32_e32 v37, 16, v5
	v_add_u32_e32 v39, 32, v5
	s_waitcnt lgkmcnt(0)
	v_cndmask_b32_e32 v11, 0, v11, vcc
	v_cmp_gt_u32_e32 vcc, 56, v35
	v_add_u32_e32 v6, v6, v11
	v_cndmask_b32_e64 v11, 0, 1, vcc
	v_lshlrev_b32_e32 v11, 3, v11
	v_add_lshl_u32 v33, v11, v5, 2
	ds_bpermute_b32 v11, v33, v6
	v_cmp_le_u32_e32 vcc, v34, v10
	s_waitcnt lgkmcnt(0)
	v_cndmask_b32_e32 v11, 0, v11, vcc
	v_cmp_gt_u32_e32 vcc, 48, v35
	v_add_u32_e32 v6, v6, v11
	v_cndmask_b32_e64 v11, 0, 1, vcc
	v_lshlrev_b32_e32 v11, 4, v11
	v_add_lshl_u32 v36, v11, v5, 2
	ds_bpermute_b32 v11, v36, v6
	v_cmp_le_u32_e32 vcc, v37, v10
	;; [unrolled: 9-line block ×3, first 2 shown]
	s_waitcnt lgkmcnt(0)
	v_cndmask_b32_e32 v5, 0, v11, vcc
	v_add_u32_e32 v6, v6, v5
	v_mov_b32_e32 v5, 0
	s_branch .LBB74_38
.LBB74_37:                              ;   in Loop: Header=BB74_38 Depth=1
	s_or_b64 exec, exec, s[12:13]
	v_cmp_eq_u16_sdwa s[12:13], v7, v3 src0_sel:BYTE_0 src1_sel:DWORD
	v_and_b32_e32 v10, s13, v9
	v_or_b32_e32 v10, 0x80000000, v10
	ds_bpermute_b32 v40, v27, v6
	v_and_b32_e32 v11, s12, v8
	v_ffbl_b32_e32 v10, v10
	v_add_u32_e32 v10, 32, v10
	v_ffbl_b32_e32 v11, v11
	v_min_u32_e32 v10, v11, v10
	v_cmp_le_u32_e32 vcc, v28, v10
	s_waitcnt lgkmcnt(0)
	v_cndmask_b32_e32 v11, 0, v40, vcc
	v_add_u32_e32 v6, v11, v6
	ds_bpermute_b32 v11, v29, v6
	v_cmp_le_u32_e32 vcc, v30, v10
	v_subrev_u32_e32 v4, 64, v4
	s_waitcnt lgkmcnt(0)
	v_cndmask_b32_e32 v11, 0, v11, vcc
	v_add_u32_e32 v6, v6, v11
	ds_bpermute_b32 v11, v31, v6
	v_cmp_le_u32_e32 vcc, v32, v10
	s_waitcnt lgkmcnt(0)
	v_cndmask_b32_e32 v11, 0, v11, vcc
	v_add_u32_e32 v6, v6, v11
	ds_bpermute_b32 v11, v33, v6
	v_cmp_le_u32_e32 vcc, v34, v10
	;; [unrolled: 5-line block ×4, first 2 shown]
	s_waitcnt lgkmcnt(0)
	v_cndmask_b32_e32 v10, 0, v11, vcc
	v_add3_u32 v6, v10, v35, v6
.LBB74_38:                              ; =>This Loop Header: Depth=1
                                        ;     Child Loop BB74_41 Depth 2
	v_cmp_ne_u16_sdwa s[12:13], v7, v3 src0_sel:BYTE_0 src1_sel:DWORD
	v_cndmask_b32_e64 v7, 0, 1, s[12:13]
	;;#ASMSTART
	;;#ASMEND
	v_cmp_ne_u32_e32 vcc, 0, v7
	s_cmp_lg_u64 vcc, exec
	v_mov_b32_e32 v35, v6
	s_cbranch_scc1 .LBB74_43
; %bb.39:                               ;   in Loop: Header=BB74_38 Depth=1
	v_lshlrev_b64 v[6:7], 3, v[4:5]
	v_mov_b32_e32 v11, s9
	v_add_co_u32_e32 v10, vcc, s8, v6
	v_addc_co_u32_e32 v11, vcc, v11, v7, vcc
	global_load_dwordx2 v[6:7], v[10:11], off glc
	s_waitcnt vmcnt(0)
	v_cmp_eq_u16_sdwa s[14:15], v7, v5 src0_sel:BYTE_0 src1_sel:DWORD
	s_and_saveexec_b64 s[12:13], s[14:15]
	s_cbranch_execz .LBB74_37
; %bb.40:                               ;   in Loop: Header=BB74_38 Depth=1
	s_mov_b64 s[14:15], 0
.LBB74_41:                              ;   Parent Loop BB74_38 Depth=1
                                        ; =>  This Inner Loop Header: Depth=2
	global_load_dwordx2 v[6:7], v[10:11], off glc
	s_waitcnt vmcnt(0)
	v_cmp_ne_u16_sdwa s[16:17], v7, v5 src0_sel:BYTE_0 src1_sel:DWORD
	s_or_b64 s[14:15], s[16:17], s[14:15]
	s_andn2_b64 exec, exec, s[14:15]
	s_cbranch_execnz .LBB74_41
; %bb.42:                               ;   in Loop: Header=BB74_38 Depth=1
	s_or_b64 exec, exec, s[14:15]
	s_branch .LBB74_37
.LBB74_43:                              ;   in Loop: Header=BB74_38 Depth=1
                                        ; implicit-def: $vgpr6
                                        ; implicit-def: $vgpr7
	s_cbranch_execz .LBB74_38
; %bb.44:
	s_and_saveexec_b64 s[12:13], s[2:3]
	s_cbranch_execz .LBB74_46
; %bb.45:
	s_add_i32 s2, s6, 64
	s_mov_b32 s3, 0
	s_lshl_b64 s[2:3], s[2:3], 3
	s_add_u32 s2, s8, s2
	s_addc_u32 s3, s9, s3
	v_mov_b32_e32 v4, 0
	v_add_u32_e32 v2, v35, v2
	v_mov_b32_e32 v3, 2
	global_store_dwordx2 v4, v[2:3], s[2:3]
.LBB74_46:
	s_or_b64 exec, exec, s[12:13]
	s_and_b64 exec, exec, s[0:1]
	s_cbranch_execz .LBB74_48
; %bb.47:
	v_mov_b32_e32 v2, 0
	ds_write_b32 v2, v35
.LBB74_48:
	s_or_b64 exec, exec, s[10:11]
	v_mov_b32_e32 v2, 0
	s_waitcnt lgkmcnt(0)
	s_barrier
	ds_read_b32 v2, v2
	s_waitcnt lgkmcnt(0)
	v_add_u32_e32 v2, v2, v26
	v_add_u32_e32 v3, v2, v16
	;; [unrolled: 1-line block ×10, first 2 shown]
	s_load_dwordx4 s[0:3], s[4:5], 0x38
	s_branch .LBB74_59
.LBB74_49:
                                        ; implicit-def: $vgpr2_vgpr3_vgpr4_vgpr5_vgpr6_vgpr7_vgpr8_vgpr9_vgpr10_vgpr11
	s_load_dwordx4 s[0:3], s[4:5], 0x38
	s_cbranch_execz .LBB74_59
; %bb.50:
	s_load_dword s6, s[4:5], 0x48
	s_load_dword s7, s[4:5], 0x20
	s_waitcnt lgkmcnt(0)
	s_bitcmp0_b32 s6, 0
	v_mov_b32_e32 v26, s7
	s_cbranch_scc1 .LBB74_52
; %bb.51:
	v_mov_b32_e32 v2, 0
	global_load_dword v2, v2, s[24:25] offset:-4
	s_load_dword s0, s[0:1], 0x0
	s_waitcnt vmcnt(0) lgkmcnt(0)
	v_add_u32_e32 v26, s0, v2
.LBB74_52:
	v_add3_u32 v2, v25, v12, v13
	v_add3_u32 v2, v2, v14, v15
	;; [unrolled: 1-line block ×3, first 2 shown]
	v_add_lshl_u32 v3, v24, v0, 2
	v_cmp_gt_u32_e32 vcc, 64, v0
	ds_write_b32 v3, v2
	s_waitcnt lgkmcnt(0)
	s_barrier
	s_and_saveexec_b64 s[0:1], vcc
	s_cbranch_execz .LBB74_54
; %bb.53:
	v_lshlrev_b32_e32 v3, 1, v0
	v_lshrrev_b32_e32 v4, 4, v0
	v_add_lshl_u32 v3, v4, v3, 2
	ds_read2_b32 v[4:5], v3 offset1:1
	v_mbcnt_lo_u32_b32 v6, -1, 0
	v_mbcnt_hi_u32_b32 v6, -1, v6
	v_and_b32_e32 v7, 15, v6
	v_cmp_ne_u32_e32 vcc, 0, v7
	s_waitcnt lgkmcnt(0)
	v_add_u32_e32 v8, v5, v4
	s_nop 1
	v_mov_b32_dpp v9, v8 row_shr:1 row_mask:0xf bank_mask:0xf
	v_cndmask_b32_e32 v9, 0, v9, vcc
	v_add_u32_e32 v8, v9, v8
	v_cmp_lt_u32_e32 vcc, 1, v7
	s_nop 0
	v_mov_b32_dpp v9, v8 row_shr:2 row_mask:0xf bank_mask:0xf
	v_cndmask_b32_e32 v9, 0, v9, vcc
	v_add_u32_e32 v8, v8, v9
	v_cmp_lt_u32_e32 vcc, 3, v7
	;; [unrolled: 5-line block ×3, first 2 shown]
	s_nop 0
	v_mov_b32_dpp v9, v8 row_shr:8 row_mask:0xf bank_mask:0xf
	v_cndmask_b32_e32 v7, 0, v9, vcc
	v_add_u32_e32 v7, v8, v7
	v_bfe_i32 v9, v6, 4, 1
	v_cmp_lt_u32_e32 vcc, 31, v6
	v_mov_b32_dpp v8, v7 row_bcast:15 row_mask:0xf bank_mask:0xf
	v_and_b32_e32 v8, v9, v8
	v_add_u32_e32 v7, v7, v8
	v_and_b32_e32 v9, 64, v6
	s_nop 0
	v_mov_b32_dpp v8, v7 row_bcast:31 row_mask:0xf bank_mask:0xf
	v_cndmask_b32_e32 v8, 0, v8, vcc
	v_add_u32_e32 v7, v7, v8
	v_add_u32_e32 v8, -1, v6
	v_cmp_lt_i32_e32 vcc, v8, v9
	v_cndmask_b32_e32 v6, v8, v6, vcc
	v_lshlrev_b32_e32 v6, 2, v6
	ds_bpermute_b32 v6, v6, v7
	v_cmp_eq_u32_e32 vcc, 0, v0
	s_waitcnt lgkmcnt(0)
	v_add_u32_e32 v4, v6, v4
	v_cndmask_b32_e32 v2, v4, v2, vcc
	v_add_u32_e32 v4, v2, v5
	ds_write2_b32 v3, v2, v4 offset1:1
.LBB74_54:
	s_or_b64 exec, exec, s[0:1]
	v_cmp_eq_u32_e32 vcc, 0, v0
	v_cmp_ne_u32_e64 s[0:1], 0, v0
	v_mov_b32_e32 v2, v26
	s_waitcnt lgkmcnt(0)
	s_barrier
	s_and_saveexec_b64 s[6:7], s[0:1]
	s_cbranch_execz .LBB74_56
; %bb.55:
	v_add_u32_e32 v2, -1, v0
	v_lshrrev_b32_e32 v3, 5, v2
	v_add_lshl_u32 v2, v3, v2, 2
	ds_read_b32 v2, v2
	s_waitcnt lgkmcnt(0)
	v_add_u32_e32 v2, v2, v26
.LBB74_56:
	s_or_b64 exec, exec, s[6:7]
	v_add_u32_e32 v3, v2, v16
	v_add_u32_e32 v4, v3, v17
	;; [unrolled: 1-line block ×9, first 2 shown]
	s_and_saveexec_b64 s[0:1], vcc
	s_cbranch_execz .LBB74_58
; %bb.57:
	v_mov_b32_e32 v14, 0
	ds_read_b32 v12, v14 offset:520
	v_mov_b32_e32 v13, 2
	s_waitcnt lgkmcnt(0)
	v_add_u32_e32 v12, v12, v26
	global_store_dwordx2 v14, v[12:13], s[8:9] offset:512
.LBB74_58:
	s_or_b64 exec, exec, s[0:1]
.LBB74_59:
	s_waitcnt lgkmcnt(0)
	s_lshl_b64 s[0:1], s[18:19], 3
	s_add_u32 s0, s20, s0
	s_addc_u32 s1, s21, s1
	s_mov_b64 s[6:7], -1
	s_and_b64 vcc, exec, s[22:23]
	v_lshlrev_b32_e32 v12, 3, v0
	s_barrier
	s_cbranch_vccz .LBB74_61
; %bb.60:
	ds_write2_b64 v1, v[2:3], v[4:5] offset1:1
	ds_write2_b64 v1, v[6:7], v[8:9] offset0:2 offset1:3
	ds_write_b64 v1, v[10:11] offset:32
	s_waitcnt lgkmcnt(0)
	s_barrier
	ds_read2st64_b32 v[14:15], v23 offset1:2
	ds_read2st64_b32 v[18:19], v23 offset0:4 offset1:6
	ds_read2st64_b32 v[28:29], v23 offset0:12 offset1:14
	v_mov_b32_e32 v13, s1
	v_add_co_u32_e32 v38, vcc, s0, v12
	s_waitcnt lgkmcnt(2)
	v_ashrrev_i32_e32 v17, 31, v14
	v_mov_b32_e32 v16, v14
	v_ashrrev_i32_e32 v21, 31, v15
	v_mov_b32_e32 v20, v15
	ds_read2st64_b32 v[14:15], v23 offset0:8 offset1:10
	s_waitcnt lgkmcnt(2)
	v_ashrrev_i32_e32 v25, 31, v18
	v_mov_b32_e32 v24, v18
	v_ashrrev_i32_e32 v27, 31, v19
	v_mov_b32_e32 v26, v19
	s_waitcnt lgkmcnt(0)
	v_ashrrev_i32_e32 v19, 31, v14
	v_mov_b32_e32 v18, v14
	v_ashrrev_i32_e32 v31, 31, v15
	v_mov_b32_e32 v30, v15
	ds_read2st64_b32 v[14:15], v23 offset0:16 offset1:18
	v_addc_co_u32_e32 v13, vcc, 0, v13, vcc
	s_movk_i32 s6, 0x1000
	v_ashrrev_i32_e32 v33, 31, v28
	v_mov_b32_e32 v32, v28
	v_ashrrev_i32_e32 v35, 31, v29
	v_mov_b32_e32 v34, v29
	s_waitcnt lgkmcnt(0)
	v_ashrrev_i32_e32 v29, 31, v14
	v_mov_b32_e32 v28, v14
	v_add_co_u32_e32 v14, vcc, s6, v38
	v_ashrrev_i32_e32 v37, 31, v15
	v_mov_b32_e32 v36, v15
	v_addc_co_u32_e32 v15, vcc, 0, v13, vcc
	global_store_dwordx2 v12, v[16:17], s[0:1]
	global_store_dwordx2 v12, v[20:21], s[0:1] offset:1024
	global_store_dwordx2 v12, v[24:25], s[0:1] offset:2048
	;; [unrolled: 1-line block ×3, first 2 shown]
	global_store_dwordx2 v[14:15], v[18:19], off
	global_store_dwordx2 v[14:15], v[30:31], off offset:1024
	global_store_dwordx2 v[14:15], v[32:33], off offset:2048
	global_store_dwordx2 v[14:15], v[34:35], off offset:3072
	v_add_co_u32_e32 v14, vcc, 0x2000, v38
	v_addc_co_u32_e32 v15, vcc, 0, v13, vcc
	global_store_dwordx2 v[14:15], v[28:29], off
	global_store_dwordx2 v[14:15], v[36:37], off offset:1024
	s_mov_b64 s[6:7], 0
.LBB74_61:
	s_andn2_b64 vcc, exec, s[6:7]
	s_cbranch_vccnz .LBB74_117
; %bb.62:
	ds_write2_b64 v1, v[2:3], v[4:5] offset1:1
	ds_write2_b64 v1, v[6:7], v[8:9] offset0:2 offset1:3
	ds_write_b64 v1, v[10:11] offset:32
	s_waitcnt lgkmcnt(0)
	s_barrier
	ds_read2st64_b32 v[2:3], v23 offset1:2
	ds_read2st64_b32 v[6:7], v23 offset0:4 offset1:6
	ds_read2st64_b32 v[4:5], v23 offset0:8 offset1:10
	;; [unrolled: 1-line block ×4, first 2 shown]
	v_mov_b32_e32 v13, s1
	v_add_co_u32_e32 v12, vcc, s0, v12
	v_addc_co_u32_e32 v13, vcc, 0, v13, vcc
	v_mov_b32_e32 v1, 0
	v_cmp_gt_u32_e32 vcc, s26, v0
	s_and_saveexec_b64 s[0:1], vcc
	s_cbranch_execz .LBB74_64
; %bb.63:
	s_waitcnt lgkmcnt(4)
	v_ashrrev_i32_e32 v15, 31, v2
	v_mov_b32_e32 v14, v2
	global_store_dwordx2 v[12:13], v[14:15], off
.LBB74_64:
	s_or_b64 exec, exec, s[0:1]
	v_or_b32_e32 v14, 0x80, v0
	v_cmp_gt_u32_e32 vcc, s26, v14
	s_and_saveexec_b64 s[0:1], vcc
	s_cbranch_execz .LBB74_66
; %bb.65:
	s_waitcnt lgkmcnt(4)
	v_ashrrev_i32_e32 v15, 31, v3
	v_mov_b32_e32 v14, v3
	global_store_dwordx2 v[12:13], v[14:15], off offset:1024
.LBB74_66:
	s_or_b64 exec, exec, s[0:1]
	v_or_b32_e32 v14, 0x100, v0
	v_cmp_gt_u32_e32 vcc, s26, v14
	s_and_saveexec_b64 s[0:1], vcc
	s_cbranch_execz .LBB74_68
; %bb.67:
	s_waitcnt lgkmcnt(3)
	v_ashrrev_i32_e32 v15, 31, v6
	v_mov_b32_e32 v14, v6
	global_store_dwordx2 v[12:13], v[14:15], off offset:2048
.LBB74_68:
	;; [unrolled: 11-line block ×3, first 2 shown]
	s_or_b64 exec, exec, s[0:1]
	v_or_b32_e32 v14, 0x200, v0
	v_cmp_gt_u32_e32 vcc, s26, v14
	s_and_saveexec_b64 s[0:1], vcc
	s_cbranch_execz .LBB74_72
; %bb.71:
	v_add_co_u32_e32 v16, vcc, 0x1000, v12
	s_waitcnt lgkmcnt(2)
	v_ashrrev_i32_e32 v15, 31, v4
	v_mov_b32_e32 v14, v4
	v_addc_co_u32_e32 v17, vcc, 0, v13, vcc
	global_store_dwordx2 v[16:17], v[14:15], off
.LBB74_72:
	s_or_b64 exec, exec, s[0:1]
	v_or_b32_e32 v14, 0x280, v0
	v_cmp_gt_u32_e32 vcc, s26, v14
	s_and_saveexec_b64 s[0:1], vcc
	s_cbranch_execz .LBB74_74
; %bb.73:
	v_add_co_u32_e32 v16, vcc, 0x1000, v12
	s_waitcnt lgkmcnt(2)
	v_ashrrev_i32_e32 v15, 31, v5
	v_mov_b32_e32 v14, v5
	v_addc_co_u32_e32 v17, vcc, 0, v13, vcc
	global_store_dwordx2 v[16:17], v[14:15], off offset:1024
.LBB74_74:
	s_or_b64 exec, exec, s[0:1]
	v_or_b32_e32 v14, 0x300, v0
	v_cmp_gt_u32_e32 vcc, s26, v14
	s_and_saveexec_b64 s[0:1], vcc
	s_cbranch_execz .LBB74_76
; %bb.75:
	v_add_co_u32_e32 v16, vcc, 0x1000, v12
	s_waitcnt lgkmcnt(1)
	v_ashrrev_i32_e32 v15, 31, v8
	v_mov_b32_e32 v14, v8
	v_addc_co_u32_e32 v17, vcc, 0, v13, vcc
	global_store_dwordx2 v[16:17], v[14:15], off offset:2048
.LBB74_76:
	s_or_b64 exec, exec, s[0:1]
	v_or_b32_e32 v14, 0x380, v0
	v_cmp_gt_u32_e32 vcc, s26, v14
	s_and_saveexec_b64 s[0:1], vcc
	s_cbranch_execz .LBB74_78
; %bb.77:
	v_add_co_u32_e32 v16, vcc, 0x1000, v12
	s_waitcnt lgkmcnt(1)
	v_ashrrev_i32_e32 v15, 31, v9
	v_mov_b32_e32 v14, v9
	v_addc_co_u32_e32 v17, vcc, 0, v13, vcc
	global_store_dwordx2 v[16:17], v[14:15], off offset:3072
.LBB74_78:
	s_or_b64 exec, exec, s[0:1]
	v_or_b32_e32 v14, 0x400, v0
	v_cmp_gt_u32_e32 vcc, s26, v14
	s_and_saveexec_b64 s[0:1], vcc
	s_cbranch_execz .LBB74_80
; %bb.79:
	v_add_co_u32_e32 v16, vcc, 0x2000, v12
	s_waitcnt lgkmcnt(0)
	v_ashrrev_i32_e32 v15, 31, v10
	v_mov_b32_e32 v14, v10
	v_addc_co_u32_e32 v17, vcc, 0, v13, vcc
	global_store_dwordx2 v[16:17], v[14:15], off
.LBB74_80:
	s_or_b64 exec, exec, s[0:1]
	v_or_b32_e32 v14, 0x480, v0
	v_cmp_gt_u32_e32 vcc, s26, v14
	s_and_saveexec_b64 s[0:1], vcc
	s_cbranch_execz .LBB74_82
; %bb.81:
	v_add_co_u32_e32 v12, vcc, 0x2000, v12
	s_waitcnt lgkmcnt(0)
	v_ashrrev_i32_e32 v15, 31, v11
	v_mov_b32_e32 v14, v11
	v_addc_co_u32_e32 v13, vcc, 0, v13, vcc
	global_store_dwordx2 v[12:13], v[14:15], off offset:1024
.LBB74_82:
	s_or_b64 exec, exec, s[0:1]
	s_load_dword s0, s[4:5], 0x48
	s_waitcnt lgkmcnt(0)
	s_bfe_u32 s0, s0, 0x10008
	s_cmp_eq_u32 s0, 0
	s_cbranch_scc1 .LBB74_117
; %bb.83:
	s_add_u32 s0, s26, -1
	s_addc_u32 s1, s27, -1
	s_add_u32 s4, 0, 0x99986000
	s_addc_u32 s5, 0, 0x59
	s_add_i32 s5, s5, 0x19999940
	s_mul_hi_u32 s9, s4, -10
	s_sub_i32 s9, s9, s4
	s_mul_i32 s10, s5, -10
	s_mul_i32 s6, s4, -10
	s_add_i32 s9, s9, s10
	s_mul_hi_u32 s7, s5, s6
	s_mul_i32 s8, s5, s6
	s_mul_i32 s11, s4, s9
	s_mul_hi_u32 s6, s4, s6
	s_mul_hi_u32 s10, s4, s9
	s_add_u32 s6, s6, s11
	s_addc_u32 s10, 0, s10
	s_add_u32 s6, s6, s8
	s_mul_hi_u32 s11, s5, s9
	s_addc_u32 s6, s10, s7
	s_addc_u32 s7, s11, 0
	s_mul_i32 s8, s5, s9
	s_add_u32 s6, s6, s8
	v_mov_b32_e32 v12, s6
	s_addc_u32 s7, 0, s7
	v_add_co_u32_e32 v12, vcc, s4, v12
	s_cmp_lg_u64 vcc, 0
	s_addc_u32 s4, s5, s7
	v_readfirstlane_b32 s7, v12
	s_mul_i32 s6, s0, s4
	s_mul_hi_u32 s8, s0, s7
	s_mul_hi_u32 s5, s0, s4
	s_add_u32 s6, s8, s6
	s_addc_u32 s5, 0, s5
	s_mul_hi_u32 s9, s1, s7
	s_mul_i32 s7, s1, s7
	s_add_u32 s6, s6, s7
	s_mul_hi_u32 s8, s1, s4
	s_addc_u32 s5, s5, s9
	s_addc_u32 s6, s8, 0
	s_mul_i32 s4, s1, s4
	s_add_u32 s4, s5, s4
	s_addc_u32 s5, 0, s6
	s_add_u32 s6, s4, 1
	s_addc_u32 s7, s5, 0
	s_add_u32 s8, s4, 2
	s_mul_i32 s10, s5, 10
	s_mul_hi_u32 s11, s4, 10
	s_addc_u32 s9, s5, 0
	s_add_i32 s11, s11, s10
	s_mul_i32 s10, s4, 10
	v_mov_b32_e32 v12, s10
	v_sub_co_u32_e32 v12, vcc, s0, v12
	s_cmp_lg_u64 vcc, 0
	s_subb_u32 s10, s1, s11
	v_subrev_co_u32_e32 v13, vcc, 10, v12
	s_cmp_lg_u64 vcc, 0
	s_subb_u32 s11, s10, 0
	v_readfirstlane_b32 s12, v13
	s_cmp_gt_u32 s12, 9
	s_cselect_b32 s12, -1, 0
	s_cmp_eq_u32 s11, 0
	s_cselect_b32 s11, s12, -1
	s_cmp_lg_u32 s11, 0
	s_cselect_b32 s6, s8, s6
	v_readfirstlane_b32 s8, v12
	s_cselect_b32 s7, s9, s7
	s_cmp_gt_u32 s8, 9
	s_cselect_b32 s8, -1, 0
	s_cmp_eq_u32 s10, 0
	s_cselect_b32 s8, s8, -1
	s_cmp_lg_u32 s8, 0
	s_cselect_b32 s5, s7, s5
	s_cselect_b32 s4, s6, s4
	v_cmp_eq_u64_e32 vcc, s[4:5], v[0:1]
	s_and_saveexec_b64 s[4:5], vcc
	s_cbranch_execz .LBB74_117
; %bb.84:
	v_mul_hi_u32_u24_e32 v1, 10, v0
	v_mov_b32_e32 v12, s1
	v_sub_co_u32_e32 v0, vcc, s0, v22
	v_subb_co_u32_e32 v1, vcc, v12, v1, vcc
	v_cmp_lt_i64_e32 vcc, 4, v[0:1]
	s_and_saveexec_b64 s[0:1], vcc
	s_xor_b64 s[0:1], exec, s[0:1]
	s_cbranch_execz .LBB74_102
; %bb.85:
	v_cmp_lt_i64_e32 vcc, 6, v[0:1]
	s_and_saveexec_b64 s[4:5], vcc
	s_xor_b64 s[4:5], exec, s[4:5]
	s_cbranch_execz .LBB74_95
; %bb.86:
	;; [unrolled: 5-line block ×4, first 2 shown]
	v_mov_b32_e32 v0, 0
	global_store_dword v0, v11, s[2:3]
                                        ; implicit-def: $vgpr10_vgpr11
.LBB74_89:
	s_andn2_saveexec_b64 s[8:9], s[8:9]
	s_cbranch_execz .LBB74_91
; %bb.90:
	v_mov_b32_e32 v0, 0
	global_store_dword v0, v10, s[2:3]
.LBB74_91:
	s_or_b64 exec, exec, s[8:9]
                                        ; implicit-def: $vgpr8_vgpr9
.LBB74_92:
	s_andn2_saveexec_b64 s[6:7], s[6:7]
	s_cbranch_execz .LBB74_94
; %bb.93:
	v_mov_b32_e32 v0, 0
	global_store_dword v0, v9, s[2:3]
.LBB74_94:
	s_or_b64 exec, exec, s[6:7]
                                        ; implicit-def: $vgpr4_vgpr5
                                        ; implicit-def: $vgpr0_vgpr1
                                        ; implicit-def: $vgpr8_vgpr9
.LBB74_95:
	s_andn2_saveexec_b64 s[4:5], s[4:5]
	s_cbranch_execz .LBB74_101
; %bb.96:
	v_cmp_lt_i64_e32 vcc, 5, v[0:1]
	s_and_saveexec_b64 s[6:7], vcc
	s_xor_b64 s[6:7], exec, s[6:7]
	s_cbranch_execz .LBB74_98
; %bb.97:
	v_mov_b32_e32 v0, 0
	global_store_dword v0, v8, s[2:3]
                                        ; implicit-def: $vgpr4_vgpr5
.LBB74_98:
	s_andn2_saveexec_b64 s[6:7], s[6:7]
	s_cbranch_execz .LBB74_100
; %bb.99:
	v_mov_b32_e32 v0, 0
	global_store_dword v0, v5, s[2:3]
.LBB74_100:
	s_or_b64 exec, exec, s[6:7]
.LBB74_101:
	s_or_b64 exec, exec, s[4:5]
                                        ; implicit-def: $vgpr0_vgpr1
                                        ; implicit-def: $vgpr6_vgpr7
                                        ; implicit-def: $vgpr2_vgpr3
                                        ; implicit-def: $vgpr4_vgpr5
.LBB74_102:
	s_andn2_saveexec_b64 s[0:1], s[0:1]
	s_cbranch_execz .LBB74_117
; %bb.103:
	v_cmp_lt_i64_e32 vcc, 2, v[0:1]
	s_and_saveexec_b64 s[0:1], vcc
	s_xor_b64 s[0:1], exec, s[0:1]
	s_cbranch_execz .LBB74_109
; %bb.104:
	v_cmp_lt_i64_e32 vcc, 3, v[0:1]
	s_and_saveexec_b64 s[4:5], vcc
	s_xor_b64 s[4:5], exec, s[4:5]
	s_cbranch_execz .LBB74_106
; %bb.105:
	v_mov_b32_e32 v0, 0
	global_store_dword v0, v4, s[2:3]
                                        ; implicit-def: $vgpr6_vgpr7
.LBB74_106:
	s_andn2_saveexec_b64 s[4:5], s[4:5]
	s_cbranch_execz .LBB74_108
; %bb.107:
	v_mov_b32_e32 v0, 0
	global_store_dword v0, v7, s[2:3]
.LBB74_108:
	s_or_b64 exec, exec, s[4:5]
                                        ; implicit-def: $vgpr0_vgpr1
                                        ; implicit-def: $vgpr6_vgpr7
                                        ; implicit-def: $vgpr2_vgpr3
.LBB74_109:
	s_andn2_saveexec_b64 s[0:1], s[0:1]
	s_cbranch_execz .LBB74_117
; %bb.110:
	v_cmp_lt_i64_e32 vcc, 1, v[0:1]
	s_and_saveexec_b64 s[0:1], vcc
	s_xor_b64 s[0:1], exec, s[0:1]
	s_cbranch_execz .LBB74_112
; %bb.111:
	v_mov_b32_e32 v0, 0
	global_store_dword v0, v6, s[2:3]
                                        ; implicit-def: $vgpr2_vgpr3
                                        ; implicit-def: $vgpr0_vgpr1
.LBB74_112:
	s_andn2_saveexec_b64 s[0:1], s[0:1]
	s_cbranch_execz .LBB74_117
; %bb.113:
	v_cmp_ne_u64_e32 vcc, 1, v[0:1]
	s_and_saveexec_b64 s[0:1], vcc
	s_xor_b64 s[0:1], exec, s[0:1]
	s_cbranch_execz .LBB74_115
; %bb.114:
	v_mov_b32_e32 v0, 0
	global_store_dword v0, v2, s[2:3]
                                        ; implicit-def: $vgpr2_vgpr3
.LBB74_115:
	s_andn2_saveexec_b64 s[0:1], s[0:1]
	s_cbranch_execz .LBB74_117
; %bb.116:
	v_mov_b32_e32 v0, 0
	global_store_dword v0, v3, s[2:3]
.LBB74_117:
	s_endpgm
	.section	.rodata,"a",@progbits
	.p2align	6, 0x0
	.amdhsa_kernel _ZN7rocprim6detail20lookback_scan_kernelILNS0_25lookback_scan_determinismE0ELb1ENS0_19wrapped_scan_configINS_14default_configEiEEN6hipcub22TransformInputIteratorIiNS6_6CastOpIiEEPilEEPlNS6_3SumEiiNS0_19lookback_scan_stateIiLb0ELb1EEEEEvT2_T3_mT5_T4_T7_jPT6_SM_bb
		.amdhsa_group_segment_fixed_size 5120
		.amdhsa_private_segment_fixed_size 0
		.amdhsa_kernarg_size 76
		.amdhsa_user_sgpr_count 6
		.amdhsa_user_sgpr_private_segment_buffer 1
		.amdhsa_user_sgpr_dispatch_ptr 0
		.amdhsa_user_sgpr_queue_ptr 0
		.amdhsa_user_sgpr_kernarg_segment_ptr 1
		.amdhsa_user_sgpr_dispatch_id 0
		.amdhsa_user_sgpr_flat_scratch_init 0
		.amdhsa_user_sgpr_kernarg_preload_length 0
		.amdhsa_user_sgpr_kernarg_preload_offset 0
		.amdhsa_user_sgpr_private_segment_size 0
		.amdhsa_uses_dynamic_stack 0
		.amdhsa_system_sgpr_private_segment_wavefront_offset 0
		.amdhsa_system_sgpr_workgroup_id_x 1
		.amdhsa_system_sgpr_workgroup_id_y 0
		.amdhsa_system_sgpr_workgroup_id_z 0
		.amdhsa_system_sgpr_workgroup_info 0
		.amdhsa_system_vgpr_workitem_id 0
		.amdhsa_next_free_vgpr 41
		.amdhsa_next_free_sgpr 28
		.amdhsa_accum_offset 44
		.amdhsa_reserve_vcc 1
		.amdhsa_reserve_flat_scratch 0
		.amdhsa_float_round_mode_32 0
		.amdhsa_float_round_mode_16_64 0
		.amdhsa_float_denorm_mode_32 3
		.amdhsa_float_denorm_mode_16_64 3
		.amdhsa_dx10_clamp 1
		.amdhsa_ieee_mode 1
		.amdhsa_fp16_overflow 0
		.amdhsa_tg_split 0
		.amdhsa_exception_fp_ieee_invalid_op 0
		.amdhsa_exception_fp_denorm_src 0
		.amdhsa_exception_fp_ieee_div_zero 0
		.amdhsa_exception_fp_ieee_overflow 0
		.amdhsa_exception_fp_ieee_underflow 0
		.amdhsa_exception_fp_ieee_inexact 0
		.amdhsa_exception_int_div_zero 0
	.end_amdhsa_kernel
	.section	.text._ZN7rocprim6detail20lookback_scan_kernelILNS0_25lookback_scan_determinismE0ELb1ENS0_19wrapped_scan_configINS_14default_configEiEEN6hipcub22TransformInputIteratorIiNS6_6CastOpIiEEPilEEPlNS6_3SumEiiNS0_19lookback_scan_stateIiLb0ELb1EEEEEvT2_T3_mT5_T4_T7_jPT6_SM_bb,"axG",@progbits,_ZN7rocprim6detail20lookback_scan_kernelILNS0_25lookback_scan_determinismE0ELb1ENS0_19wrapped_scan_configINS_14default_configEiEEN6hipcub22TransformInputIteratorIiNS6_6CastOpIiEEPilEEPlNS6_3SumEiiNS0_19lookback_scan_stateIiLb0ELb1EEEEEvT2_T3_mT5_T4_T7_jPT6_SM_bb,comdat
.Lfunc_end74:
	.size	_ZN7rocprim6detail20lookback_scan_kernelILNS0_25lookback_scan_determinismE0ELb1ENS0_19wrapped_scan_configINS_14default_configEiEEN6hipcub22TransformInputIteratorIiNS6_6CastOpIiEEPilEEPlNS6_3SumEiiNS0_19lookback_scan_stateIiLb0ELb1EEEEEvT2_T3_mT5_T4_T7_jPT6_SM_bb, .Lfunc_end74-_ZN7rocprim6detail20lookback_scan_kernelILNS0_25lookback_scan_determinismE0ELb1ENS0_19wrapped_scan_configINS_14default_configEiEEN6hipcub22TransformInputIteratorIiNS6_6CastOpIiEEPilEEPlNS6_3SumEiiNS0_19lookback_scan_stateIiLb0ELb1EEEEEvT2_T3_mT5_T4_T7_jPT6_SM_bb
                                        ; -- End function
	.section	.AMDGPU.csdata,"",@progbits
; Kernel info:
; codeLenInByte = 4556
; NumSgprs: 32
; NumVgprs: 41
; NumAgprs: 0
; TotalNumVgprs: 41
; ScratchSize: 0
; MemoryBound: 0
; FloatMode: 240
; IeeeMode: 1
; LDSByteSize: 5120 bytes/workgroup (compile time only)
; SGPRBlocks: 3
; VGPRBlocks: 5
; NumSGPRsForWavesPerEU: 32
; NumVGPRsForWavesPerEU: 41
; AccumOffset: 44
; Occupancy: 6
; WaveLimiterHint : 1
; COMPUTE_PGM_RSRC2:SCRATCH_EN: 0
; COMPUTE_PGM_RSRC2:USER_SGPR: 6
; COMPUTE_PGM_RSRC2:TRAP_HANDLER: 0
; COMPUTE_PGM_RSRC2:TGID_X_EN: 1
; COMPUTE_PGM_RSRC2:TGID_Y_EN: 0
; COMPUTE_PGM_RSRC2:TGID_Z_EN: 0
; COMPUTE_PGM_RSRC2:TIDIG_COMP_CNT: 0
; COMPUTE_PGM_RSRC3_GFX90A:ACCUM_OFFSET: 10
; COMPUTE_PGM_RSRC3_GFX90A:TG_SPLIT: 0
	.section	.text._ZN7rocprim6detail18single_scan_kernelILb1ENS0_19wrapped_scan_configINS_14default_configEiEEN6hipcub22TransformInputIteratorIiNS5_6CastOpIiEEPilEEPlNS5_3SumEiiEEvT1_mT4_T2_T3_,"axG",@progbits,_ZN7rocprim6detail18single_scan_kernelILb1ENS0_19wrapped_scan_configINS_14default_configEiEEN6hipcub22TransformInputIteratorIiNS5_6CastOpIiEEPilEEPlNS5_3SumEiiEEvT1_mT4_T2_T3_,comdat
	.protected	_ZN7rocprim6detail18single_scan_kernelILb1ENS0_19wrapped_scan_configINS_14default_configEiEEN6hipcub22TransformInputIteratorIiNS5_6CastOpIiEEPilEEPlNS5_3SumEiiEEvT1_mT4_T2_T3_ ; -- Begin function _ZN7rocprim6detail18single_scan_kernelILb1ENS0_19wrapped_scan_configINS_14default_configEiEEN6hipcub22TransformInputIteratorIiNS5_6CastOpIiEEPilEEPlNS5_3SumEiiEEvT1_mT4_T2_T3_
	.globl	_ZN7rocprim6detail18single_scan_kernelILb1ENS0_19wrapped_scan_configINS_14default_configEiEEN6hipcub22TransformInputIteratorIiNS5_6CastOpIiEEPilEEPlNS5_3SumEiiEEvT1_mT4_T2_T3_
	.p2align	8
	.type	_ZN7rocprim6detail18single_scan_kernelILb1ENS0_19wrapped_scan_configINS_14default_configEiEEN6hipcub22TransformInputIteratorIiNS5_6CastOpIiEEPilEEPlNS5_3SumEiiEEvT1_mT4_T2_T3_,@function
_ZN7rocprim6detail18single_scan_kernelILb1ENS0_19wrapped_scan_configINS_14default_configEiEEN6hipcub22TransformInputIteratorIiNS5_6CastOpIiEEPilEEPlNS5_3SumEiiEEvT1_mT4_T2_T3_: ; @_ZN7rocprim6detail18single_scan_kernelILb1ENS0_19wrapped_scan_configINS_14default_configEiEEN6hipcub22TransformInputIteratorIiNS5_6CastOpIiEEPilEEPlNS5_3SumEiiEEvT1_mT4_T2_T3_
; %bb.0:
	s_load_dwordx2 s[0:1], s[4:5], 0x0
	s_load_dword s22, s[4:5], 0x10
	v_lshlrev_b32_e32 v14, 2, v0
	s_waitcnt lgkmcnt(0)
	s_load_dword s8, s[0:1], 0x0
	v_mov_b32_e32 v1, s1
	v_add_co_u32_e32 v12, vcc, s0, v14
	v_addc_co_u32_e32 v13, vcc, 0, v1, vcc
	s_waitcnt lgkmcnt(0)
	s_mov_b32 s9, s8
	s_mov_b32 s10, s8
	s_mov_b32 s11, s8
	s_mov_b32 s12, s8
	s_mov_b32 s13, s8
	s_mov_b32 s14, s8
	s_mov_b32 s15, s8
	s_mov_b32 s16, s8
	s_mov_b32 s17, s8
	v_pk_mov_b32 v[2:3], s[8:9], s[8:9] op_sel:[0,1]
	v_cmp_gt_u32_e64 s[0:1], s22, v0
	v_pk_mov_b32 v[4:5], s[10:11], s[10:11] op_sel:[0,1]
	v_pk_mov_b32 v[6:7], s[12:13], s[12:13] op_sel:[0,1]
	;; [unrolled: 1-line block ×4, first 2 shown]
	v_mov_b32_e32 v1, s8
	s_and_saveexec_b64 s[2:3], s[0:1]
	s_cbranch_execz .LBB75_2
; %bb.1:
	global_load_dword v1, v[12:13], off
	v_pk_mov_b32 v[2:3], s[8:9], s[8:9] op_sel:[0,1]
	v_pk_mov_b32 v[4:5], s[10:11], s[10:11] op_sel:[0,1]
	;; [unrolled: 1-line block ×5, first 2 shown]
                                        ; kill: def $vgpr2 killed $vgpr1 killed $exec
.LBB75_2:
	s_or_b64 exec, exec, s[2:3]
	v_or_b32_e32 v2, 0x80, v0
	v_cmp_gt_u32_e64 s[2:3], s22, v2
	s_and_saveexec_b64 s[6:7], s[2:3]
	s_cbranch_execz .LBB75_4
; %bb.3:
	global_load_dword v3, v[12:13], off offset:512
.LBB75_4:
	s_or_b64 exec, exec, s[6:7]
	v_or_b32_e32 v2, 0x100, v0
	v_cmp_gt_u32_e64 s[20:21], s22, v2
	s_and_saveexec_b64 s[6:7], s[20:21]
	s_cbranch_execz .LBB75_6
; %bb.5:
	global_load_dword v4, v[12:13], off offset:1024
.LBB75_6:
	;; [unrolled: 8-line block ×7, first 2 shown]
	s_or_b64 exec, exec, s[6:7]
	v_or_b32_e32 v2, 0x400, v0
	v_cmp_gt_u32_e64 s[6:7], s22, v2
	s_and_saveexec_b64 s[14:15], s[6:7]
	s_cbranch_execz .LBB75_18
; %bb.17:
	v_add_co_u32_e32 v16, vcc, 0x1000, v12
	v_addc_co_u32_e32 v17, vcc, 0, v13, vcc
	global_load_dword v10, v[16:17], off
.LBB75_18:
	s_or_b64 exec, exec, s[14:15]
	v_or_b32_e32 v2, 0x480, v0
	v_cmp_gt_u32_e64 s[14:15], s22, v2
	s_and_saveexec_b64 s[22:23], s[14:15]
	s_cbranch_execz .LBB75_20
; %bb.19:
	v_add_co_u32_e32 v12, vcc, 0x1000, v12
	v_addc_co_u32_e32 v13, vcc, 0, v13, vcc
	global_load_dword v11, v[12:13], off offset:512
.LBB75_20:
	s_or_b64 exec, exec, s[22:23]
	s_waitcnt vmcnt(0)
	ds_write2st64_b32 v14, v1, v3 offset1:2
	ds_write2st64_b32 v14, v4, v5 offset0:4 offset1:6
	ds_write2st64_b32 v14, v6, v7 offset0:8 offset1:10
	;; [unrolled: 1-line block ×4, first 2 shown]
	v_mad_u32_u24 v1, v0, 36, v14
	s_waitcnt lgkmcnt(0)
	s_barrier
	ds_read2_b64 v[6:9], v1 offset1:1
	ds_read2_b64 v[2:5], v1 offset0:2 offset1:3
	ds_read_b64 v[10:11], v1 offset:32
	v_cmp_gt_u32_e32 vcc, 64, v0
	s_waitcnt lgkmcnt(0)
	v_add_u32_e32 v1, v7, v6
	v_add3_u32 v1, v1, v8, v9
	v_add3_u32 v1, v1, v2, v3
	;; [unrolled: 1-line block ×4, first 2 shown]
	v_lshrrev_b32_e32 v11, 3, v0
	v_and_b32_e32 v11, 12, v11
	v_add_u32_e32 v11, v14, v11
	s_barrier
	ds_write_b32 v11, v1
	s_waitcnt lgkmcnt(0)
	s_barrier
	s_and_saveexec_b64 s[22:23], vcc
	s_cbranch_execz .LBB75_22
; %bb.21:
	v_lshlrev_b32_e32 v11, 1, v0
	v_lshrrev_b32_e32 v12, 4, v0
	v_add_lshl_u32 v11, v12, v11, 2
	ds_read2_b32 v[12:13], v11 offset1:1
	v_mbcnt_lo_u32_b32 v15, -1, 0
	v_mbcnt_hi_u32_b32 v15, -1, v15
	v_and_b32_e32 v16, 15, v15
	v_cmp_ne_u32_e32 vcc, 0, v16
	s_waitcnt lgkmcnt(0)
	v_add_u32_e32 v17, v13, v12
	s_nop 1
	v_mov_b32_dpp v18, v17 row_shr:1 row_mask:0xf bank_mask:0xf
	v_cndmask_b32_e32 v18, 0, v18, vcc
	v_add_u32_e32 v17, v18, v17
	v_cmp_lt_u32_e32 vcc, 1, v16
	s_nop 0
	v_mov_b32_dpp v18, v17 row_shr:2 row_mask:0xf bank_mask:0xf
	v_cndmask_b32_e32 v18, 0, v18, vcc
	v_add_u32_e32 v17, v17, v18
	v_cmp_lt_u32_e32 vcc, 3, v16
	;; [unrolled: 5-line block ×3, first 2 shown]
	s_nop 0
	v_mov_b32_dpp v18, v17 row_shr:8 row_mask:0xf bank_mask:0xf
	v_cndmask_b32_e32 v16, 0, v18, vcc
	v_add_u32_e32 v16, v17, v16
	v_bfe_i32 v18, v15, 4, 1
	v_cmp_lt_u32_e32 vcc, 31, v15
	v_mov_b32_dpp v17, v16 row_bcast:15 row_mask:0xf bank_mask:0xf
	v_and_b32_e32 v17, v18, v17
	v_add_u32_e32 v16, v16, v17
	v_and_b32_e32 v18, 64, v15
	s_nop 0
	v_mov_b32_dpp v17, v16 row_bcast:31 row_mask:0xf bank_mask:0xf
	v_cndmask_b32_e32 v17, 0, v17, vcc
	v_add_u32_e32 v16, v16, v17
	v_add_u32_e32 v17, -1, v15
	v_cmp_lt_i32_e32 vcc, v17, v18
	v_cndmask_b32_e32 v15, v17, v15, vcc
	v_lshlrev_b32_e32 v15, 2, v15
	ds_bpermute_b32 v15, v15, v16
	v_cmp_eq_u32_e32 vcc, 0, v0
	s_waitcnt lgkmcnt(0)
	v_add_u32_e32 v12, v15, v12
	v_cndmask_b32_e32 v1, v12, v1, vcc
	v_add_u32_e32 v12, v1, v13
	ds_write2_b32 v11, v1, v12 offset1:1
.LBB75_22:
	s_or_b64 exec, exec, s[22:23]
	s_load_dword s24, s[4:5], 0x18
	v_mul_u32_u24_e32 v1, 36, v0
	v_cmp_ne_u32_e32 vcc, 0, v0
	s_waitcnt lgkmcnt(0)
	s_barrier
	v_mov_b32_e32 v12, s24
	s_and_saveexec_b64 s[22:23], vcc
	s_cbranch_execz .LBB75_24
; %bb.23:
	v_add_u32_e32 v11, -1, v0
	v_lshrrev_b32_e32 v12, 5, v11
	v_add_lshl_u32 v11, v12, v11, 2
	ds_read_b32 v11, v11
	s_waitcnt lgkmcnt(0)
	v_add_u32_e32 v12, s24, v11
.LBB75_24:
	s_or_b64 exec, exec, s[22:23]
	v_add_u32_e32 v13, v12, v6
	v_add_u32_e32 v6, v13, v7
	;; [unrolled: 1-line block ×10, first 2 shown]
	s_barrier
	ds_write2_b64 v1, v[12:13], v[6:7] offset1:1
	ds_write2_b64 v1, v[8:9], v[2:3] offset0:2 offset1:3
	ds_write_b64 v1, v[4:5] offset:32
	s_waitcnt lgkmcnt(0)
	s_barrier
	ds_read2st64_b32 v[10:11], v14 offset0:2 offset1:4
	ds_read2st64_b32 v[8:9], v14 offset0:6 offset1:8
	;; [unrolled: 1-line block ×4, first 2 shown]
	ds_read_b32 v2, v14 offset:4608
	s_load_dwordx2 s[4:5], s[4:5], 0x20
	v_lshlrev_b32_e32 v0, 3, v0
	s_waitcnt lgkmcnt(0)
	v_mov_b32_e32 v1, s5
	v_add_co_u32_e32 v0, vcc, s4, v0
	v_addc_co_u32_e32 v1, vcc, 0, v1, vcc
	s_and_saveexec_b64 s[4:5], s[0:1]
	s_cbranch_execnz .LBB75_35
; %bb.25:
	s_or_b64 exec, exec, s[4:5]
	s_and_saveexec_b64 s[0:1], s[2:3]
	s_cbranch_execnz .LBB75_36
.LBB75_26:
	s_or_b64 exec, exec, s[0:1]
	s_and_saveexec_b64 s[0:1], s[20:21]
	s_cbranch_execnz .LBB75_37
.LBB75_27:
	s_or_b64 exec, exec, s[0:1]
	s_and_saveexec_b64 s[0:1], s[10:11]
	s_cbranch_execnz .LBB75_38
.LBB75_28:
	s_or_b64 exec, exec, s[0:1]
	s_and_saveexec_b64 s[0:1], s[18:19]
	s_cbranch_execnz .LBB75_39
.LBB75_29:
	s_or_b64 exec, exec, s[0:1]
	s_and_saveexec_b64 s[0:1], s[16:17]
	s_cbranch_execnz .LBB75_40
.LBB75_30:
	s_or_b64 exec, exec, s[0:1]
	s_and_saveexec_b64 s[0:1], s[12:13]
	s_cbranch_execnz .LBB75_41
.LBB75_31:
	s_or_b64 exec, exec, s[0:1]
	s_and_saveexec_b64 s[0:1], s[8:9]
	s_cbranch_execnz .LBB75_42
.LBB75_32:
	s_or_b64 exec, exec, s[0:1]
	s_and_saveexec_b64 s[0:1], s[6:7]
	s_cbranch_execnz .LBB75_43
.LBB75_33:
	s_or_b64 exec, exec, s[0:1]
	s_and_saveexec_b64 s[0:1], s[14:15]
	s_cbranch_execnz .LBB75_44
.LBB75_34:
	s_endpgm
.LBB75_35:
	ds_read_b32 v12, v14
	s_waitcnt lgkmcnt(0)
	v_ashrrev_i32_e32 v13, 31, v12
	global_store_dwordx2 v[0:1], v[12:13], off
	s_or_b64 exec, exec, s[4:5]
	s_and_saveexec_b64 s[0:1], s[2:3]
	s_cbranch_execz .LBB75_26
.LBB75_36:
	v_ashrrev_i32_e32 v13, 31, v10
	v_mov_b32_e32 v12, v10
	global_store_dwordx2 v[0:1], v[12:13], off offset:1024
	s_or_b64 exec, exec, s[0:1]
	s_and_saveexec_b64 s[0:1], s[20:21]
	s_cbranch_execz .LBB75_27
.LBB75_37:
	v_ashrrev_i32_e32 v13, 31, v11
	v_mov_b32_e32 v12, v11
	global_store_dwordx2 v[0:1], v[12:13], off offset:2048
	s_or_b64 exec, exec, s[0:1]
	s_and_saveexec_b64 s[0:1], s[10:11]
	s_cbranch_execz .LBB75_28
.LBB75_38:
	v_ashrrev_i32_e32 v11, 31, v8
	v_mov_b32_e32 v10, v8
	global_store_dwordx2 v[0:1], v[10:11], off offset:3072
	s_or_b64 exec, exec, s[0:1]
	s_and_saveexec_b64 s[0:1], s[18:19]
	s_cbranch_execz .LBB75_29
.LBB75_39:
	v_add_co_u32_e32 v8, vcc, 0x1000, v0
	v_ashrrev_i32_e32 v11, 31, v9
	v_mov_b32_e32 v10, v9
	v_addc_co_u32_e32 v9, vcc, 0, v1, vcc
	global_store_dwordx2 v[8:9], v[10:11], off
	s_or_b64 exec, exec, s[0:1]
	s_and_saveexec_b64 s[0:1], s[16:17]
	s_cbranch_execz .LBB75_30
.LBB75_40:
	v_add_co_u32_e32 v10, vcc, 0x1000, v0
	v_ashrrev_i32_e32 v9, 31, v6
	v_mov_b32_e32 v8, v6
	v_addc_co_u32_e32 v11, vcc, 0, v1, vcc
	global_store_dwordx2 v[10:11], v[8:9], off offset:1024
	s_or_b64 exec, exec, s[0:1]
	s_and_saveexec_b64 s[0:1], s[12:13]
	s_cbranch_execz .LBB75_31
.LBB75_41:
	v_add_co_u32_e32 v6, vcc, 0x1000, v0
	v_ashrrev_i32_e32 v9, 31, v7
	v_mov_b32_e32 v8, v7
	v_addc_co_u32_e32 v7, vcc, 0, v1, vcc
	global_store_dwordx2 v[6:7], v[8:9], off offset:2048
	s_or_b64 exec, exec, s[0:1]
	s_and_saveexec_b64 s[0:1], s[8:9]
	s_cbranch_execz .LBB75_32
.LBB75_42:
	v_add_co_u32_e32 v8, vcc, 0x1000, v0
	v_ashrrev_i32_e32 v7, 31, v4
	v_mov_b32_e32 v6, v4
	v_addc_co_u32_e32 v9, vcc, 0, v1, vcc
	global_store_dwordx2 v[8:9], v[6:7], off offset:3072
	s_or_b64 exec, exec, s[0:1]
	s_and_saveexec_b64 s[0:1], s[6:7]
	s_cbranch_execz .LBB75_33
.LBB75_43:
	v_add_co_u32_e32 v4, vcc, 0x2000, v0
	v_ashrrev_i32_e32 v7, 31, v5
	v_mov_b32_e32 v6, v5
	v_addc_co_u32_e32 v5, vcc, 0, v1, vcc
	global_store_dwordx2 v[4:5], v[6:7], off
	s_or_b64 exec, exec, s[0:1]
	s_and_saveexec_b64 s[0:1], s[14:15]
	s_cbranch_execz .LBB75_34
.LBB75_44:
	v_add_co_u32_e32 v0, vcc, 0x2000, v0
	v_ashrrev_i32_e32 v3, 31, v2
	v_addc_co_u32_e32 v1, vcc, 0, v1, vcc
	global_store_dwordx2 v[0:1], v[2:3], off offset:1024
	s_endpgm
	.section	.rodata,"a",@progbits
	.p2align	6, 0x0
	.amdhsa_kernel _ZN7rocprim6detail18single_scan_kernelILb1ENS0_19wrapped_scan_configINS_14default_configEiEEN6hipcub22TransformInputIteratorIiNS5_6CastOpIiEEPilEEPlNS5_3SumEiiEEvT1_mT4_T2_T3_
		.amdhsa_group_segment_fixed_size 5120
		.amdhsa_private_segment_fixed_size 0
		.amdhsa_kernarg_size 44
		.amdhsa_user_sgpr_count 6
		.amdhsa_user_sgpr_private_segment_buffer 1
		.amdhsa_user_sgpr_dispatch_ptr 0
		.amdhsa_user_sgpr_queue_ptr 0
		.amdhsa_user_sgpr_kernarg_segment_ptr 1
		.amdhsa_user_sgpr_dispatch_id 0
		.amdhsa_user_sgpr_flat_scratch_init 0
		.amdhsa_user_sgpr_kernarg_preload_length 0
		.amdhsa_user_sgpr_kernarg_preload_offset 0
		.amdhsa_user_sgpr_private_segment_size 0
		.amdhsa_uses_dynamic_stack 0
		.amdhsa_system_sgpr_private_segment_wavefront_offset 0
		.amdhsa_system_sgpr_workgroup_id_x 1
		.amdhsa_system_sgpr_workgroup_id_y 0
		.amdhsa_system_sgpr_workgroup_id_z 0
		.amdhsa_system_sgpr_workgroup_info 0
		.amdhsa_system_vgpr_workitem_id 0
		.amdhsa_next_free_vgpr 19
		.amdhsa_next_free_sgpr 25
		.amdhsa_accum_offset 20
		.amdhsa_reserve_vcc 1
		.amdhsa_reserve_flat_scratch 0
		.amdhsa_float_round_mode_32 0
		.amdhsa_float_round_mode_16_64 0
		.amdhsa_float_denorm_mode_32 3
		.amdhsa_float_denorm_mode_16_64 3
		.amdhsa_dx10_clamp 1
		.amdhsa_ieee_mode 1
		.amdhsa_fp16_overflow 0
		.amdhsa_tg_split 0
		.amdhsa_exception_fp_ieee_invalid_op 0
		.amdhsa_exception_fp_denorm_src 0
		.amdhsa_exception_fp_ieee_div_zero 0
		.amdhsa_exception_fp_ieee_overflow 0
		.amdhsa_exception_fp_ieee_underflow 0
		.amdhsa_exception_fp_ieee_inexact 0
		.amdhsa_exception_int_div_zero 0
	.end_amdhsa_kernel
	.section	.text._ZN7rocprim6detail18single_scan_kernelILb1ENS0_19wrapped_scan_configINS_14default_configEiEEN6hipcub22TransformInputIteratorIiNS5_6CastOpIiEEPilEEPlNS5_3SumEiiEEvT1_mT4_T2_T3_,"axG",@progbits,_ZN7rocprim6detail18single_scan_kernelILb1ENS0_19wrapped_scan_configINS_14default_configEiEEN6hipcub22TransformInputIteratorIiNS5_6CastOpIiEEPilEEPlNS5_3SumEiiEEvT1_mT4_T2_T3_,comdat
.Lfunc_end75:
	.size	_ZN7rocprim6detail18single_scan_kernelILb1ENS0_19wrapped_scan_configINS_14default_configEiEEN6hipcub22TransformInputIteratorIiNS5_6CastOpIiEEPilEEPlNS5_3SumEiiEEvT1_mT4_T2_T3_, .Lfunc_end75-_ZN7rocprim6detail18single_scan_kernelILb1ENS0_19wrapped_scan_configINS_14default_configEiEEN6hipcub22TransformInputIteratorIiNS5_6CastOpIiEEPilEEPlNS5_3SumEiiEEvT1_mT4_T2_T3_
                                        ; -- End function
	.section	.AMDGPU.csdata,"",@progbits
; Kernel info:
; codeLenInByte = 1652
; NumSgprs: 29
; NumVgprs: 19
; NumAgprs: 0
; TotalNumVgprs: 19
; ScratchSize: 0
; MemoryBound: 0
; FloatMode: 240
; IeeeMode: 1
; LDSByteSize: 5120 bytes/workgroup (compile time only)
; SGPRBlocks: 3
; VGPRBlocks: 2
; NumSGPRsForWavesPerEU: 29
; NumVGPRsForWavesPerEU: 19
; AccumOffset: 20
; Occupancy: 6
; WaveLimiterHint : 0
; COMPUTE_PGM_RSRC2:SCRATCH_EN: 0
; COMPUTE_PGM_RSRC2:USER_SGPR: 6
; COMPUTE_PGM_RSRC2:TRAP_HANDLER: 0
; COMPUTE_PGM_RSRC2:TGID_X_EN: 1
; COMPUTE_PGM_RSRC2:TGID_Y_EN: 0
; COMPUTE_PGM_RSRC2:TGID_Z_EN: 0
; COMPUTE_PGM_RSRC2:TIDIG_COMP_CNT: 0
; COMPUTE_PGM_RSRC3_GFX90A:ACCUM_OFFSET: 4
; COMPUTE_PGM_RSRC3_GFX90A:TG_SPLIT: 0
	.section	.text._ZN7rocprim6detail20lookback_scan_kernelILNS0_25lookback_scan_determinismE0ELb1ENS0_19wrapped_scan_configINS_14default_configE6__halfEEPS5_S7_N6hipcub3MaxES5_S5_NS0_19lookback_scan_stateIS5_Lb1ELb1EEEEEvT2_T3_mT5_T4_T7_jPT6_SI_bb,"axG",@progbits,_ZN7rocprim6detail20lookback_scan_kernelILNS0_25lookback_scan_determinismE0ELb1ENS0_19wrapped_scan_configINS_14default_configE6__halfEEPS5_S7_N6hipcub3MaxES5_S5_NS0_19lookback_scan_stateIS5_Lb1ELb1EEEEEvT2_T3_mT5_T4_T7_jPT6_SI_bb,comdat
	.protected	_ZN7rocprim6detail20lookback_scan_kernelILNS0_25lookback_scan_determinismE0ELb1ENS0_19wrapped_scan_configINS_14default_configE6__halfEEPS5_S7_N6hipcub3MaxES5_S5_NS0_19lookback_scan_stateIS5_Lb1ELb1EEEEEvT2_T3_mT5_T4_T7_jPT6_SI_bb ; -- Begin function _ZN7rocprim6detail20lookback_scan_kernelILNS0_25lookback_scan_determinismE0ELb1ENS0_19wrapped_scan_configINS_14default_configE6__halfEEPS5_S7_N6hipcub3MaxES5_S5_NS0_19lookback_scan_stateIS5_Lb1ELb1EEEEEvT2_T3_mT5_T4_T7_jPT6_SI_bb
	.globl	_ZN7rocprim6detail20lookback_scan_kernelILNS0_25lookback_scan_determinismE0ELb1ENS0_19wrapped_scan_configINS_14default_configE6__halfEEPS5_S7_N6hipcub3MaxES5_S5_NS0_19lookback_scan_stateIS5_Lb1ELb1EEEEEvT2_T3_mT5_T4_T7_jPT6_SI_bb
	.p2align	8
	.type	_ZN7rocprim6detail20lookback_scan_kernelILNS0_25lookback_scan_determinismE0ELb1ENS0_19wrapped_scan_configINS_14default_configE6__halfEEPS5_S7_N6hipcub3MaxES5_S5_NS0_19lookback_scan_stateIS5_Lb1ELb1EEEEEvT2_T3_mT5_T4_T7_jPT6_SI_bb,@function
_ZN7rocprim6detail20lookback_scan_kernelILNS0_25lookback_scan_determinismE0ELb1ENS0_19wrapped_scan_configINS_14default_configE6__halfEEPS5_S7_N6hipcub3MaxES5_S5_NS0_19lookback_scan_stateIS5_Lb1ELb1EEEEEvT2_T3_mT5_T4_T7_jPT6_SI_bb: ; @_ZN7rocprim6detail20lookback_scan_kernelILNS0_25lookback_scan_determinismE0ELb1ENS0_19wrapped_scan_configINS_14default_configE6__halfEEPS5_S7_N6hipcub3MaxES5_S5_NS0_19lookback_scan_stateIS5_Lb1ELb1EEEEEvT2_T3_mT5_T4_T7_jPT6_SI_bb
; %bb.0:
	s_endpgm
	.section	.rodata,"a",@progbits
	.p2align	6, 0x0
	.amdhsa_kernel _ZN7rocprim6detail20lookback_scan_kernelILNS0_25lookback_scan_determinismE0ELb1ENS0_19wrapped_scan_configINS_14default_configE6__halfEEPS5_S7_N6hipcub3MaxES5_S5_NS0_19lookback_scan_stateIS5_Lb1ELb1EEEEEvT2_T3_mT5_T4_T7_jPT6_SI_bb
		.amdhsa_group_segment_fixed_size 0
		.amdhsa_private_segment_fixed_size 0
		.amdhsa_kernarg_size 68
		.amdhsa_user_sgpr_count 6
		.amdhsa_user_sgpr_private_segment_buffer 1
		.amdhsa_user_sgpr_dispatch_ptr 0
		.amdhsa_user_sgpr_queue_ptr 0
		.amdhsa_user_sgpr_kernarg_segment_ptr 1
		.amdhsa_user_sgpr_dispatch_id 0
		.amdhsa_user_sgpr_flat_scratch_init 0
		.amdhsa_user_sgpr_kernarg_preload_length 0
		.amdhsa_user_sgpr_kernarg_preload_offset 0
		.amdhsa_user_sgpr_private_segment_size 0
		.amdhsa_uses_dynamic_stack 0
		.amdhsa_system_sgpr_private_segment_wavefront_offset 0
		.amdhsa_system_sgpr_workgroup_id_x 1
		.amdhsa_system_sgpr_workgroup_id_y 0
		.amdhsa_system_sgpr_workgroup_id_z 0
		.amdhsa_system_sgpr_workgroup_info 0
		.amdhsa_system_vgpr_workitem_id 0
		.amdhsa_next_free_vgpr 1
		.amdhsa_next_free_sgpr 0
		.amdhsa_accum_offset 4
		.amdhsa_reserve_vcc 0
		.amdhsa_reserve_flat_scratch 0
		.amdhsa_float_round_mode_32 0
		.amdhsa_float_round_mode_16_64 0
		.amdhsa_float_denorm_mode_32 3
		.amdhsa_float_denorm_mode_16_64 3
		.amdhsa_dx10_clamp 1
		.amdhsa_ieee_mode 1
		.amdhsa_fp16_overflow 0
		.amdhsa_tg_split 0
		.amdhsa_exception_fp_ieee_invalid_op 0
		.amdhsa_exception_fp_denorm_src 0
		.amdhsa_exception_fp_ieee_div_zero 0
		.amdhsa_exception_fp_ieee_overflow 0
		.amdhsa_exception_fp_ieee_underflow 0
		.amdhsa_exception_fp_ieee_inexact 0
		.amdhsa_exception_int_div_zero 0
	.end_amdhsa_kernel
	.section	.text._ZN7rocprim6detail20lookback_scan_kernelILNS0_25lookback_scan_determinismE0ELb1ENS0_19wrapped_scan_configINS_14default_configE6__halfEEPS5_S7_N6hipcub3MaxES5_S5_NS0_19lookback_scan_stateIS5_Lb1ELb1EEEEEvT2_T3_mT5_T4_T7_jPT6_SI_bb,"axG",@progbits,_ZN7rocprim6detail20lookback_scan_kernelILNS0_25lookback_scan_determinismE0ELb1ENS0_19wrapped_scan_configINS_14default_configE6__halfEEPS5_S7_N6hipcub3MaxES5_S5_NS0_19lookback_scan_stateIS5_Lb1ELb1EEEEEvT2_T3_mT5_T4_T7_jPT6_SI_bb,comdat
.Lfunc_end76:
	.size	_ZN7rocprim6detail20lookback_scan_kernelILNS0_25lookback_scan_determinismE0ELb1ENS0_19wrapped_scan_configINS_14default_configE6__halfEEPS5_S7_N6hipcub3MaxES5_S5_NS0_19lookback_scan_stateIS5_Lb1ELb1EEEEEvT2_T3_mT5_T4_T7_jPT6_SI_bb, .Lfunc_end76-_ZN7rocprim6detail20lookback_scan_kernelILNS0_25lookback_scan_determinismE0ELb1ENS0_19wrapped_scan_configINS_14default_configE6__halfEEPS5_S7_N6hipcub3MaxES5_S5_NS0_19lookback_scan_stateIS5_Lb1ELb1EEEEEvT2_T3_mT5_T4_T7_jPT6_SI_bb
                                        ; -- End function
	.section	.AMDGPU.csdata,"",@progbits
; Kernel info:
; codeLenInByte = 4
; NumSgprs: 4
; NumVgprs: 0
; NumAgprs: 0
; TotalNumVgprs: 0
; ScratchSize: 0
; MemoryBound: 0
; FloatMode: 240
; IeeeMode: 1
; LDSByteSize: 0 bytes/workgroup (compile time only)
; SGPRBlocks: 0
; VGPRBlocks: 0
; NumSGPRsForWavesPerEU: 4
; NumVGPRsForWavesPerEU: 1
; AccumOffset: 4
; Occupancy: 8
; WaveLimiterHint : 0
; COMPUTE_PGM_RSRC2:SCRATCH_EN: 0
; COMPUTE_PGM_RSRC2:USER_SGPR: 6
; COMPUTE_PGM_RSRC2:TRAP_HANDLER: 0
; COMPUTE_PGM_RSRC2:TGID_X_EN: 1
; COMPUTE_PGM_RSRC2:TGID_Y_EN: 0
; COMPUTE_PGM_RSRC2:TGID_Z_EN: 0
; COMPUTE_PGM_RSRC2:TIDIG_COMP_CNT: 0
; COMPUTE_PGM_RSRC3_GFX90A:ACCUM_OFFSET: 0
; COMPUTE_PGM_RSRC3_GFX90A:TG_SPLIT: 0
	.section	.text._ZN7rocprim6detail20lookback_scan_kernelILNS0_25lookback_scan_determinismE0ELb1ENS0_19wrapped_scan_configINS_14default_configE6__halfEEPS5_S7_N6hipcub3MaxES5_S5_NS0_19lookback_scan_stateIS5_Lb0ELb1EEEEEvT2_T3_mT5_T4_T7_jPT6_SI_bb,"axG",@progbits,_ZN7rocprim6detail20lookback_scan_kernelILNS0_25lookback_scan_determinismE0ELb1ENS0_19wrapped_scan_configINS_14default_configE6__halfEEPS5_S7_N6hipcub3MaxES5_S5_NS0_19lookback_scan_stateIS5_Lb0ELb1EEEEEvT2_T3_mT5_T4_T7_jPT6_SI_bb,comdat
	.protected	_ZN7rocprim6detail20lookback_scan_kernelILNS0_25lookback_scan_determinismE0ELb1ENS0_19wrapped_scan_configINS_14default_configE6__halfEEPS5_S7_N6hipcub3MaxES5_S5_NS0_19lookback_scan_stateIS5_Lb0ELb1EEEEEvT2_T3_mT5_T4_T7_jPT6_SI_bb ; -- Begin function _ZN7rocprim6detail20lookback_scan_kernelILNS0_25lookback_scan_determinismE0ELb1ENS0_19wrapped_scan_configINS_14default_configE6__halfEEPS5_S7_N6hipcub3MaxES5_S5_NS0_19lookback_scan_stateIS5_Lb0ELb1EEEEEvT2_T3_mT5_T4_T7_jPT6_SI_bb
	.globl	_ZN7rocprim6detail20lookback_scan_kernelILNS0_25lookback_scan_determinismE0ELb1ENS0_19wrapped_scan_configINS_14default_configE6__halfEEPS5_S7_N6hipcub3MaxES5_S5_NS0_19lookback_scan_stateIS5_Lb0ELb1EEEEEvT2_T3_mT5_T4_T7_jPT6_SI_bb
	.p2align	8
	.type	_ZN7rocprim6detail20lookback_scan_kernelILNS0_25lookback_scan_determinismE0ELb1ENS0_19wrapped_scan_configINS_14default_configE6__halfEEPS5_S7_N6hipcub3MaxES5_S5_NS0_19lookback_scan_stateIS5_Lb0ELb1EEEEEvT2_T3_mT5_T4_T7_jPT6_SI_bb,@function
_ZN7rocprim6detail20lookback_scan_kernelILNS0_25lookback_scan_determinismE0ELb1ENS0_19wrapped_scan_configINS_14default_configE6__halfEEPS5_S7_N6hipcub3MaxES5_S5_NS0_19lookback_scan_stateIS5_Lb0ELb1EEEEEvT2_T3_mT5_T4_T7_jPT6_SI_bb: ; @_ZN7rocprim6detail20lookback_scan_kernelILNS0_25lookback_scan_determinismE0ELb1ENS0_19wrapped_scan_configINS_14default_configE6__halfEEPS5_S7_N6hipcub3MaxES5_S5_NS0_19lookback_scan_stateIS5_Lb0ELb1EEEEEvT2_T3_mT5_T4_T7_jPT6_SI_bb
; %bb.0:
	s_load_dword s3, s[4:5], 0x28
	s_load_dwordx4 s[20:23], s[4:5], 0x0
	s_load_dwordx2 s[0:1], s[4:5], 0x10
	s_mul_i32 s2, s6, 0x600
	v_lshlrev_b32_e32 v20, 1, v0
	s_waitcnt lgkmcnt(0)
	s_add_i32 s7, s3, -1
	s_mul_i32 s8, s7, 0x600
	s_sub_u32 s30, s0, s8
	s_subb_u32 s31, s1, 0
	s_mov_b32 s3, 0
	s_cmp_lg_u32 s6, s7
	s_cselect_b64 s[18:19], -1, 0
	s_lshl_b64 s[24:25], s[2:3], 1
	s_add_u32 s2, s20, s24
	s_addc_u32 s3, s21, s25
	s_mov_b64 s[0:1], -1
	s_and_b64 vcc, exec, s[18:19]
	s_cbranch_vccz .LBB77_2
; %bb.1:
	global_load_ushort v1, v20, s[2:3]
	global_load_ushort v2, v20, s[2:3] offset:128
	global_load_ushort v3, v20, s[2:3] offset:256
	;; [unrolled: 1-line block ×23, first 2 shown]
	s_mov_b64 s[0:1], 0
	s_waitcnt vmcnt(23)
	ds_write_b16 v20, v1
	s_waitcnt vmcnt(22)
	ds_write_b16 v20, v2 offset:128
	s_waitcnt vmcnt(21)
	ds_write_b16 v20, v3 offset:256
	;; [unrolled: 2-line block ×23, first 2 shown]
	s_waitcnt lgkmcnt(0)
	; wave barrier
.LBB77_2:
	s_andn2_b64 vcc, exec, s[0:1]
	v_cmp_gt_u32_e64 s[0:1], s30, v0
	s_cbranch_vccnz .LBB77_52
; %bb.3:
	v_mov_b32_e32 v1, 0
	global_load_ushort v1, v1, s[2:3]
	v_mov_b32_e32 v3, s3
	v_add_co_u32_e32 v2, vcc, s2, v20
	v_addc_co_u32_e32 v3, vcc, 0, v3, vcc
	s_waitcnt vmcnt(0)
	v_mov_b32_e32 v4, v1
	s_and_saveexec_b64 s[2:3], s[0:1]
	s_cbranch_execz .LBB77_5
; %bb.4:
	global_load_ushort v4, v[2:3], off
.LBB77_5:
	s_or_b64 exec, exec, s[2:3]
	v_or_b32_e32 v5, 64, v0
	v_cmp_gt_u32_e32 vcc, s30, v5
	v_mov_b32_e32 v5, v1
	s_and_saveexec_b64 s[0:1], vcc
	s_cbranch_execz .LBB77_7
; %bb.6:
	global_load_ushort v5, v[2:3], off offset:128
.LBB77_7:
	s_or_b64 exec, exec, s[0:1]
	v_or_b32_e32 v6, 0x80, v0
	v_cmp_gt_u32_e32 vcc, s30, v6
	v_mov_b32_e32 v6, v1
	s_and_saveexec_b64 s[0:1], vcc
	s_cbranch_execz .LBB77_9
; %bb.8:
	global_load_ushort v6, v[2:3], off offset:256
.LBB77_9:
	;; [unrolled: 9-line block ×22, first 2 shown]
	s_or_b64 exec, exec, s[0:1]
	v_or_b32_e32 v28, 0x5c0, v0
	v_cmp_gt_u32_e32 vcc, s30, v28
	s_and_saveexec_b64 s[0:1], vcc
	s_cbranch_execz .LBB77_51
; %bb.50:
	global_load_ushort v1, v[2:3], off offset:2944
.LBB77_51:
	s_or_b64 exec, exec, s[0:1]
	s_waitcnt vmcnt(0)
	ds_write_b16 v20, v4
	ds_write_b16 v20, v5 offset:128
	ds_write_b16 v20, v6 offset:256
	;; [unrolled: 1-line block ×23, first 2 shown]
	s_waitcnt lgkmcnt(0)
	; wave barrier
.LBB77_52:
	v_mul_u32_u24_e32 v21, 24, v0
	v_lshlrev_b32_e32 v22, 1, v21
	s_waitcnt lgkmcnt(0)
	ds_read_b128 v[10:13], v22
	ds_read_b128 v[6:9], v22 offset:16
	ds_read_b128 v[2:5], v22 offset:32
	s_load_dwordx2 s[26:27], s[4:5], 0x20
	s_cmp_lg_u32 s6, 0
	v_mbcnt_lo_u32_b32 v34, -1, 0
	s_waitcnt lgkmcnt(0)
	v_lshrrev_b32_e32 v32, 16, v10
	v_lshrrev_b32_e32 v31, 16, v11
	v_lshrrev_b32_e32 v30, 16, v12
	v_lshrrev_b32_e32 v29, 16, v13
	v_lshrrev_b32_e32 v28, 16, v6
	v_lshrrev_b32_e32 v27, 16, v7
	v_lshrrev_b32_e32 v26, 16, v8
	v_lshrrev_b32_e32 v25, 16, v9
	v_lshrrev_b32_e32 v24, 16, v2
	v_lshrrev_b32_e32 v23, 16, v3
	v_lshrrev_b32_e32 v1, 16, v4
	v_lshrrev_b32_e32 v33, 16, v5
	v_cmp_lt_f16_e64 s[0:1], v10, v32
	v_cmp_eq_u32_e32 vcc, 63, v0
	s_waitcnt lgkmcnt(0)
	; wave barrier
	s_cbranch_scc0 .LBB77_75
; %bb.53:
	v_cndmask_b32_e64 v14, v10, v32, s[0:1]
	v_cmp_lt_f16_e64 s[0:1], v14, v11
	v_cndmask_b32_e64 v14, v14, v11, s[0:1]
	v_cmp_lt_f16_e64 s[0:1], v14, v31
	;; [unrolled: 2-line block ×22, first 2 shown]
	v_cndmask_b32_e64 v14, v14, v33, s[0:1]
	v_mbcnt_hi_u32_b32 v15, -1, v34
	v_and_b32_e32 v17, 0xffff, v14
	v_and_b32_e32 v16, 15, v15
	v_cmp_eq_u32_e64 s[0:1], 0, v16
	v_mov_b32_dpp v17, v17 row_shr:1 row_mask:0xf bank_mask:0xf
	v_cmp_gt_f16_e64 s[2:3], v14, v17
	s_or_b64 s[0:1], s[0:1], s[2:3]
	v_cndmask_b32_e64 v14, v17, v14, s[0:1]
	v_and_b32_e32 v17, 0xffff, v14
	s_nop 1
	v_mov_b32_dpp v17, v17 row_shr:2 row_mask:0xf bank_mask:0xf
	v_cmp_gt_f16_e64 s[0:1], v14, v17
	v_cndmask_b32_e64 v17, v17, v14, s[0:1]
	v_cmp_lt_u32_e64 s[0:1], 1, v16
	v_cndmask_b32_e64 v14, v14, v17, s[0:1]
	v_and_b32_e32 v17, 0xffff, v14
	s_nop 1
	v_mov_b32_dpp v17, v17 row_shr:4 row_mask:0xf bank_mask:0xf
	v_cmp_gt_f16_e64 s[0:1], v14, v17
	v_cndmask_b32_e64 v17, v17, v14, s[0:1]
	v_cmp_lt_u32_e64 s[0:1], 3, v16
	;; [unrolled: 7-line block ×3, first 2 shown]
	v_cndmask_b32_e64 v14, v14, v17, s[0:1]
	v_and_b32_e32 v16, 0xffff, v14
	v_and_b32_e32 v17, 16, v15
	v_cmp_eq_u32_e64 s[0:1], 0, v17
	v_mov_b32_dpp v16, v16 row_bcast:15 row_mask:0xf bank_mask:0xf
	v_cmp_gt_f16_e64 s[2:3], v14, v16
	s_or_b64 s[0:1], s[0:1], s[2:3]
	v_cndmask_b32_e64 v14, v16, v14, s[0:1]
	v_and_b32_e32 v16, 0xffff, v14
	s_nop 1
	v_mov_b32_dpp v16, v16 row_bcast:31 row_mask:0xf bank_mask:0xf
	v_cmp_gt_f16_e64 s[0:1], v14, v16
	v_cndmask_b32_e64 v16, v16, v14, s[0:1]
	v_cmp_lt_u32_e64 s[0:1], 31, v15
	v_cndmask_b32_e64 v14, v14, v16, s[0:1]
	s_and_saveexec_b64 s[0:1], vcc
	s_cbranch_execz .LBB77_55
; %bb.54:
	v_mov_b32_e32 v16, 0
	ds_write_b16 v16, v14
.LBB77_55:
	s_or_b64 exec, exec, s[0:1]
	v_add_u32_e32 v16, -1, v15
	v_and_b32_e32 v17, 64, v15
	v_cmp_lt_i32_e32 vcc, v16, v17
	v_cndmask_b32_e32 v16, v16, v15, vcc
	v_and_b32_e32 v14, 0xffff, v14
	v_lshlrev_b32_e32 v16, 2, v16
	ds_bpermute_b32 v35, v16, v14
	v_cmp_gt_u32_e32 vcc, 64, v0
	s_waitcnt lgkmcnt(0)
	; wave barrier
	s_waitcnt lgkmcnt(0)
	s_and_saveexec_b64 s[28:29], vcc
	s_cbranch_execz .LBB77_74
; %bb.56:
	v_mov_b32_e32 v17, 0
	ds_read_u16 v36, v17
	s_mov_b32 s9, 0
	v_cmp_eq_u32_e64 s[0:1], 0, v15
	s_and_saveexec_b64 s[2:3], s[0:1]
	s_cbranch_execz .LBB77_58
; %bb.57:
	s_add_i32 s8, s6, 64
	s_lshl_b64 s[8:9], s[8:9], 2
	s_add_u32 s8, s26, s8
	s_mov_b32 s7, 0x10000
	s_addc_u32 s9, s27, s9
	s_waitcnt lgkmcnt(0)
	v_or_b32_sdwa v14, v36, s7 dst_sel:DWORD dst_unused:UNUSED_PAD src0_sel:WORD_0 src1_sel:DWORD
	global_store_dword v17, v14, s[8:9]
.LBB77_58:
	s_or_b64 exec, exec, s[2:3]
	v_xad_u32 v14, v15, -1, s6
	v_add_u32_e32 v16, 64, v14
	v_lshlrev_b64 v[18:19], 2, v[16:17]
	v_mov_b32_e32 v16, s27
	v_add_co_u32_e32 v18, vcc, s26, v18
	v_addc_co_u32_e32 v19, vcc, v16, v19, vcc
	global_load_dword v49, v[18:19], off glc
	s_waitcnt vmcnt(0)
	v_lshrrev_b32_e32 v38, 16, v49
	v_cmp_eq_u16_sdwa s[8:9], v38, v17 src0_sel:BYTE_0 src1_sel:DWORD
	s_and_saveexec_b64 s[2:3], s[8:9]
	s_cbranch_execz .LBB77_62
; %bb.59:
	s_mov_b64 s[8:9], 0
	v_mov_b32_e32 v16, 0
.LBB77_60:                              ; =>This Inner Loop Header: Depth=1
	global_load_dword v49, v[18:19], off glc
	s_waitcnt vmcnt(0)
	v_lshrrev_b32_e32 v38, 16, v49
	v_cmp_ne_u16_sdwa s[10:11], v38, v16 src0_sel:BYTE_0 src1_sel:DWORD
	s_or_b64 s[8:9], s[10:11], s[8:9]
	s_andn2_b64 exec, exec, s[8:9]
	s_cbranch_execnz .LBB77_60
; %bb.61:
	s_or_b64 exec, exec, s[8:9]
.LBB77_62:
	s_or_b64 exec, exec, s[2:3]
	v_and_b32_e32 v50, 63, v15
	v_cmp_ne_u32_e32 vcc, 63, v50
	v_addc_co_u32_e32 v39, vcc, 0, v15, vcc
	v_and_b32_e32 v41, 0xffff, v49
	v_lshlrev_b32_e32 v39, 2, v39
	v_mov_b32_e32 v37, 2
	ds_bpermute_b32 v42, v39, v41
	v_cmp_eq_u16_sdwa s[2:3], v38, v37 src0_sel:BYTE_0 src1_sel:DWORD
	v_lshlrev_b64 v[16:17], v15, -1
	v_and_b32_e32 v18, s3, v17
	v_or_b32_e32 v18, 0x80000000, v18
	v_and_b32_e32 v19, s2, v16
	v_ffbl_b32_e32 v18, v18
	v_add_u32_e32 v18, 32, v18
	v_ffbl_b32_e32 v19, v19
	s_waitcnt lgkmcnt(0)
	v_cmp_gt_f16_e32 vcc, v49, v42
	v_min_u32_e32 v18, v19, v18
	v_add_u32_e32 v40, 1, v15
	v_cndmask_b32_e32 v19, v42, v49, vcc
	v_and_b32_e32 v42, 0xffff, v19
	v_cmp_le_u32_e32 vcc, v40, v18
	v_cmp_gt_u32_e64 s[2:3], 62, v50
	v_cndmask_b32_e32 v43, v41, v42, vcc
	v_cndmask_b32_e64 v41, 0, 1, s[2:3]
	v_lshlrev_b32_e32 v41, 1, v41
	v_add_lshl_u32 v41, v41, v15, 2
	ds_bpermute_b32 v44, v41, v43
	v_cndmask_b32_e32 v19, v49, v19, vcc
	v_add_u32_e32 v42, 2, v15
	v_cmp_gt_u32_e64 s[8:9], 60, v50
	v_cmp_gt_u32_e64 s[10:11], 56, v50
	s_waitcnt lgkmcnt(0)
	v_cmp_gt_f16_e64 s[2:3], v19, v44
	v_cndmask_b32_e64 v44, v44, v19, s[2:3]
	v_and_b32_e32 v45, 0xffff, v44
	v_cmp_le_u32_e64 s[2:3], v42, v18
	v_cndmask_b32_e64 v45, v43, v45, s[2:3]
	v_cndmask_b32_e64 v43, 0, 1, s[8:9]
	v_lshlrev_b32_e32 v43, 2, v43
	v_add_lshl_u32 v43, v43, v15, 2
	ds_bpermute_b32 v46, v43, v45
	v_cndmask_b32_e64 v19, v19, v44, s[2:3]
	v_add_u32_e32 v44, 4, v15
	v_cmp_gt_u32_e64 s[12:13], 48, v50
	v_cmp_gt_u32_e64 s[14:15], 32, v50
	s_waitcnt lgkmcnt(0)
	v_cmp_gt_f16_e64 s[8:9], v19, v46
	v_cndmask_b32_e64 v46, v46, v19, s[8:9]
	v_and_b32_e32 v47, 0xffff, v46
	v_cmp_le_u32_e64 s[8:9], v44, v18
	v_cndmask_b32_e64 v47, v45, v47, s[8:9]
	v_cndmask_b32_e64 v45, 0, 1, s[10:11]
	v_lshlrev_b32_e32 v45, 3, v45
	v_add_lshl_u32 v45, v45, v15, 2
	ds_bpermute_b32 v48, v45, v47
	v_cndmask_b32_e64 v19, v19, v46, s[8:9]
	v_add_u32_e32 v46, 8, v15
	v_cndmask_b32_e64 v50, 0, 1, s[14:15]
	v_lshlrev_b32_e32 v50, 5, v50
	s_waitcnt lgkmcnt(0)
	v_cmp_gt_f16_e64 s[10:11], v19, v48
	v_cndmask_b32_e64 v48, v48, v19, s[10:11]
	v_and_b32_e32 v51, 0xffff, v48
	v_cmp_le_u32_e64 s[10:11], v46, v18
	v_cndmask_b32_e64 v51, v47, v51, s[10:11]
	v_cndmask_b32_e64 v47, 0, 1, s[12:13]
	v_lshlrev_b32_e32 v47, 4, v47
	v_add_lshl_u32 v47, v47, v15, 2
	ds_bpermute_b32 v52, v47, v51
	v_cndmask_b32_e64 v19, v19, v48, s[10:11]
	v_add_u32_e32 v48, 16, v15
	v_add_lshl_u32 v50, v50, v15, 2
	s_waitcnt lgkmcnt(0)
	v_cmp_gt_f16_e64 s[12:13], v19, v52
	v_cndmask_b32_e64 v52, v52, v19, s[12:13]
	v_and_b32_e32 v53, 0xffff, v52
	v_cmp_le_u32_e64 s[12:13], v48, v18
	v_cndmask_b32_e64 v51, v51, v53, s[12:13]
	ds_bpermute_b32 v53, v50, v51
	v_add_u32_e32 v51, 32, v15
	v_cmp_le_u32_e64 s[16:17], v51, v18
	s_or_b64 s[2:3], s[2:3], s[16:17]
	s_or_b64 s[2:3], vcc, s[2:3]
	v_cndmask_b32_e64 v15, v19, v52, s[12:13]
	v_cmp_gt_u32_e64 s[14:15], v51, v18
	s_or_b64 s[2:3], s[8:9], s[2:3]
	s_waitcnt lgkmcnt(0)
	v_cmp_gt_f16_e32 vcc, v15, v53
	s_or_b64 s[2:3], s[10:11], s[2:3]
	s_or_b64 vcc, s[14:15], vcc
	v_cndmask_b32_e32 v15, v53, v15, vcc
	s_or_b64 vcc, s[12:13], s[2:3]
	v_cndmask_b32_e32 v18, v49, v15, vcc
	v_mov_b32_e32 v15, 0
	s_branch .LBB77_64
.LBB77_63:                              ;   in Loop: Header=BB77_64 Depth=1
	s_or_b64 exec, exec, s[2:3]
	v_and_b32_e32 v53, 0xffff, v52
	ds_bpermute_b32 v54, v39, v53
	v_cmp_eq_u16_sdwa s[2:3], v38, v37 src0_sel:BYTE_0 src1_sel:DWORD
	v_and_b32_e32 v18, s3, v17
	v_or_b32_e32 v18, 0x80000000, v18
	v_and_b32_e32 v19, s2, v16
	v_ffbl_b32_e32 v18, v18
	v_add_u32_e32 v18, 32, v18
	v_ffbl_b32_e32 v19, v19
	s_waitcnt lgkmcnt(0)
	v_cmp_gt_f16_e32 vcc, v52, v54
	v_min_u32_e32 v18, v19, v18
	v_cndmask_b32_e32 v19, v54, v52, vcc
	v_and_b32_e32 v54, 0xffff, v19
	v_cmp_le_u32_e32 vcc, v40, v18
	v_cndmask_b32_e32 v53, v53, v54, vcc
	ds_bpermute_b32 v54, v41, v53
	v_cndmask_b32_e32 v19, v52, v19, vcc
	v_cmp_le_u32_e64 s[16:17], v51, v18
	v_cmp_gt_u32_e64 s[14:15], v51, v18
	v_subrev_u32_e32 v14, 64, v14
	s_waitcnt lgkmcnt(0)
	v_cmp_gt_f16_e64 s[2:3], v19, v54
	v_cndmask_b32_e64 v54, v54, v19, s[2:3]
	v_and_b32_e32 v55, 0xffff, v54
	v_cmp_le_u32_e64 s[2:3], v42, v18
	v_cndmask_b32_e64 v53, v53, v55, s[2:3]
	ds_bpermute_b32 v55, v43, v53
	v_cndmask_b32_e64 v19, v19, v54, s[2:3]
	s_or_b64 s[2:3], s[2:3], s[16:17]
	s_or_b64 s[2:3], vcc, s[2:3]
	s_waitcnt lgkmcnt(0)
	v_cmp_gt_f16_e64 s[8:9], v19, v55
	v_cndmask_b32_e64 v54, v55, v19, s[8:9]
	v_and_b32_e32 v55, 0xffff, v54
	v_cmp_le_u32_e64 s[8:9], v44, v18
	v_cndmask_b32_e64 v53, v53, v55, s[8:9]
	ds_bpermute_b32 v55, v45, v53
	v_cndmask_b32_e64 v19, v19, v54, s[8:9]
	s_or_b64 s[2:3], s[8:9], s[2:3]
	s_waitcnt lgkmcnt(0)
	v_cmp_gt_f16_e64 s[10:11], v19, v55
	v_cndmask_b32_e64 v54, v55, v19, s[10:11]
	v_and_b32_e32 v55, 0xffff, v54
	v_cmp_le_u32_e64 s[10:11], v46, v18
	v_cndmask_b32_e64 v53, v53, v55, s[10:11]
	ds_bpermute_b32 v55, v47, v53
	v_cndmask_b32_e64 v19, v19, v54, s[10:11]
	s_or_b64 s[2:3], s[10:11], s[2:3]
	s_waitcnt lgkmcnt(0)
	v_cmp_gt_f16_e64 s[12:13], v19, v55
	v_cndmask_b32_e64 v54, v55, v19, s[12:13]
	v_and_b32_e32 v55, 0xffff, v54
	v_cmp_le_u32_e64 s[12:13], v48, v18
	v_cndmask_b32_e64 v53, v53, v55, s[12:13]
	ds_bpermute_b32 v53, v50, v53
	v_cndmask_b32_e64 v18, v19, v54, s[12:13]
	s_waitcnt lgkmcnt(0)
	v_cmp_gt_f16_e32 vcc, v18, v53
	s_or_b64 vcc, s[14:15], vcc
	v_cndmask_b32_e32 v18, v53, v18, vcc
	s_or_b64 vcc, s[12:13], s[2:3]
	v_cndmask_b32_e32 v18, v52, v18, vcc
	v_cmp_lt_f16_e32 vcc, v18, v49
	v_cndmask_b32_e32 v18, v18, v49, vcc
.LBB77_64:                              ; =>This Loop Header: Depth=1
                                        ;     Child Loop BB77_67 Depth 2
	v_cmp_ne_u16_sdwa s[2:3], v38, v37 src0_sel:BYTE_0 src1_sel:DWORD
	v_cndmask_b32_e64 v19, 0, 1, s[2:3]
	;;#ASMSTART
	;;#ASMEND
	v_cmp_ne_u32_e32 vcc, 0, v19
	s_cmp_lg_u64 vcc, exec
	v_mov_b32_e32 v49, v18
	s_cbranch_scc1 .LBB77_69
; %bb.65:                               ;   in Loop: Header=BB77_64 Depth=1
	v_lshlrev_b64 v[18:19], 2, v[14:15]
	v_mov_b32_e32 v38, s27
	v_add_co_u32_e32 v18, vcc, s26, v18
	v_addc_co_u32_e32 v19, vcc, v38, v19, vcc
	global_load_dword v52, v[18:19], off glc
	s_waitcnt vmcnt(0)
	v_lshrrev_b32_e32 v38, 16, v52
	v_cmp_eq_u16_sdwa s[8:9], v38, v15 src0_sel:BYTE_0 src1_sel:DWORD
	s_and_saveexec_b64 s[2:3], s[8:9]
	s_cbranch_execz .LBB77_63
; %bb.66:                               ;   in Loop: Header=BB77_64 Depth=1
	s_mov_b64 s[8:9], 0
.LBB77_67:                              ;   Parent Loop BB77_64 Depth=1
                                        ; =>  This Inner Loop Header: Depth=2
	global_load_dword v52, v[18:19], off glc
	s_waitcnt vmcnt(0)
	v_lshrrev_b32_e32 v38, 16, v52
	v_cmp_ne_u16_sdwa s[10:11], v38, v15 src0_sel:BYTE_0 src1_sel:DWORD
	s_or_b64 s[8:9], s[10:11], s[8:9]
	s_andn2_b64 exec, exec, s[8:9]
	s_cbranch_execnz .LBB77_67
; %bb.68:                               ;   in Loop: Header=BB77_64 Depth=1
	s_or_b64 exec, exec, s[8:9]
	s_branch .LBB77_63
.LBB77_69:                              ;   in Loop: Header=BB77_64 Depth=1
                                        ; implicit-def: $vgpr18
                                        ; implicit-def: $vgpr38
	s_cbranch_execz .LBB77_64
; %bb.70:
	s_and_saveexec_b64 s[2:3], s[0:1]
	s_cbranch_execz .LBB77_72
; %bb.71:
	s_add_i32 s0, s6, 64
	s_mov_b32 s1, 0
	s_lshl_b64 s[0:1], s[0:1], 2
	v_cmp_lt_f16_e32 vcc, v49, v36
	s_add_u32 s0, s26, s0
	v_cndmask_b32_e32 v15, v49, v36, vcc
	s_mov_b32 s6, 0x20000
	s_addc_u32 s1, s27, s1
	v_mov_b32_e32 v14, 0
	v_or_b32_sdwa v15, v15, s6 dst_sel:DWORD dst_unused:UNUSED_PAD src0_sel:WORD_0 src1_sel:DWORD
	global_store_dword v14, v15, s[0:1]
.LBB77_72:
	s_or_b64 exec, exec, s[2:3]
	v_cmp_eq_u32_e32 vcc, 0, v0
	s_and_b64 exec, exec, vcc
	s_cbranch_execz .LBB77_74
; %bb.73:
	v_mov_b32_e32 v14, 0
	ds_write_b16 v14, v49
.LBB77_74:
	s_or_b64 exec, exec, s[28:29]
	v_mov_b32_e32 v14, 0
	s_waitcnt lgkmcnt(0)
	; wave barrier
	s_waitcnt lgkmcnt(0)
	ds_read_u16 v14, v14
	s_waitcnt lgkmcnt(0)
	v_cmp_lt_f16_e32 vcc, v14, v35
	v_cndmask_b32_e32 v15, v14, v35, vcc
	v_cmp_eq_u32_e32 vcc, 0, v0
	v_cndmask_b32_e32 v15, v15, v14, vcc
	v_cmp_lt_f16_e32 vcc, v15, v10
	v_cndmask_b32_e32 v14, v15, v10, vcc
	v_cmp_lt_f16_e32 vcc, v14, v32
	;; [unrolled: 2-line block ×23, first 2 shown]
	v_cndmask_b32_e32 v52, v51, v5, vcc
	s_load_dwordx4 s[0:3], s[4:5], 0x30
	s_branch .LBB77_83
.LBB77_75:
                                        ; implicit-def: $vgpr15
                                        ; implicit-def: $vgpr14
                                        ; implicit-def: $vgpr16
                                        ; implicit-def: $vgpr17
                                        ; implicit-def: $vgpr18
                                        ; implicit-def: $vgpr19
                                        ; implicit-def: $vgpr36
                                        ; implicit-def: $vgpr38
                                        ; implicit-def: $vgpr35
                                        ; implicit-def: $vgpr37
                                        ; implicit-def: $vgpr39
                                        ; implicit-def: $vgpr40
                                        ; implicit-def: $vgpr41
                                        ; implicit-def: $vgpr42
                                        ; implicit-def: $vgpr44
                                        ; implicit-def: $vgpr46
                                        ; implicit-def: $vgpr43
                                        ; implicit-def: $vgpr45
                                        ; implicit-def: $vgpr47
                                        ; implicit-def: $vgpr48
                                        ; implicit-def: $vgpr49
                                        ; implicit-def: $vgpr50
                                        ; implicit-def: $vgpr51
                                        ; implicit-def: $vgpr52
	s_load_dwordx4 s[0:3], s[4:5], 0x30
	s_cbranch_execz .LBB77_83
; %bb.76:
	s_load_dword s6, s[4:5], 0x40
	s_load_dword s7, s[4:5], 0x18
	s_waitcnt lgkmcnt(0)
	s_bitcmp0_b32 s6, 0
	v_mov_b32_e32 v52, s7
	s_cbranch_scc1 .LBB77_78
; %bb.77:
	v_mov_b32_e32 v14, 0
	global_load_ushort v15, v14, s[20:21] offset:-2
	global_load_ushort v16, v14, s[0:1]
	s_waitcnt vmcnt(0)
	v_cmp_lt_f16_e32 vcc, v16, v15
	v_cndmask_b32_e32 v52, v16, v15, vcc
.LBB77_78:
	v_cmp_lt_f16_e32 vcc, v10, v32
	v_cndmask_b32_e32 v14, v10, v32, vcc
	v_cmp_lt_f16_e32 vcc, v14, v11
	v_cndmask_b32_e32 v14, v14, v11, vcc
	;; [unrolled: 2-line block ×23, first 2 shown]
	v_mbcnt_hi_u32_b32 v14, -1, v34
	v_and_b32_e32 v17, 0xffff, v15
	v_and_b32_e32 v16, 15, v14
	v_cmp_eq_u32_e32 vcc, 0, v16
	v_mov_b32_dpp v17, v17 row_shr:1 row_mask:0xf bank_mask:0xf
	v_cmp_gt_f16_e64 s[0:1], v15, v17
	s_or_b64 vcc, vcc, s[0:1]
	v_cndmask_b32_e32 v15, v17, v15, vcc
	v_and_b32_e32 v17, 0xffff, v15
	s_nop 1
	v_mov_b32_dpp v17, v17 row_shr:2 row_mask:0xf bank_mask:0xf
	v_cmp_gt_f16_e32 vcc, v15, v17
	v_cndmask_b32_e32 v17, v17, v15, vcc
	v_cmp_lt_u32_e32 vcc, 1, v16
	v_cndmask_b32_e32 v15, v15, v17, vcc
	v_and_b32_e32 v17, 0xffff, v15
	s_nop 1
	v_mov_b32_dpp v17, v17 row_shr:4 row_mask:0xf bank_mask:0xf
	v_cmp_gt_f16_e32 vcc, v15, v17
	v_cndmask_b32_e32 v17, v17, v15, vcc
	v_cmp_lt_u32_e32 vcc, 3, v16
	;; [unrolled: 7-line block ×3, first 2 shown]
	v_cndmask_b32_e32 v15, v15, v17, vcc
	v_and_b32_e32 v16, 0xffff, v15
	v_and_b32_e32 v17, 16, v14
	v_cmp_eq_u32_e32 vcc, 0, v17
	v_mov_b32_dpp v16, v16 row_bcast:15 row_mask:0xf bank_mask:0xf
	v_cmp_gt_f16_e64 s[0:1], v15, v16
	s_or_b64 vcc, vcc, s[0:1]
	v_cndmask_b32_e32 v15, v16, v15, vcc
	v_and_b32_e32 v16, 0xffff, v15
	s_nop 1
	v_mov_b32_dpp v16, v16 row_bcast:31 row_mask:0xf bank_mask:0xf
	v_cmp_gt_f16_e32 vcc, v15, v16
	v_cndmask_b32_e32 v16, v16, v15, vcc
	v_cmp_lt_u32_e32 vcc, 31, v14
	v_cndmask_b32_e32 v15, v15, v16, vcc
	v_cmp_eq_u32_e32 vcc, 63, v0
	s_and_saveexec_b64 s[0:1], vcc
	s_cbranch_execz .LBB77_80
; %bb.79:
	v_mov_b32_e32 v16, 0
	ds_write_b16 v16, v15
.LBB77_80:
	s_or_b64 exec, exec, s[0:1]
	v_cmp_gt_f16_e32 vcc, v15, v52
	v_add_u32_e32 v16, -1, v14
	v_and_b32_e32 v17, 64, v14
	v_cndmask_b32_e32 v15, v52, v15, vcc
	v_cmp_lt_i32_e32 vcc, v16, v17
	v_cndmask_b32_e32 v16, v16, v14, vcc
	v_and_b32_e32 v15, 0xffff, v15
	v_lshlrev_b32_e32 v16, 2, v16
	ds_bpermute_b32 v15, v16, v15
	v_cmp_eq_u32_e32 vcc, 0, v14
	v_cmp_eq_u32_e64 s[0:1], 0, v0
	s_waitcnt lgkmcnt(0)
	; wave barrier
	s_waitcnt lgkmcnt(0)
	v_cndmask_b32_e32 v15, v15, v52, vcc
	v_cndmask_b32_e64 v14, v15, v52, s[0:1]
	v_cmp_lt_f16_e32 vcc, v14, v10
	v_cndmask_b32_e32 v14, v14, v10, vcc
	v_cmp_lt_f16_e32 vcc, v14, v32
	v_cndmask_b32_e32 v16, v14, v32, vcc
	;; [unrolled: 2-line block ×22, first 2 shown]
	v_cmp_lt_f16_e32 vcc, v51, v5
	s_and_saveexec_b64 s[6:7], s[0:1]
	s_cbranch_execz .LBB77_82
; %bb.81:
	v_mov_b32_e32 v1, 0
	ds_read_u16 v2, v1
	s_mov_b32 s8, 0x20000
	v_mov_b32_e32 v15, v52
	s_waitcnt lgkmcnt(0)
	v_cmp_gt_f16_e64 s[0:1], v2, v52
	v_cndmask_b32_e64 v2, v52, v2, s[0:1]
	v_or_b32_sdwa v2, v2, s8 dst_sel:DWORD dst_unused:UNUSED_PAD src0_sel:WORD_0 src1_sel:DWORD
	global_store_dword v1, v2, s[26:27] offset:256
.LBB77_82:
	s_or_b64 exec, exec, s[6:7]
	v_cndmask_b32_e32 v52, v51, v5, vcc
.LBB77_83:
	s_waitcnt lgkmcnt(0)
	s_add_u32 s0, s22, s24
	s_addc_u32 s1, s23, s25
	s_mov_b64 s[6:7], -1
	s_and_b64 vcc, exec, s[18:19]
	s_waitcnt lgkmcnt(0)
	; wave barrier
	s_cbranch_vccz .LBB77_85
; %bb.84:
	s_mov_b32 s6, 0x5040100
	v_perm_b32 v5, v38, v36, s6
	v_perm_b32 v4, v19, v18, s6
	v_perm_b32 v3, v17, v16, s6
	v_perm_b32 v2, v14, v15, s6
	ds_write_b128 v22, v[2:5]
	v_perm_b32 v5, v46, v44, s6
	v_perm_b32 v4, v42, v41, s6
	;; [unrolled: 1-line block ×4, first 2 shown]
	ds_write_b128 v22, v[2:5] offset:16
	v_perm_b32 v5, v52, v51, s6
	v_perm_b32 v4, v50, v49, s6
	;; [unrolled: 1-line block ×4, first 2 shown]
	ds_write_b128 v22, v[2:5] offset:32
	s_waitcnt lgkmcnt(0)
	; wave barrier
	s_waitcnt lgkmcnt(0)
	ds_read_u16 v1, v20
	ds_read_u16 v2, v20 offset:128
	ds_read_u16 v3, v20 offset:256
	;; [unrolled: 1-line block ×23, first 2 shown]
	s_waitcnt lgkmcnt(14)
	global_store_short v20, v1, s[0:1]
	global_store_short v20, v2, s[0:1] offset:128
	global_store_short v20, v3, s[0:1] offset:256
	;; [unrolled: 1-line block ×9, first 2 shown]
	s_waitcnt lgkmcnt(13)
	global_store_short v20, v11, s[0:1] offset:1280
	s_waitcnt lgkmcnt(12)
	global_store_short v20, v12, s[0:1] offset:1408
	;; [unrolled: 2-line block ×14, first 2 shown]
	s_mov_b64 s[6:7], 0
.LBB77_85:
	s_andn2_b64 vcc, exec, s[6:7]
	s_cbranch_vccnz .LBB77_142
; %bb.86:
	s_mov_b32 s6, 0x5040100
	v_perm_b32 v5, v38, v36, s6
	v_perm_b32 v4, v19, v18, s6
	;; [unrolled: 1-line block ×4, first 2 shown]
	ds_write_b128 v22, v[2:5]
	v_perm_b32 v5, v46, v44, s6
	v_perm_b32 v4, v42, v41, s6
	;; [unrolled: 1-line block ×4, first 2 shown]
	ds_write_b128 v22, v[2:5] offset:16
	v_perm_b32 v5, v52, v51, s6
	v_perm_b32 v4, v50, v49, s6
	;; [unrolled: 1-line block ×4, first 2 shown]
	s_movk_i32 s6, 0xffd2
	ds_write_b128 v22, v[2:5] offset:32
	v_mad_i32_i24 v2, v0, s6, v22
	s_waitcnt lgkmcnt(0)
	; wave barrier
	s_waitcnt lgkmcnt(0)
	ds_read_u16 v5, v2
	ds_read_u16 v4, v2 offset:128
	ds_read_u16 v7, v2 offset:256
	;; [unrolled: 1-line block ×23, first 2 shown]
	v_mov_b32_e32 v3, s1
	v_add_co_u32_e32 v2, vcc, s0, v20
	v_addc_co_u32_e32 v3, vcc, 0, v3, vcc
	v_mov_b32_e32 v1, 0
	v_cmp_gt_u32_e32 vcc, s30, v0
	s_and_saveexec_b64 s[0:1], vcc
	s_cbranch_execz .LBB77_88
; %bb.87:
	s_waitcnt lgkmcnt(14)
	global_store_short v[2:3], v5, off
.LBB77_88:
	s_or_b64 exec, exec, s[0:1]
	v_or_b32_e32 v20, 64, v0
	v_cmp_gt_u32_e32 vcc, s30, v20
	s_and_saveexec_b64 s[0:1], vcc
	s_cbranch_execz .LBB77_90
; %bb.89:
	s_waitcnt lgkmcnt(14)
	global_store_short v[2:3], v4, off offset:128
.LBB77_90:
	s_or_b64 exec, exec, s[0:1]
	v_or_b32_e32 v20, 0x80, v0
	v_cmp_gt_u32_e32 vcc, s30, v20
	s_and_saveexec_b64 s[0:1], vcc
	s_cbranch_execz .LBB77_92
; %bb.91:
	s_waitcnt lgkmcnt(14)
	global_store_short v[2:3], v7, off offset:256
.LBB77_92:
	;; [unrolled: 9-line block ×23, first 2 shown]
	s_or_b64 exec, exec, s[0:1]
	s_load_dword s0, s[4:5], 0x40
	s_waitcnt lgkmcnt(0)
	s_bfe_u32 s0, s0, 0x10008
	s_cmp_eq_u32 s0, 0
	s_cbranch_scc1 .LBB77_142
; %bb.135:
	s_add_u32 s0, s30, -1
	s_addc_u32 s1, s31, -1
	s_add_u32 s4, 0, 0xaaaa0000
	s_addc_u32 s5, 0, 42
	s_add_i32 s5, s5, 0xaaaaa80
	s_mul_hi_u32 s9, s4, 0xffffffe8
	s_sub_i32 s9, s9, s4
	s_mul_i32 s10, s5, 0xffffffe8
	s_mul_i32 s6, s4, 0xffffffe8
	s_add_i32 s9, s9, s10
	s_mul_hi_u32 s7, s5, s6
	s_mul_i32 s8, s5, s6
	s_mul_i32 s11, s4, s9
	s_mul_hi_u32 s6, s4, s6
	s_mul_hi_u32 s10, s4, s9
	s_add_u32 s6, s6, s11
	s_addc_u32 s10, 0, s10
	s_add_u32 s6, s6, s8
	s_mul_hi_u32 s11, s5, s9
	s_addc_u32 s6, s10, s7
	s_addc_u32 s7, s11, 0
	s_mul_i32 s8, s5, s9
	s_add_u32 s6, s6, s8
	v_mov_b32_e32 v2, s6
	s_addc_u32 s7, 0, s7
	v_add_co_u32_e32 v2, vcc, s4, v2
	s_cmp_lg_u64 vcc, 0
	s_addc_u32 s4, s5, s7
	v_readfirstlane_b32 s7, v2
	s_mul_i32 s6, s0, s4
	s_mul_hi_u32 s8, s0, s7
	s_mul_hi_u32 s5, s0, s4
	s_add_u32 s6, s8, s6
	s_addc_u32 s5, 0, s5
	s_mul_hi_u32 s9, s1, s7
	s_mul_i32 s7, s1, s7
	s_add_u32 s6, s6, s7
	s_mul_hi_u32 s8, s1, s4
	s_addc_u32 s5, s5, s9
	s_addc_u32 s6, s8, 0
	s_mul_i32 s4, s1, s4
	s_add_u32 s4, s5, s4
	s_addc_u32 s5, 0, s6
	s_add_u32 s6, s4, 1
	s_addc_u32 s7, s5, 0
	s_add_u32 s8, s4, 2
	s_mul_i32 s10, s5, 24
	s_mul_hi_u32 s11, s4, 24
	s_addc_u32 s9, s5, 0
	s_add_i32 s11, s11, s10
	s_mul_i32 s10, s4, 24
	v_mov_b32_e32 v2, s10
	v_sub_co_u32_e32 v2, vcc, s0, v2
	s_cmp_lg_u64 vcc, 0
	s_subb_u32 s10, s1, s11
	v_subrev_co_u32_e32 v3, vcc, 24, v2
	s_cmp_lg_u64 vcc, 0
	s_subb_u32 s11, s10, 0
	v_readfirstlane_b32 s12, v3
	s_cmp_gt_u32 s12, 23
	s_cselect_b32 s12, -1, 0
	s_cmp_eq_u32 s11, 0
	s_cselect_b32 s11, s12, -1
	s_cmp_lg_u32 s11, 0
	s_cselect_b32 s6, s8, s6
	v_readfirstlane_b32 s8, v2
	s_cselect_b32 s7, s9, s7
	s_cmp_gt_u32 s8, 23
	s_cselect_b32 s8, -1, 0
	s_cmp_eq_u32 s10, 0
	s_cselect_b32 s8, s8, -1
	s_cmp_lg_u32 s8, 0
	s_cselect_b32 s5, s7, s5
	s_cselect_b32 s4, s6, s4
	v_cmp_eq_u64_e32 vcc, s[4:5], v[0:1]
	s_and_saveexec_b64 s[4:5], vcc
	s_cbranch_execz .LBB77_142
; %bb.136:
	v_mul_hi_u32_u24_e32 v1, 24, v0
	v_mov_b32_e32 v2, s1
	v_sub_co_u32_e32 v0, vcc, s0, v21
	v_subb_co_u32_e32 v1, vcc, v2, v1, vcc
	v_cmp_lt_i64_e32 vcc, 11, v[0:1]
	s_mov_b64 s[0:1], 0
	s_mov_b64 s[10:11], 0
	;; [unrolled: 1-line block ×4, first 2 shown]
	s_and_saveexec_b64 s[4:5], vcc
	s_xor_b64 s[4:5], exec, s[4:5]
	s_cbranch_execnz .LBB77_143
; %bb.137:
	s_andn2_saveexec_b64 s[4:5], s[4:5]
	s_cbranch_execnz .LBB77_188
.LBB77_138:
	s_or_b64 exec, exec, s[4:5]
	s_and_saveexec_b64 s[4:5], s[10:11]
	s_cbranch_execnz .LBB77_205
.LBB77_139:
	s_or_b64 exec, exec, s[4:5]
	s_and_saveexec_b64 s[4:5], s[8:9]
	s_cbranch_execnz .LBB77_206
.LBB77_140:
	s_or_b64 exec, exec, s[4:5]
	s_and_saveexec_b64 s[4:5], s[6:7]
	s_xor_b64 s[4:5], exec, s[4:5]
	s_cbranch_execnz .LBB77_207
.LBB77_141:
	s_or_b64 exec, exec, s[4:5]
	s_and_b64 exec, exec, s[0:1]
	s_cbranch_execnz .LBB77_208
.LBB77_142:
	s_endpgm
.LBB77_143:
	v_cmp_lt_i64_e32 vcc, 17, v[0:1]
	s_and_saveexec_b64 s[12:13], vcc
	s_xor_b64 s[12:13], exec, s[12:13]
	s_cbranch_execz .LBB77_165
; %bb.144:
	v_cmp_lt_i64_e32 vcc, 20, v[0:1]
                                        ; implicit-def: $vgpr10
	s_and_saveexec_b64 s[14:15], vcc
	s_xor_b64 s[14:15], exec, s[14:15]
	s_cbranch_execz .LBB77_154
; %bb.145:
	v_cmp_lt_i64_e32 vcc, 21, v[0:1]
	s_mov_b64 s[16:17], 0
                                        ; implicit-def: $vgpr10
	s_and_saveexec_b64 s[6:7], vcc
	s_xor_b64 s[6:7], exec, s[6:7]
	s_cbranch_execz .LBB77_151
; %bb.146:
	v_cmp_lt_i64_e32 vcc, 22, v[0:1]
	s_and_saveexec_b64 s[16:17], vcc
	s_xor_b64 s[16:17], exec, s[16:17]
	s_cbranch_execz .LBB77_148
; %bb.147:
	v_mov_b32_e32 v2, 0
	global_store_short v2, v29, s[2:3]
                                        ; implicit-def: $vgpr28
.LBB77_148:
	s_or_saveexec_b64 s[16:17], s[16:17]
	s_mov_b64 s[18:19], 0
	s_xor_b64 exec, exec, s[16:17]
; %bb.149:
	s_mov_b64 s[18:19], exec
; %bb.150:
	s_or_b64 exec, exec, s[16:17]
	s_and_b64 s[16:17], s[18:19], exec
	v_mov_b32_e32 v10, v28
                                        ; implicit-def: $vgpr11
.LBB77_151:
	s_andn2_saveexec_b64 s[6:7], s[6:7]
; %bb.152:
	s_mov_b64 s[8:9], exec
                                        ; implicit-def: $vgpr10
; %bb.153:
	s_or_b64 exec, exec, s[6:7]
	s_and_b64 s[6:7], s[16:17], exec
	s_and_b64 s[8:9], s[8:9], exec
                                        ; implicit-def: $vgpr26
                                        ; implicit-def: $vgpr12
                                        ; implicit-def: $vgpr23
.LBB77_154:
	s_andn2_saveexec_b64 s[14:15], s[14:15]
	s_cbranch_execz .LBB77_164
; %bb.155:
	v_cmp_lt_i64_e32 vcc, 18, v[0:1]
	s_mov_b64 s[16:17], 0
	s_and_saveexec_b64 s[10:11], vcc
	s_xor_b64 s[10:11], exec, s[10:11]
	s_cbranch_execz .LBB77_161
; %bb.156:
	v_cmp_lt_i64_e32 vcc, 19, v[0:1]
	s_and_saveexec_b64 s[18:19], vcc
	s_xor_b64 s[18:19], exec, s[18:19]
; %bb.157:
	s_mov_b64 s[16:17], exec
                                        ; implicit-def: $vgpr23
; %bb.158:
	s_andn2_saveexec_b64 s[18:19], s[18:19]
	s_cbranch_execz .LBB77_160
; %bb.159:
	v_mov_b32_e32 v2, 0
	global_store_short v2, v23, s[2:3]
                                        ; implicit-def: $vgpr12
.LBB77_160:
	s_or_b64 exec, exec, s[18:19]
	s_and_b64 s[16:17], s[16:17], exec
                                        ; implicit-def: $vgpr26
.LBB77_161:
	s_andn2_saveexec_b64 s[10:11], s[10:11]
	s_cbranch_execz .LBB77_163
; %bb.162:
	v_mov_b32_e32 v2, 0
	global_store_short v2, v26, s[2:3]
                                        ; implicit-def: $vgpr12
.LBB77_163:
	s_or_b64 exec, exec, s[10:11]
	s_and_b64 s[10:11], s[16:17], exec
                                        ; implicit-def: $vgpr10
                                        ; implicit-def: $vgpr11
.LBB77_164:
	s_or_b64 exec, exec, s[14:15]
	s_and_b64 s[6:7], s[6:7], exec
	s_and_b64 s[8:9], s[8:9], exec
	;; [unrolled: 1-line block ×3, first 2 shown]
                                        ; implicit-def: $vgpr18
                                        ; implicit-def: $vgpr13
                                        ; implicit-def: $vgpr14
                                        ; implicit-def: $vgpr24
                                        ; implicit-def: $vgpr27
.LBB77_165:
	s_andn2_saveexec_b64 s[12:13], s[12:13]
	s_cbranch_execz .LBB77_187
; %bb.166:
	v_cmp_lt_i64_e32 vcc, 14, v[0:1]
	s_mov_b64 s[14:15], s[6:7]
	s_and_saveexec_b64 s[16:17], vcc
	s_xor_b64 s[16:17], exec, s[16:17]
	s_cbranch_execz .LBB77_176
; %bb.167:
	v_cmp_lt_i64_e32 vcc, 15, v[0:1]
	s_and_saveexec_b64 s[14:15], vcc
	s_xor_b64 s[14:15], exec, s[14:15]
	s_cbranch_execz .LBB77_173
; %bb.168:
	v_cmp_lt_i64_e32 vcc, 16, v[0:1]
	s_and_saveexec_b64 s[18:19], vcc
	s_xor_b64 s[18:19], exec, s[18:19]
	s_cbranch_execz .LBB77_170
; %bb.169:
	v_mov_b32_e32 v2, 0
	global_store_short v2, v27, s[2:3]
                                        ; implicit-def: $vgpr24
.LBB77_170:
	s_andn2_saveexec_b64 s[18:19], s[18:19]
	s_cbranch_execz .LBB77_172
; %bb.171:
	v_mov_b32_e32 v2, 0
	global_store_short v2, v24, s[2:3]
.LBB77_172:
	s_or_b64 exec, exec, s[18:19]
                                        ; implicit-def: $vgpr10
.LBB77_173:
	s_or_saveexec_b64 s[14:15], s[14:15]
	s_mov_b64 s[18:19], s[6:7]
	s_xor_b64 exec, exec, s[14:15]
; %bb.174:
	s_or_b64 s[18:19], s[6:7], exec
; %bb.175:
	s_or_b64 exec, exec, s[14:15]
	s_andn2_b64 s[14:15], s[6:7], exec
	s_and_b64 s[18:19], s[18:19], exec
	s_or_b64 s[14:15], s[14:15], s[18:19]
                                        ; implicit-def: $vgpr18
                                        ; implicit-def: $vgpr13
                                        ; implicit-def: $vgpr14
.LBB77_176:
	s_or_saveexec_b64 s[16:17], s[16:17]
	s_mov_b64 s[18:19], s[8:9]
                                        ; implicit-def: $vgpr11
	s_xor_b64 exec, exec, s[16:17]
	s_cbranch_execz .LBB77_186
; %bb.177:
	v_cmp_lt_i64_e32 vcc, 12, v[0:1]
	s_mov_b64 s[20:21], s[8:9]
	s_mov_b64 s[22:23], s[14:15]
                                        ; implicit-def: $vgpr10
                                        ; implicit-def: $vgpr11
	s_and_saveexec_b64 s[18:19], vcc
	s_xor_b64 s[18:19], exec, s[18:19]
	s_cbranch_execz .LBB77_183
; %bb.178:
	v_cmp_lt_i64_e32 vcc, 13, v[0:1]
	s_mov_b64 s[20:21], s[14:15]
	s_and_saveexec_b64 s[22:23], vcc
	s_xor_b64 s[22:23], exec, s[22:23]
; %bb.179:
	s_or_b64 s[20:21], s[14:15], exec
                                        ; implicit-def: $vgpr13
; %bb.180:
	s_or_saveexec_b64 s[22:23], s[22:23]
	s_mov_b64 s[24:25], s[8:9]
	s_xor_b64 exec, exec, s[22:23]
; %bb.181:
	s_or_b64 s[24:25], s[8:9], exec
                                        ; implicit-def: $vgpr14
; %bb.182:
	s_or_b64 exec, exec, s[22:23]
	s_andn2_b64 s[22:23], s[14:15], exec
	s_and_b64 s[20:21], s[20:21], exec
	s_or_b64 s[22:23], s[22:23], s[20:21]
	s_andn2_b64 s[20:21], s[8:9], exec
	s_and_b64 s[24:25], s[24:25], exec
	s_or_b64 s[20:21], s[20:21], s[24:25]
	v_mov_b32_e32 v10, v14
	v_mov_b32_e32 v11, v13
                                        ; implicit-def: $vgpr18
.LBB77_183:
	s_andn2_saveexec_b64 s[18:19], s[18:19]
; %bb.184:
	s_or_b64 s[20:21], s[20:21], exec
                                        ; implicit-def: $vgpr10
	v_mov_b32_e32 v11, v18
; %bb.185:
	s_or_b64 exec, exec, s[18:19]
	s_andn2_b64 s[14:15], s[14:15], exec
	s_and_b64 s[18:19], s[22:23], exec
	s_or_b64 s[14:15], s[14:15], s[18:19]
	s_andn2_b64 s[18:19], s[8:9], exec
	s_and_b64 s[20:21], s[20:21], exec
	s_or_b64 s[18:19], s[18:19], s[20:21]
.LBB77_186:
	s_or_b64 exec, exec, s[16:17]
	s_andn2_b64 s[6:7], s[6:7], exec
	s_and_b64 s[14:15], s[14:15], exec
	s_or_b64 s[6:7], s[6:7], s[14:15]
	s_andn2_b64 s[8:9], s[8:9], exec
	s_and_b64 s[14:15], s[18:19], exec
	s_or_b64 s[8:9], s[8:9], s[14:15]
                                        ; implicit-def: $vgpr12
.LBB77_187:
	s_or_b64 exec, exec, s[12:13]
	s_and_b64 s[6:7], s[6:7], exec
	s_and_b64 s[8:9], s[8:9], exec
	;; [unrolled: 1-line block ×3, first 2 shown]
                                        ; implicit-def: $vgpr17
                                        ; implicit-def: $vgpr15
                                        ; implicit-def: $vgpr16
                                        ; implicit-def: $vgpr25
                                        ; implicit-def: $vgpr22
                                        ; implicit-def: $vgpr19
	s_andn2_saveexec_b64 s[4:5], s[4:5]
	s_cbranch_execz .LBB77_138
.LBB77_188:
	v_cmp_lt_i64_e32 vcc, 5, v[0:1]
	s_mov_b64 s[14:15], -1
	s_mov_b64 s[12:13], s[10:11]
	s_mov_b64 s[16:17], s[8:9]
	;; [unrolled: 1-line block ×3, first 2 shown]
                                        ; implicit-def: $vgpr10
                                        ; implicit-def: $vgpr11
                                        ; implicit-def: $vgpr12
	s_and_saveexec_b64 s[0:1], vcc
	s_cbranch_execz .LBB77_204
; %bb.189:
	v_cmp_lt_i64_e32 vcc, 8, v[0:1]
	s_mov_b64 s[12:13], s[10:11]
                                        ; implicit-def: $vgpr12
	s_and_saveexec_b64 s[14:15], vcc
	s_xor_b64 s[14:15], exec, s[14:15]
	s_cbranch_execz .LBB77_199
; %bb.190:
	v_cmp_lt_i64_e32 vcc, 9, v[0:1]
	s_and_saveexec_b64 s[12:13], vcc
	s_xor_b64 s[12:13], exec, s[12:13]
	s_cbranch_execz .LBB77_196
; %bb.191:
	v_cmp_lt_i64_e32 vcc, 10, v[0:1]
	s_and_saveexec_b64 s[16:17], vcc
	s_xor_b64 s[16:17], exec, s[16:17]
; %bb.192:
                                        ; implicit-def: $vgpr22
; %bb.193:
	s_andn2_saveexec_b64 s[16:17], s[16:17]
; %bb.194:
	v_mov_b32_e32 v19, v22
; %bb.195:
	s_or_b64 exec, exec, s[16:17]
                                        ; implicit-def: $vgpr25
.LBB77_196:
	s_andn2_saveexec_b64 s[12:13], s[12:13]
; %bb.197:
	v_mov_b32_e32 v19, v25
; %bb.198:
	s_or_b64 exec, exec, s[12:13]
	s_or_b64 s[12:13], s[10:11], exec
	v_mov_b32_e32 v12, v19
                                        ; implicit-def: $vgpr17
                                        ; implicit-def: $vgpr15
                                        ; implicit-def: $vgpr16
.LBB77_199:
	s_or_saveexec_b64 s[14:15], s[14:15]
	s_mov_b64 s[16:17], s[8:9]
	s_mov_b64 s[20:21], s[6:7]
                                        ; implicit-def: $vgpr10
                                        ; implicit-def: $vgpr11
	s_xor_b64 exec, exec, s[14:15]
	s_cbranch_execz .LBB77_203
; %bb.200:
	v_cmp_lt_i64_e32 vcc, 6, v[0:1]
	s_mov_b64 s[20:21], -1
	s_mov_b64 s[18:19], s[12:13]
	s_mov_b64 s[16:17], s[8:9]
	s_and_saveexec_b64 s[22:23], vcc
; %bb.201:
	v_cmp_lt_i64_e32 vcc, 7, v[0:1]
	s_andn2_b64 s[18:19], s[12:13], exec
	s_and_b64 s[24:25], vcc, exec
	s_xor_b64 s[20:21], exec, -1
	s_or_b64 s[16:17], s[8:9], exec
	s_or_b64 s[18:19], s[18:19], s[24:25]
                                        ; implicit-def: $vgpr17
; %bb.202:
	s_or_b64 exec, exec, s[22:23]
	s_andn2_b64 s[22:23], s[6:7], exec
	s_and_b64 s[20:21], s[20:21], exec
	s_or_b64 s[20:21], s[22:23], s[20:21]
	s_andn2_b64 s[22:23], s[8:9], exec
	s_and_b64 s[16:17], s[16:17], exec
	s_andn2_b64 s[12:13], s[12:13], exec
	s_and_b64 s[18:19], s[18:19], exec
	s_or_b64 s[16:17], s[22:23], s[16:17]
	s_or_b64 s[12:13], s[12:13], s[18:19]
	v_mov_b32_e32 v10, v17
	v_mov_b32_e32 v11, v15
	;; [unrolled: 1-line block ×3, first 2 shown]
.LBB77_203:
	s_or_b64 exec, exec, s[14:15]
	s_andn2_b64 s[18:19], s[6:7], exec
	s_and_b64 s[20:21], s[20:21], exec
	s_or_b64 s[18:19], s[18:19], s[20:21]
	s_andn2_b64 s[20:21], s[8:9], exec
	s_and_b64 s[16:17], s[16:17], exec
	s_or_b64 s[16:17], s[20:21], s[16:17]
	s_andn2_b64 s[20:21], s[10:11], exec
	s_and_b64 s[12:13], s[12:13], exec
	s_xor_b64 s[14:15], exec, -1
	s_or_b64 s[12:13], s[20:21], s[12:13]
.LBB77_204:
	s_or_b64 exec, exec, s[0:1]
	s_and_b64 s[0:1], s[14:15], exec
	s_andn2_b64 s[6:7], s[6:7], exec
	s_and_b64 s[14:15], s[18:19], exec
	s_or_b64 s[6:7], s[6:7], s[14:15]
	s_andn2_b64 s[8:9], s[8:9], exec
	s_and_b64 s[14:15], s[16:17], exec
	s_andn2_b64 s[10:11], s[10:11], exec
	s_and_b64 s[12:13], s[12:13], exec
	s_or_b64 s[8:9], s[8:9], s[14:15]
	s_or_b64 s[10:11], s[10:11], s[12:13]
	s_or_b64 exec, exec, s[4:5]
	s_and_saveexec_b64 s[4:5], s[10:11]
	s_cbranch_execz .LBB77_139
.LBB77_205:
	v_mov_b32_e32 v2, 0
	s_andn2_b64 s[8:9], s[8:9], exec
	global_store_short v2, v12, s[2:3]
                                        ; implicit-def: $vgpr10
                                        ; implicit-def: $vgpr11
	s_or_b64 exec, exec, s[4:5]
	s_and_saveexec_b64 s[4:5], s[8:9]
	s_cbranch_execz .LBB77_140
.LBB77_206:
	v_mov_b32_e32 v2, 0
	global_store_short v2, v11, s[2:3]
                                        ; implicit-def: $vgpr10
	s_or_b64 exec, exec, s[4:5]
	s_and_saveexec_b64 s[4:5], s[6:7]
	s_xor_b64 s[4:5], exec, s[4:5]
	s_cbranch_execz .LBB77_141
.LBB77_207:
	v_mov_b32_e32 v2, 0
	global_store_short v2, v10, s[2:3]
	s_or_b64 exec, exec, s[4:5]
	s_and_b64 exec, exec, s[0:1]
	s_cbranch_execz .LBB77_142
.LBB77_208:
	v_cmp_lt_i64_e32 vcc, 2, v[0:1]
	s_and_saveexec_b64 s[0:1], vcc
	s_xor_b64 s[0:1], exec, s[0:1]
	s_cbranch_execz .LBB77_218
; %bb.209:
	v_cmp_lt_i64_e32 vcc, 3, v[0:1]
	s_and_saveexec_b64 s[4:5], vcc
	s_xor_b64 s[4:5], exec, s[4:5]
	s_cbranch_execz .LBB77_215
; %bb.210:
	;; [unrolled: 5-line block ×3, first 2 shown]
	v_mov_b32_e32 v0, 0
	global_store_short v0, v9, s[2:3]
                                        ; implicit-def: $vgpr6
.LBB77_212:
	s_andn2_saveexec_b64 s[6:7], s[6:7]
	s_cbranch_execz .LBB77_214
; %bb.213:
	v_mov_b32_e32 v0, 0
	global_store_short v0, v6, s[2:3]
.LBB77_214:
	s_or_b64 exec, exec, s[6:7]
                                        ; implicit-def: $vgpr8
.LBB77_215:
	s_andn2_saveexec_b64 s[4:5], s[4:5]
	s_cbranch_execz .LBB77_217
; %bb.216:
	v_mov_b32_e32 v0, 0
	global_store_short v0, v8, s[2:3]
.LBB77_217:
	s_or_b64 exec, exec, s[4:5]
                                        ; implicit-def: $vgpr0_vgpr1
                                        ; implicit-def: $vgpr7
                                        ; implicit-def: $vgpr4
                                        ; implicit-def: $vgpr5
.LBB77_218:
	s_andn2_saveexec_b64 s[0:1], s[0:1]
	s_cbranch_execz .LBB77_142
; %bb.219:
	v_cmp_lt_i64_e32 vcc, 1, v[0:1]
	s_and_saveexec_b64 s[0:1], vcc
	s_xor_b64 s[0:1], exec, s[0:1]
	s_cbranch_execz .LBB77_221
; %bb.220:
	v_mov_b32_e32 v0, 0
	global_store_short v0, v7, s[2:3]
                                        ; implicit-def: $vgpr4
                                        ; implicit-def: $vgpr0_vgpr1
                                        ; implicit-def: $vgpr5
.LBB77_221:
	s_andn2_saveexec_b64 s[0:1], s[0:1]
	s_cbranch_execz .LBB77_142
; %bb.222:
	v_cmp_ne_u64_e32 vcc, 1, v[0:1]
	s_and_saveexec_b64 s[0:1], vcc
	s_xor_b64 s[0:1], exec, s[0:1]
	s_cbranch_execz .LBB77_224
; %bb.223:
	v_mov_b32_e32 v0, 0
	global_store_short v0, v5, s[2:3]
                                        ; implicit-def: $vgpr4
.LBB77_224:
	s_andn2_saveexec_b64 s[0:1], s[0:1]
	s_cbranch_execz .LBB77_142
; %bb.225:
	v_mov_b32_e32 v0, 0
	global_store_short v0, v4, s[2:3]
	s_endpgm
	.section	.rodata,"a",@progbits
	.p2align	6, 0x0
	.amdhsa_kernel _ZN7rocprim6detail20lookback_scan_kernelILNS0_25lookback_scan_determinismE0ELb1ENS0_19wrapped_scan_configINS_14default_configE6__halfEEPS5_S7_N6hipcub3MaxES5_S5_NS0_19lookback_scan_stateIS5_Lb0ELb1EEEEEvT2_T3_mT5_T4_T7_jPT6_SI_bb
		.amdhsa_group_segment_fixed_size 3072
		.amdhsa_private_segment_fixed_size 0
		.amdhsa_kernarg_size 68
		.amdhsa_user_sgpr_count 6
		.amdhsa_user_sgpr_private_segment_buffer 1
		.amdhsa_user_sgpr_dispatch_ptr 0
		.amdhsa_user_sgpr_queue_ptr 0
		.amdhsa_user_sgpr_kernarg_segment_ptr 1
		.amdhsa_user_sgpr_dispatch_id 0
		.amdhsa_user_sgpr_flat_scratch_init 0
		.amdhsa_user_sgpr_kernarg_preload_length 0
		.amdhsa_user_sgpr_kernarg_preload_offset 0
		.amdhsa_user_sgpr_private_segment_size 0
		.amdhsa_uses_dynamic_stack 0
		.amdhsa_system_sgpr_private_segment_wavefront_offset 0
		.amdhsa_system_sgpr_workgroup_id_x 1
		.amdhsa_system_sgpr_workgroup_id_y 0
		.amdhsa_system_sgpr_workgroup_id_z 0
		.amdhsa_system_sgpr_workgroup_info 0
		.amdhsa_system_vgpr_workitem_id 0
		.amdhsa_next_free_vgpr 56
		.amdhsa_next_free_sgpr 32
		.amdhsa_accum_offset 56
		.amdhsa_reserve_vcc 1
		.amdhsa_reserve_flat_scratch 0
		.amdhsa_float_round_mode_32 0
		.amdhsa_float_round_mode_16_64 0
		.amdhsa_float_denorm_mode_32 3
		.amdhsa_float_denorm_mode_16_64 3
		.amdhsa_dx10_clamp 1
		.amdhsa_ieee_mode 1
		.amdhsa_fp16_overflow 0
		.amdhsa_tg_split 0
		.amdhsa_exception_fp_ieee_invalid_op 0
		.amdhsa_exception_fp_denorm_src 0
		.amdhsa_exception_fp_ieee_div_zero 0
		.amdhsa_exception_fp_ieee_overflow 0
		.amdhsa_exception_fp_ieee_underflow 0
		.amdhsa_exception_fp_ieee_inexact 0
		.amdhsa_exception_int_div_zero 0
	.end_amdhsa_kernel
	.section	.text._ZN7rocprim6detail20lookback_scan_kernelILNS0_25lookback_scan_determinismE0ELb1ENS0_19wrapped_scan_configINS_14default_configE6__halfEEPS5_S7_N6hipcub3MaxES5_S5_NS0_19lookback_scan_stateIS5_Lb0ELb1EEEEEvT2_T3_mT5_T4_T7_jPT6_SI_bb,"axG",@progbits,_ZN7rocprim6detail20lookback_scan_kernelILNS0_25lookback_scan_determinismE0ELb1ENS0_19wrapped_scan_configINS_14default_configE6__halfEEPS5_S7_N6hipcub3MaxES5_S5_NS0_19lookback_scan_stateIS5_Lb0ELb1EEEEEvT2_T3_mT5_T4_T7_jPT6_SI_bb,comdat
.Lfunc_end77:
	.size	_ZN7rocprim6detail20lookback_scan_kernelILNS0_25lookback_scan_determinismE0ELb1ENS0_19wrapped_scan_configINS_14default_configE6__halfEEPS5_S7_N6hipcub3MaxES5_S5_NS0_19lookback_scan_stateIS5_Lb0ELb1EEEEEvT2_T3_mT5_T4_T7_jPT6_SI_bb, .Lfunc_end77-_ZN7rocprim6detail20lookback_scan_kernelILNS0_25lookback_scan_determinismE0ELb1ENS0_19wrapped_scan_configINS_14default_configE6__halfEEPS5_S7_N6hipcub3MaxES5_S5_NS0_19lookback_scan_stateIS5_Lb0ELb1EEEEEvT2_T3_mT5_T4_T7_jPT6_SI_bb
                                        ; -- End function
	.section	.AMDGPU.csdata,"",@progbits
; Kernel info:
; codeLenInByte = 8548
; NumSgprs: 36
; NumVgprs: 56
; NumAgprs: 0
; TotalNumVgprs: 56
; ScratchSize: 0
; MemoryBound: 0
; FloatMode: 240
; IeeeMode: 1
; LDSByteSize: 3072 bytes/workgroup (compile time only)
; SGPRBlocks: 4
; VGPRBlocks: 6
; NumSGPRsForWavesPerEU: 36
; NumVGPRsForWavesPerEU: 56
; AccumOffset: 56
; Occupancy: 6
; WaveLimiterHint : 1
; COMPUTE_PGM_RSRC2:SCRATCH_EN: 0
; COMPUTE_PGM_RSRC2:USER_SGPR: 6
; COMPUTE_PGM_RSRC2:TRAP_HANDLER: 0
; COMPUTE_PGM_RSRC2:TGID_X_EN: 1
; COMPUTE_PGM_RSRC2:TGID_Y_EN: 0
; COMPUTE_PGM_RSRC2:TGID_Z_EN: 0
; COMPUTE_PGM_RSRC2:TIDIG_COMP_CNT: 0
; COMPUTE_PGM_RSRC3_GFX90A:ACCUM_OFFSET: 13
; COMPUTE_PGM_RSRC3_GFX90A:TG_SPLIT: 0
	.section	.text._ZN7rocprim6detail18single_scan_kernelILb1ENS0_19wrapped_scan_configINS_14default_configE6__halfEEPS4_S6_N6hipcub3MaxES4_S4_EEvT1_mT4_T2_T3_,"axG",@progbits,_ZN7rocprim6detail18single_scan_kernelILb1ENS0_19wrapped_scan_configINS_14default_configE6__halfEEPS4_S6_N6hipcub3MaxES4_S4_EEvT1_mT4_T2_T3_,comdat
	.protected	_ZN7rocprim6detail18single_scan_kernelILb1ENS0_19wrapped_scan_configINS_14default_configE6__halfEEPS4_S6_N6hipcub3MaxES4_S4_EEvT1_mT4_T2_T3_ ; -- Begin function _ZN7rocprim6detail18single_scan_kernelILb1ENS0_19wrapped_scan_configINS_14default_configE6__halfEEPS4_S6_N6hipcub3MaxES4_S4_EEvT1_mT4_T2_T3_
	.globl	_ZN7rocprim6detail18single_scan_kernelILb1ENS0_19wrapped_scan_configINS_14default_configE6__halfEEPS4_S6_N6hipcub3MaxES4_S4_EEvT1_mT4_T2_T3_
	.p2align	8
	.type	_ZN7rocprim6detail18single_scan_kernelILb1ENS0_19wrapped_scan_configINS_14default_configE6__halfEEPS4_S6_N6hipcub3MaxES4_S4_EEvT1_mT4_T2_T3_,@function
_ZN7rocprim6detail18single_scan_kernelILb1ENS0_19wrapped_scan_configINS_14default_configE6__halfEEPS4_S6_N6hipcub3MaxES4_S4_EEvT1_mT4_T2_T3_: ; @_ZN7rocprim6detail18single_scan_kernelILb1ENS0_19wrapped_scan_configINS_14default_configE6__halfEEPS4_S6_N6hipcub3MaxES4_S4_EEvT1_mT4_T2_T3_
; %bb.0:
	s_load_dwordx4 s[48:51], s[4:5], 0x0
	v_mov_b32_e32 v1, 0
	v_lshlrev_b32_e32 v14, 1, v0
	s_waitcnt lgkmcnt(0)
	global_load_ushort v1, v1, s[48:49]
	v_mov_b32_e32 v3, s49
	v_add_co_u32_e32 v2, vcc, s48, v14
	v_addc_co_u32_e32 v3, vcc, 0, v3, vcc
	v_cmp_gt_u32_e32 vcc, s50, v0
	s_waitcnt vmcnt(0)
	v_mov_b32_e32 v4, v1
	s_and_saveexec_b64 s[0:1], vcc
	s_cbranch_execz .LBB78_2
; %bb.1:
	global_load_ushort v4, v[2:3], off
.LBB78_2:
	s_or_b64 exec, exec, s[0:1]
	v_or_b32_e32 v5, 64, v0
	v_cmp_gt_u32_e64 s[0:1], s50, v5
	v_mov_b32_e32 v5, v1
	s_and_saveexec_b64 s[2:3], s[0:1]
	s_cbranch_execz .LBB78_4
; %bb.3:
	global_load_ushort v5, v[2:3], off offset:128
.LBB78_4:
	s_or_b64 exec, exec, s[2:3]
	v_or_b32_e32 v6, 0x80, v0
	v_cmp_gt_u32_e64 s[2:3], s50, v6
	v_mov_b32_e32 v6, v1
	s_and_saveexec_b64 s[6:7], s[2:3]
	s_cbranch_execz .LBB78_6
; %bb.5:
	global_load_ushort v6, v[2:3], off offset:256
.LBB78_6:
	;; [unrolled: 9-line block ×22, first 2 shown]
	s_or_b64 exec, exec, s[48:49]
	s_load_dword s33, s[4:5], 0x10
	v_or_b32_e32 v28, 0x5c0, v0
	v_cmp_gt_u32_e64 s[48:49], s50, v28
	s_and_saveexec_b64 s[50:51], s[48:49]
	s_cbranch_execz .LBB78_48
; %bb.47:
	global_load_ushort v1, v[2:3], off offset:2944
.LBB78_48:
	s_or_b64 exec, exec, s[50:51]
	s_waitcnt vmcnt(0)
	ds_write_b16 v14, v4
	ds_write_b16 v14, v5 offset:128
	ds_write_b16 v14, v6 offset:256
	;; [unrolled: 1-line block ×23, first 2 shown]
	v_mad_u32_u24 v1, v0, 46, v14
	s_waitcnt lgkmcnt(0)
	; wave barrier
	s_waitcnt lgkmcnt(0)
	ds_read_b128 v[10:13], v1
	ds_read_b128 v[6:9], v1 offset:16
	ds_read_b128 v[2:5], v1 offset:32
	s_waitcnt lgkmcnt(0)
	; wave barrier
	s_waitcnt lgkmcnt(0)
	v_lshrrev_b32_e32 v25, 16, v10
	v_cmp_lt_f16_e64 s[50:51], v10, v25
	v_cndmask_b32_e64 v27, v10, v25, s[50:51]
	v_cmp_lt_f16_e64 s[50:51], v27, v11
	v_lshrrev_b32_e32 v24, 16, v11
	v_cndmask_b32_e64 v27, v27, v11, s[50:51]
	v_cmp_lt_f16_e64 s[50:51], v27, v24
	v_cndmask_b32_e64 v27, v27, v24, s[50:51]
	v_cmp_lt_f16_e64 s[50:51], v27, v12
	v_lshrrev_b32_e32 v23, 16, v12
	v_cndmask_b32_e64 v27, v27, v12, s[50:51]
	;; [unrolled: 5-line block ×11, first 2 shown]
	v_cmp_lt_f16_e64 s[50:51], v27, v26
	v_cndmask_b32_e64 v27, v27, v26, s[50:51]
	v_mbcnt_lo_u32_b32 v26, -1, 0
	v_mbcnt_hi_u32_b32 v26, -1, v26
	v_and_b32_e32 v29, 0xffff, v27
	v_and_b32_e32 v28, 15, v26
	v_cmp_eq_u32_e64 s[50:51], 0, v28
	v_mov_b32_dpp v29, v29 row_shr:1 row_mask:0xf bank_mask:0xf
	v_cmp_gt_f16_e64 s[52:53], v27, v29
	s_or_b64 s[50:51], s[50:51], s[52:53]
	v_cndmask_b32_e64 v27, v29, v27, s[50:51]
	v_and_b32_e32 v29, 0xffff, v27
	s_nop 1
	v_mov_b32_dpp v29, v29 row_shr:2 row_mask:0xf bank_mask:0xf
	v_cmp_gt_f16_e64 s[50:51], v27, v29
	v_cndmask_b32_e64 v29, v29, v27, s[50:51]
	v_cmp_lt_u32_e64 s[50:51], 1, v28
	v_cndmask_b32_e64 v27, v27, v29, s[50:51]
	v_and_b32_e32 v29, 0xffff, v27
	s_nop 1
	v_mov_b32_dpp v29, v29 row_shr:4 row_mask:0xf bank_mask:0xf
	v_cmp_gt_f16_e64 s[50:51], v27, v29
	v_cndmask_b32_e64 v29, v29, v27, s[50:51]
	v_cmp_lt_u32_e64 s[50:51], 3, v28
	;; [unrolled: 7-line block ×3, first 2 shown]
	v_cndmask_b32_e64 v27, v27, v29, s[50:51]
	v_and_b32_e32 v28, 0xffff, v27
	v_and_b32_e32 v29, 16, v26
	v_cmp_eq_u32_e64 s[50:51], 0, v29
	v_mov_b32_dpp v28, v28 row_bcast:15 row_mask:0xf bank_mask:0xf
	v_cmp_gt_f16_e64 s[52:53], v27, v28
	s_or_b64 s[50:51], s[50:51], s[52:53]
	v_cndmask_b32_e64 v27, v28, v27, s[50:51]
	v_and_b32_e32 v28, 0xffff, v27
	s_nop 1
	v_mov_b32_dpp v28, v28 row_bcast:31 row_mask:0xf bank_mask:0xf
	v_cmp_gt_f16_e64 s[50:51], v27, v28
	v_cndmask_b32_e64 v28, v28, v27, s[50:51]
	v_cmp_lt_u32_e64 s[50:51], 31, v26
	v_cndmask_b32_e64 v27, v27, v28, s[50:51]
	v_cmp_eq_u32_e64 s[50:51], 63, v0
	s_and_saveexec_b64 s[52:53], s[50:51]
	s_cbranch_execz .LBB78_50
; %bb.49:
	v_mov_b32_e32 v28, 0
	ds_write_b16 v28, v27
.LBB78_50:
	s_or_b64 exec, exec, s[52:53]
	v_mov_b32_e32 v28, s33
	v_cmp_lt_f16_e64 s[50:51], s33, v27
	v_add_u32_e32 v29, -1, v26
	v_and_b32_e32 v30, 64, v26
	v_cndmask_b32_e64 v27, v28, v27, s[50:51]
	v_cmp_lt_i32_e64 s[50:51], v29, v30
	v_cndmask_b32_e64 v29, v29, v26, s[50:51]
	v_and_b32_e32 v27, 0xffff, v27
	v_lshlrev_b32_e32 v29, 2, v29
	ds_bpermute_b32 v27, v29, v27
	s_load_dwordx2 s[50:51], s[4:5], 0x18
	v_cmp_eq_u32_e64 s[4:5], 0, v26
	s_waitcnt lgkmcnt(0)
	; wave barrier
	s_waitcnt lgkmcnt(0)
	v_cndmask_b32_e64 v26, v27, v28, s[4:5]
	v_cmp_eq_u32_e64 s[4:5], 0, v0
	v_cndmask_b32_e64 v26, v26, v28, s[4:5]
	v_cmp_lt_f16_e64 s[4:5], v26, v10
	v_cndmask_b32_e64 v10, v26, v10, s[4:5]
	v_cmp_lt_f16_e64 s[4:5], v10, v25
	;; [unrolled: 2-line block ×23, first 2 shown]
	v_cndmask_b32_e64 v30, v15, v5, s[4:5]
	s_mov_b32 s4, 0x5040100
	v_perm_b32 v5, v13, v23, s4
	v_perm_b32 v4, v12, v24, s4
	;; [unrolled: 1-line block ×4, first 2 shown]
	s_waitcnt lgkmcnt(0)
	; wave barrier
	ds_write_b128 v1, v[2:5]
	v_perm_b32 v5, v9, v19, s4
	v_perm_b32 v4, v8, v20, s4
	;; [unrolled: 1-line block ×4, first 2 shown]
	ds_write_b128 v1, v[2:5] offset:16
	v_perm_b32 v5, v30, v15, s4
	v_perm_b32 v4, v29, v16, s4
	;; [unrolled: 1-line block ×4, first 2 shown]
	s_movk_i32 s4, 0xffd2
	v_mad_i32_i24 v0, v0, s4, v1
	ds_write_b128 v1, v[2:5] offset:32
	s_waitcnt lgkmcnt(0)
	; wave barrier
	s_waitcnt lgkmcnt(0)
	ds_read_u16 v24, v0 offset:256
	ds_read_u16 v23, v0 offset:384
	;; [unrolled: 1-line block ×23, first 2 shown]
	v_mov_b32_e32 v1, s51
	v_add_co_u32_e64 v0, s[4:5], s50, v14
	v_addc_co_u32_e64 v1, s[4:5], 0, v1, s[4:5]
	s_and_saveexec_b64 s[4:5], vcc
	s_cbranch_execnz .LBB78_75
; %bb.51:
	s_or_b64 exec, exec, s[4:5]
	s_and_saveexec_b64 s[4:5], s[0:1]
	s_cbranch_execnz .LBB78_76
.LBB78_52:
	s_or_b64 exec, exec, s[4:5]
	s_and_saveexec_b64 s[0:1], s[2:3]
	s_cbranch_execnz .LBB78_77
.LBB78_53:
	s_or_b64 exec, exec, s[0:1]
	s_and_saveexec_b64 s[0:1], s[44:45]
	s_cbranch_execnz .LBB78_78
.LBB78_54:
	s_or_b64 exec, exec, s[0:1]
	s_and_saveexec_b64 s[0:1], s[6:7]
	s_cbranch_execnz .LBB78_79
.LBB78_55:
	s_or_b64 exec, exec, s[0:1]
	s_and_saveexec_b64 s[0:1], s[8:9]
	s_cbranch_execnz .LBB78_80
.LBB78_56:
	s_or_b64 exec, exec, s[0:1]
	s_and_saveexec_b64 s[0:1], s[10:11]
	s_cbranch_execnz .LBB78_81
.LBB78_57:
	s_or_b64 exec, exec, s[0:1]
	s_and_saveexec_b64 s[0:1], s[12:13]
	s_cbranch_execnz .LBB78_82
.LBB78_58:
	s_or_b64 exec, exec, s[0:1]
	s_and_saveexec_b64 s[0:1], s[14:15]
	s_cbranch_execnz .LBB78_83
.LBB78_59:
	s_or_b64 exec, exec, s[0:1]
	s_and_saveexec_b64 s[0:1], s[16:17]
	s_cbranch_execnz .LBB78_84
.LBB78_60:
	s_or_b64 exec, exec, s[0:1]
	s_and_saveexec_b64 s[0:1], s[18:19]
	s_cbranch_execnz .LBB78_85
.LBB78_61:
	s_or_b64 exec, exec, s[0:1]
	s_and_saveexec_b64 s[0:1], s[20:21]
	s_cbranch_execnz .LBB78_86
.LBB78_62:
	s_or_b64 exec, exec, s[0:1]
	s_and_saveexec_b64 s[0:1], s[22:23]
	s_cbranch_execnz .LBB78_87
.LBB78_63:
	s_or_b64 exec, exec, s[0:1]
	s_and_saveexec_b64 s[0:1], s[24:25]
	s_cbranch_execnz .LBB78_88
.LBB78_64:
	s_or_b64 exec, exec, s[0:1]
	s_and_saveexec_b64 s[0:1], s[26:27]
	s_cbranch_execnz .LBB78_89
.LBB78_65:
	s_or_b64 exec, exec, s[0:1]
	s_and_saveexec_b64 s[0:1], s[28:29]
	s_cbranch_execnz .LBB78_90
.LBB78_66:
	s_or_b64 exec, exec, s[0:1]
	s_and_saveexec_b64 s[0:1], s[30:31]
	s_cbranch_execnz .LBB78_91
.LBB78_67:
	s_or_b64 exec, exec, s[0:1]
	s_and_saveexec_b64 s[0:1], s[34:35]
	s_cbranch_execnz .LBB78_92
.LBB78_68:
	s_or_b64 exec, exec, s[0:1]
	s_and_saveexec_b64 s[0:1], s[36:37]
	s_cbranch_execnz .LBB78_93
.LBB78_69:
	s_or_b64 exec, exec, s[0:1]
	s_and_saveexec_b64 s[0:1], s[38:39]
	s_cbranch_execnz .LBB78_94
.LBB78_70:
	s_or_b64 exec, exec, s[0:1]
	s_and_saveexec_b64 s[0:1], s[40:41]
	s_cbranch_execnz .LBB78_95
.LBB78_71:
	s_or_b64 exec, exec, s[0:1]
	s_and_saveexec_b64 s[0:1], s[42:43]
	s_cbranch_execnz .LBB78_96
.LBB78_72:
	s_or_b64 exec, exec, s[0:1]
	s_and_saveexec_b64 s[0:1], s[46:47]
	s_cbranch_execnz .LBB78_97
.LBB78_73:
	s_or_b64 exec, exec, s[0:1]
	s_and_saveexec_b64 s[0:1], s[48:49]
	s_cbranch_execnz .LBB78_98
.LBB78_74:
	s_endpgm
.LBB78_75:
	ds_read_u16 v14, v14
	s_waitcnt lgkmcnt(0)
	global_store_short v[0:1], v14, off
	s_or_b64 exec, exec, s[4:5]
	s_and_saveexec_b64 s[4:5], s[0:1]
	s_cbranch_execz .LBB78_52
.LBB78_76:
	s_waitcnt lgkmcnt(8)
	global_store_short v[0:1], v25, off offset:128
	s_or_b64 exec, exec, s[4:5]
	s_and_saveexec_b64 s[0:1], s[2:3]
	s_cbranch_execz .LBB78_53
.LBB78_77:
	s_waitcnt lgkmcnt(14)
	global_store_short v[0:1], v24, off offset:256
	s_or_b64 exec, exec, s[0:1]
	s_and_saveexec_b64 s[0:1], s[44:45]
	s_cbranch_execz .LBB78_54
.LBB78_78:
	s_waitcnt lgkmcnt(14)
	global_store_short v[0:1], v23, off offset:384
	s_or_b64 exec, exec, s[0:1]
	s_and_saveexec_b64 s[0:1], s[6:7]
	s_cbranch_execz .LBB78_55
.LBB78_79:
	s_waitcnt lgkmcnt(14)
	global_store_short v[0:1], v22, off offset:512
	s_or_b64 exec, exec, s[0:1]
	s_and_saveexec_b64 s[0:1], s[8:9]
	s_cbranch_execz .LBB78_56
.LBB78_80:
	s_waitcnt lgkmcnt(14)
	global_store_short v[0:1], v21, off offset:640
	s_or_b64 exec, exec, s[0:1]
	s_and_saveexec_b64 s[0:1], s[10:11]
	s_cbranch_execz .LBB78_57
.LBB78_81:
	s_waitcnt lgkmcnt(14)
	global_store_short v[0:1], v20, off offset:768
	s_or_b64 exec, exec, s[0:1]
	s_and_saveexec_b64 s[0:1], s[12:13]
	s_cbranch_execz .LBB78_58
.LBB78_82:
	s_waitcnt lgkmcnt(14)
	global_store_short v[0:1], v19, off offset:896
	s_or_b64 exec, exec, s[0:1]
	s_and_saveexec_b64 s[0:1], s[14:15]
	s_cbranch_execz .LBB78_59
.LBB78_83:
	s_waitcnt lgkmcnt(14)
	global_store_short v[0:1], v18, off offset:1024
	s_or_b64 exec, exec, s[0:1]
	s_and_saveexec_b64 s[0:1], s[16:17]
	s_cbranch_execz .LBB78_60
.LBB78_84:
	s_waitcnt lgkmcnt(14)
	global_store_short v[0:1], v17, off offset:1152
	s_or_b64 exec, exec, s[0:1]
	s_and_saveexec_b64 s[0:1], s[18:19]
	s_cbranch_execz .LBB78_61
.LBB78_85:
	s_waitcnt lgkmcnt(14)
	global_store_short v[0:1], v16, off offset:1280
	s_or_b64 exec, exec, s[0:1]
	s_and_saveexec_b64 s[0:1], s[20:21]
	s_cbranch_execz .LBB78_62
.LBB78_86:
	s_waitcnt lgkmcnt(13)
	global_store_short v[0:1], v15, off offset:1408
	s_or_b64 exec, exec, s[0:1]
	s_and_saveexec_b64 s[0:1], s[22:23]
	s_cbranch_execz .LBB78_63
.LBB78_87:
	s_waitcnt lgkmcnt(12)
	global_store_short v[0:1], v13, off offset:1536
	s_or_b64 exec, exec, s[0:1]
	s_and_saveexec_b64 s[0:1], s[24:25]
	s_cbranch_execz .LBB78_64
.LBB78_88:
	s_waitcnt lgkmcnt(11)
	global_store_short v[0:1], v12, off offset:1664
	s_or_b64 exec, exec, s[0:1]
	s_and_saveexec_b64 s[0:1], s[26:27]
	s_cbranch_execz .LBB78_65
.LBB78_89:
	s_waitcnt lgkmcnt(10)
	global_store_short v[0:1], v11, off offset:1792
	s_or_b64 exec, exec, s[0:1]
	s_and_saveexec_b64 s[0:1], s[28:29]
	s_cbranch_execz .LBB78_66
.LBB78_90:
	s_waitcnt lgkmcnt(9)
	global_store_short v[0:1], v10, off offset:1920
	s_or_b64 exec, exec, s[0:1]
	s_and_saveexec_b64 s[0:1], s[30:31]
	s_cbranch_execz .LBB78_67
.LBB78_91:
	s_waitcnt lgkmcnt(7)
	global_store_short v[0:1], v9, off offset:2048
	s_or_b64 exec, exec, s[0:1]
	s_and_saveexec_b64 s[0:1], s[34:35]
	s_cbranch_execz .LBB78_68
.LBB78_92:
	s_waitcnt lgkmcnt(6)
	global_store_short v[0:1], v8, off offset:2176
	s_or_b64 exec, exec, s[0:1]
	s_and_saveexec_b64 s[0:1], s[36:37]
	s_cbranch_execz .LBB78_69
.LBB78_93:
	s_waitcnt lgkmcnt(5)
	global_store_short v[0:1], v7, off offset:2304
	s_or_b64 exec, exec, s[0:1]
	s_and_saveexec_b64 s[0:1], s[38:39]
	s_cbranch_execz .LBB78_70
.LBB78_94:
	s_waitcnt lgkmcnt(4)
	global_store_short v[0:1], v6, off offset:2432
	s_or_b64 exec, exec, s[0:1]
	s_and_saveexec_b64 s[0:1], s[40:41]
	s_cbranch_execz .LBB78_71
.LBB78_95:
	s_waitcnt lgkmcnt(3)
	global_store_short v[0:1], v5, off offset:2560
	s_or_b64 exec, exec, s[0:1]
	s_and_saveexec_b64 s[0:1], s[42:43]
	s_cbranch_execz .LBB78_72
.LBB78_96:
	s_waitcnt lgkmcnt(2)
	global_store_short v[0:1], v4, off offset:2688
	s_or_b64 exec, exec, s[0:1]
	s_and_saveexec_b64 s[0:1], s[46:47]
	s_cbranch_execz .LBB78_73
.LBB78_97:
	s_waitcnt lgkmcnt(1)
	global_store_short v[0:1], v3, off offset:2816
	s_or_b64 exec, exec, s[0:1]
	s_and_saveexec_b64 s[0:1], s[48:49]
	s_cbranch_execz .LBB78_74
.LBB78_98:
	s_waitcnt lgkmcnt(0)
	global_store_short v[0:1], v2, off offset:2944
	s_endpgm
	.section	.rodata,"a",@progbits
	.p2align	6, 0x0
	.amdhsa_kernel _ZN7rocprim6detail18single_scan_kernelILb1ENS0_19wrapped_scan_configINS_14default_configE6__halfEEPS4_S6_N6hipcub3MaxES4_S4_EEvT1_mT4_T2_T3_
		.amdhsa_group_segment_fixed_size 3072
		.amdhsa_private_segment_fixed_size 0
		.amdhsa_kernarg_size 36
		.amdhsa_user_sgpr_count 6
		.amdhsa_user_sgpr_private_segment_buffer 1
		.amdhsa_user_sgpr_dispatch_ptr 0
		.amdhsa_user_sgpr_queue_ptr 0
		.amdhsa_user_sgpr_kernarg_segment_ptr 1
		.amdhsa_user_sgpr_dispatch_id 0
		.amdhsa_user_sgpr_flat_scratch_init 0
		.amdhsa_user_sgpr_kernarg_preload_length 0
		.amdhsa_user_sgpr_kernarg_preload_offset 0
		.amdhsa_user_sgpr_private_segment_size 0
		.amdhsa_uses_dynamic_stack 0
		.amdhsa_system_sgpr_private_segment_wavefront_offset 0
		.amdhsa_system_sgpr_workgroup_id_x 1
		.amdhsa_system_sgpr_workgroup_id_y 0
		.amdhsa_system_sgpr_workgroup_id_z 0
		.amdhsa_system_sgpr_workgroup_info 0
		.amdhsa_system_vgpr_workitem_id 0
		.amdhsa_next_free_vgpr 31
		.amdhsa_next_free_sgpr 54
		.amdhsa_accum_offset 32
		.amdhsa_reserve_vcc 1
		.amdhsa_reserve_flat_scratch 0
		.amdhsa_float_round_mode_32 0
		.amdhsa_float_round_mode_16_64 0
		.amdhsa_float_denorm_mode_32 3
		.amdhsa_float_denorm_mode_16_64 3
		.amdhsa_dx10_clamp 1
		.amdhsa_ieee_mode 1
		.amdhsa_fp16_overflow 0
		.amdhsa_tg_split 0
		.amdhsa_exception_fp_ieee_invalid_op 0
		.amdhsa_exception_fp_denorm_src 0
		.amdhsa_exception_fp_ieee_div_zero 0
		.amdhsa_exception_fp_ieee_overflow 0
		.amdhsa_exception_fp_ieee_underflow 0
		.amdhsa_exception_fp_ieee_inexact 0
		.amdhsa_exception_int_div_zero 0
	.end_amdhsa_kernel
	.section	.text._ZN7rocprim6detail18single_scan_kernelILb1ENS0_19wrapped_scan_configINS_14default_configE6__halfEEPS4_S6_N6hipcub3MaxES4_S4_EEvT1_mT4_T2_T3_,"axG",@progbits,_ZN7rocprim6detail18single_scan_kernelILb1ENS0_19wrapped_scan_configINS_14default_configE6__halfEEPS4_S6_N6hipcub3MaxES4_S4_EEvT1_mT4_T2_T3_,comdat
.Lfunc_end78:
	.size	_ZN7rocprim6detail18single_scan_kernelILb1ENS0_19wrapped_scan_configINS_14default_configE6__halfEEPS4_S6_N6hipcub3MaxES4_S4_EEvT1_mT4_T2_T3_, .Lfunc_end78-_ZN7rocprim6detail18single_scan_kernelILb1ENS0_19wrapped_scan_configINS_14default_configE6__halfEEPS4_S6_N6hipcub3MaxES4_S4_EEvT1_mT4_T2_T3_
                                        ; -- End function
	.section	.AMDGPU.csdata,"",@progbits
; Kernel info:
; codeLenInByte = 3704
; NumSgprs: 58
; NumVgprs: 31
; NumAgprs: 0
; TotalNumVgprs: 31
; ScratchSize: 0
; MemoryBound: 0
; FloatMode: 240
; IeeeMode: 1
; LDSByteSize: 3072 bytes/workgroup (compile time only)
; SGPRBlocks: 7
; VGPRBlocks: 3
; NumSGPRsForWavesPerEU: 58
; NumVGPRsForWavesPerEU: 31
; AccumOffset: 32
; Occupancy: 6
; WaveLimiterHint : 0
; COMPUTE_PGM_RSRC2:SCRATCH_EN: 0
; COMPUTE_PGM_RSRC2:USER_SGPR: 6
; COMPUTE_PGM_RSRC2:TRAP_HANDLER: 0
; COMPUTE_PGM_RSRC2:TGID_X_EN: 1
; COMPUTE_PGM_RSRC2:TGID_Y_EN: 0
; COMPUTE_PGM_RSRC2:TGID_Z_EN: 0
; COMPUTE_PGM_RSRC2:TIDIG_COMP_CNT: 0
; COMPUTE_PGM_RSRC3_GFX90A:ACCUM_OFFSET: 7
; COMPUTE_PGM_RSRC3_GFX90A:TG_SPLIT: 0
	.section	.text._ZN7rocprim6detail20lookback_scan_kernelILNS0_25lookback_scan_determinismE0ELb1ENS0_19wrapped_scan_configINS_14default_configE12hip_bfloat16EEPS5_S7_N6hipcub3MaxES5_S5_NS0_19lookback_scan_stateIS5_Lb1ELb1EEEEEvT2_T3_mT5_T4_T7_jPT6_SI_bb,"axG",@progbits,_ZN7rocprim6detail20lookback_scan_kernelILNS0_25lookback_scan_determinismE0ELb1ENS0_19wrapped_scan_configINS_14default_configE12hip_bfloat16EEPS5_S7_N6hipcub3MaxES5_S5_NS0_19lookback_scan_stateIS5_Lb1ELb1EEEEEvT2_T3_mT5_T4_T7_jPT6_SI_bb,comdat
	.protected	_ZN7rocprim6detail20lookback_scan_kernelILNS0_25lookback_scan_determinismE0ELb1ENS0_19wrapped_scan_configINS_14default_configE12hip_bfloat16EEPS5_S7_N6hipcub3MaxES5_S5_NS0_19lookback_scan_stateIS5_Lb1ELb1EEEEEvT2_T3_mT5_T4_T7_jPT6_SI_bb ; -- Begin function _ZN7rocprim6detail20lookback_scan_kernelILNS0_25lookback_scan_determinismE0ELb1ENS0_19wrapped_scan_configINS_14default_configE12hip_bfloat16EEPS5_S7_N6hipcub3MaxES5_S5_NS0_19lookback_scan_stateIS5_Lb1ELb1EEEEEvT2_T3_mT5_T4_T7_jPT6_SI_bb
	.globl	_ZN7rocprim6detail20lookback_scan_kernelILNS0_25lookback_scan_determinismE0ELb1ENS0_19wrapped_scan_configINS_14default_configE12hip_bfloat16EEPS5_S7_N6hipcub3MaxES5_S5_NS0_19lookback_scan_stateIS5_Lb1ELb1EEEEEvT2_T3_mT5_T4_T7_jPT6_SI_bb
	.p2align	8
	.type	_ZN7rocprim6detail20lookback_scan_kernelILNS0_25lookback_scan_determinismE0ELb1ENS0_19wrapped_scan_configINS_14default_configE12hip_bfloat16EEPS5_S7_N6hipcub3MaxES5_S5_NS0_19lookback_scan_stateIS5_Lb1ELb1EEEEEvT2_T3_mT5_T4_T7_jPT6_SI_bb,@function
_ZN7rocprim6detail20lookback_scan_kernelILNS0_25lookback_scan_determinismE0ELb1ENS0_19wrapped_scan_configINS_14default_configE12hip_bfloat16EEPS5_S7_N6hipcub3MaxES5_S5_NS0_19lookback_scan_stateIS5_Lb1ELb1EEEEEvT2_T3_mT5_T4_T7_jPT6_SI_bb: ; @_ZN7rocprim6detail20lookback_scan_kernelILNS0_25lookback_scan_determinismE0ELb1ENS0_19wrapped_scan_configINS_14default_configE12hip_bfloat16EEPS5_S7_N6hipcub3MaxES5_S5_NS0_19lookback_scan_stateIS5_Lb1ELb1EEEEEvT2_T3_mT5_T4_T7_jPT6_SI_bb
; %bb.0:
	s_endpgm
	.section	.rodata,"a",@progbits
	.p2align	6, 0x0
	.amdhsa_kernel _ZN7rocprim6detail20lookback_scan_kernelILNS0_25lookback_scan_determinismE0ELb1ENS0_19wrapped_scan_configINS_14default_configE12hip_bfloat16EEPS5_S7_N6hipcub3MaxES5_S5_NS0_19lookback_scan_stateIS5_Lb1ELb1EEEEEvT2_T3_mT5_T4_T7_jPT6_SI_bb
		.amdhsa_group_segment_fixed_size 0
		.amdhsa_private_segment_fixed_size 0
		.amdhsa_kernarg_size 68
		.amdhsa_user_sgpr_count 6
		.amdhsa_user_sgpr_private_segment_buffer 1
		.amdhsa_user_sgpr_dispatch_ptr 0
		.amdhsa_user_sgpr_queue_ptr 0
		.amdhsa_user_sgpr_kernarg_segment_ptr 1
		.amdhsa_user_sgpr_dispatch_id 0
		.amdhsa_user_sgpr_flat_scratch_init 0
		.amdhsa_user_sgpr_kernarg_preload_length 0
		.amdhsa_user_sgpr_kernarg_preload_offset 0
		.amdhsa_user_sgpr_private_segment_size 0
		.amdhsa_uses_dynamic_stack 0
		.amdhsa_system_sgpr_private_segment_wavefront_offset 0
		.amdhsa_system_sgpr_workgroup_id_x 1
		.amdhsa_system_sgpr_workgroup_id_y 0
		.amdhsa_system_sgpr_workgroup_id_z 0
		.amdhsa_system_sgpr_workgroup_info 0
		.amdhsa_system_vgpr_workitem_id 0
		.amdhsa_next_free_vgpr 1
		.amdhsa_next_free_sgpr 0
		.amdhsa_accum_offset 4
		.amdhsa_reserve_vcc 0
		.amdhsa_reserve_flat_scratch 0
		.amdhsa_float_round_mode_32 0
		.amdhsa_float_round_mode_16_64 0
		.amdhsa_float_denorm_mode_32 3
		.amdhsa_float_denorm_mode_16_64 3
		.amdhsa_dx10_clamp 1
		.amdhsa_ieee_mode 1
		.amdhsa_fp16_overflow 0
		.amdhsa_tg_split 0
		.amdhsa_exception_fp_ieee_invalid_op 0
		.amdhsa_exception_fp_denorm_src 0
		.amdhsa_exception_fp_ieee_div_zero 0
		.amdhsa_exception_fp_ieee_overflow 0
		.amdhsa_exception_fp_ieee_underflow 0
		.amdhsa_exception_fp_ieee_inexact 0
		.amdhsa_exception_int_div_zero 0
	.end_amdhsa_kernel
	.section	.text._ZN7rocprim6detail20lookback_scan_kernelILNS0_25lookback_scan_determinismE0ELb1ENS0_19wrapped_scan_configINS_14default_configE12hip_bfloat16EEPS5_S7_N6hipcub3MaxES5_S5_NS0_19lookback_scan_stateIS5_Lb1ELb1EEEEEvT2_T3_mT5_T4_T7_jPT6_SI_bb,"axG",@progbits,_ZN7rocprim6detail20lookback_scan_kernelILNS0_25lookback_scan_determinismE0ELb1ENS0_19wrapped_scan_configINS_14default_configE12hip_bfloat16EEPS5_S7_N6hipcub3MaxES5_S5_NS0_19lookback_scan_stateIS5_Lb1ELb1EEEEEvT2_T3_mT5_T4_T7_jPT6_SI_bb,comdat
.Lfunc_end79:
	.size	_ZN7rocprim6detail20lookback_scan_kernelILNS0_25lookback_scan_determinismE0ELb1ENS0_19wrapped_scan_configINS_14default_configE12hip_bfloat16EEPS5_S7_N6hipcub3MaxES5_S5_NS0_19lookback_scan_stateIS5_Lb1ELb1EEEEEvT2_T3_mT5_T4_T7_jPT6_SI_bb, .Lfunc_end79-_ZN7rocprim6detail20lookback_scan_kernelILNS0_25lookback_scan_determinismE0ELb1ENS0_19wrapped_scan_configINS_14default_configE12hip_bfloat16EEPS5_S7_N6hipcub3MaxES5_S5_NS0_19lookback_scan_stateIS5_Lb1ELb1EEEEEvT2_T3_mT5_T4_T7_jPT6_SI_bb
                                        ; -- End function
	.section	.AMDGPU.csdata,"",@progbits
; Kernel info:
; codeLenInByte = 4
; NumSgprs: 4
; NumVgprs: 0
; NumAgprs: 0
; TotalNumVgprs: 0
; ScratchSize: 0
; MemoryBound: 0
; FloatMode: 240
; IeeeMode: 1
; LDSByteSize: 0 bytes/workgroup (compile time only)
; SGPRBlocks: 0
; VGPRBlocks: 0
; NumSGPRsForWavesPerEU: 4
; NumVGPRsForWavesPerEU: 1
; AccumOffset: 4
; Occupancy: 8
; WaveLimiterHint : 0
; COMPUTE_PGM_RSRC2:SCRATCH_EN: 0
; COMPUTE_PGM_RSRC2:USER_SGPR: 6
; COMPUTE_PGM_RSRC2:TRAP_HANDLER: 0
; COMPUTE_PGM_RSRC2:TGID_X_EN: 1
; COMPUTE_PGM_RSRC2:TGID_Y_EN: 0
; COMPUTE_PGM_RSRC2:TGID_Z_EN: 0
; COMPUTE_PGM_RSRC2:TIDIG_COMP_CNT: 0
; COMPUTE_PGM_RSRC3_GFX90A:ACCUM_OFFSET: 0
; COMPUTE_PGM_RSRC3_GFX90A:TG_SPLIT: 0
	.section	.text._ZN7rocprim6detail20lookback_scan_kernelILNS0_25lookback_scan_determinismE0ELb1ENS0_19wrapped_scan_configINS_14default_configE12hip_bfloat16EEPS5_S7_N6hipcub3MaxES5_S5_NS0_19lookback_scan_stateIS5_Lb0ELb1EEEEEvT2_T3_mT5_T4_T7_jPT6_SI_bb,"axG",@progbits,_ZN7rocprim6detail20lookback_scan_kernelILNS0_25lookback_scan_determinismE0ELb1ENS0_19wrapped_scan_configINS_14default_configE12hip_bfloat16EEPS5_S7_N6hipcub3MaxES5_S5_NS0_19lookback_scan_stateIS5_Lb0ELb1EEEEEvT2_T3_mT5_T4_T7_jPT6_SI_bb,comdat
	.protected	_ZN7rocprim6detail20lookback_scan_kernelILNS0_25lookback_scan_determinismE0ELb1ENS0_19wrapped_scan_configINS_14default_configE12hip_bfloat16EEPS5_S7_N6hipcub3MaxES5_S5_NS0_19lookback_scan_stateIS5_Lb0ELb1EEEEEvT2_T3_mT5_T4_T7_jPT6_SI_bb ; -- Begin function _ZN7rocprim6detail20lookback_scan_kernelILNS0_25lookback_scan_determinismE0ELb1ENS0_19wrapped_scan_configINS_14default_configE12hip_bfloat16EEPS5_S7_N6hipcub3MaxES5_S5_NS0_19lookback_scan_stateIS5_Lb0ELb1EEEEEvT2_T3_mT5_T4_T7_jPT6_SI_bb
	.globl	_ZN7rocprim6detail20lookback_scan_kernelILNS0_25lookback_scan_determinismE0ELb1ENS0_19wrapped_scan_configINS_14default_configE12hip_bfloat16EEPS5_S7_N6hipcub3MaxES5_S5_NS0_19lookback_scan_stateIS5_Lb0ELb1EEEEEvT2_T3_mT5_T4_T7_jPT6_SI_bb
	.p2align	8
	.type	_ZN7rocprim6detail20lookback_scan_kernelILNS0_25lookback_scan_determinismE0ELb1ENS0_19wrapped_scan_configINS_14default_configE12hip_bfloat16EEPS5_S7_N6hipcub3MaxES5_S5_NS0_19lookback_scan_stateIS5_Lb0ELb1EEEEEvT2_T3_mT5_T4_T7_jPT6_SI_bb,@function
_ZN7rocprim6detail20lookback_scan_kernelILNS0_25lookback_scan_determinismE0ELb1ENS0_19wrapped_scan_configINS_14default_configE12hip_bfloat16EEPS5_S7_N6hipcub3MaxES5_S5_NS0_19lookback_scan_stateIS5_Lb0ELb1EEEEEvT2_T3_mT5_T4_T7_jPT6_SI_bb: ; @_ZN7rocprim6detail20lookback_scan_kernelILNS0_25lookback_scan_determinismE0ELb1ENS0_19wrapped_scan_configINS_14default_configE12hip_bfloat16EEPS5_S7_N6hipcub3MaxES5_S5_NS0_19lookback_scan_stateIS5_Lb0ELb1EEEEEvT2_T3_mT5_T4_T7_jPT6_SI_bb
; %bb.0:
	s_load_dword s3, s[4:5], 0x28
	s_load_dwordx4 s[20:23], s[4:5], 0x0
	s_load_dwordx2 s[0:1], s[4:5], 0x10
	s_mul_i32 s2, s6, 0x600
	v_lshlrev_b32_e32 v20, 1, v0
	s_waitcnt lgkmcnt(0)
	s_add_i32 s7, s3, -1
	s_mul_i32 s8, s7, 0x600
	s_sub_u32 s30, s0, s8
	s_subb_u32 s31, s1, 0
	s_mov_b32 s3, 0
	s_cmp_lg_u32 s6, s7
	s_cselect_b64 s[18:19], -1, 0
	s_lshl_b64 s[24:25], s[2:3], 1
	s_add_u32 s2, s20, s24
	s_addc_u32 s3, s21, s25
	s_mov_b64 s[0:1], -1
	s_and_b64 vcc, exec, s[18:19]
	s_cbranch_vccz .LBB80_2
; %bb.1:
	global_load_ushort v1, v20, s[2:3]
	global_load_ushort v2, v20, s[2:3] offset:128
	global_load_ushort v3, v20, s[2:3] offset:256
	;; [unrolled: 1-line block ×23, first 2 shown]
	s_mov_b64 s[0:1], 0
	s_waitcnt vmcnt(23)
	ds_write_b16 v20, v1
	s_waitcnt vmcnt(22)
	ds_write_b16 v20, v2 offset:128
	s_waitcnt vmcnt(21)
	ds_write_b16 v20, v3 offset:256
	;; [unrolled: 2-line block ×23, first 2 shown]
	s_waitcnt lgkmcnt(0)
	; wave barrier
.LBB80_2:
	s_andn2_b64 vcc, exec, s[0:1]
	v_cmp_gt_u32_e64 s[0:1], s30, v0
	s_cbranch_vccnz .LBB80_52
; %bb.3:
	v_mov_b32_e32 v1, 0
	global_load_ushort v1, v1, s[2:3]
	v_mov_b32_e32 v3, s3
	v_add_co_u32_e32 v2, vcc, s2, v20
	v_addc_co_u32_e32 v3, vcc, 0, v3, vcc
	s_waitcnt vmcnt(0)
	v_mov_b32_e32 v4, v1
	s_and_saveexec_b64 s[2:3], s[0:1]
	s_cbranch_execz .LBB80_5
; %bb.4:
	global_load_ushort v4, v[2:3], off
.LBB80_5:
	s_or_b64 exec, exec, s[2:3]
	v_or_b32_e32 v5, 64, v0
	v_cmp_gt_u32_e32 vcc, s30, v5
	v_mov_b32_e32 v5, v1
	s_and_saveexec_b64 s[0:1], vcc
	s_cbranch_execz .LBB80_7
; %bb.6:
	global_load_ushort v5, v[2:3], off offset:128
.LBB80_7:
	s_or_b64 exec, exec, s[0:1]
	v_or_b32_e32 v6, 0x80, v0
	v_cmp_gt_u32_e32 vcc, s30, v6
	v_mov_b32_e32 v6, v1
	s_and_saveexec_b64 s[0:1], vcc
	s_cbranch_execz .LBB80_9
; %bb.8:
	global_load_ushort v6, v[2:3], off offset:256
.LBB80_9:
	;; [unrolled: 9-line block ×22, first 2 shown]
	s_or_b64 exec, exec, s[0:1]
	v_or_b32_e32 v28, 0x5c0, v0
	v_cmp_gt_u32_e32 vcc, s30, v28
	s_and_saveexec_b64 s[0:1], vcc
	s_cbranch_execz .LBB80_51
; %bb.50:
	global_load_ushort v1, v[2:3], off offset:2944
.LBB80_51:
	s_or_b64 exec, exec, s[0:1]
	s_waitcnt vmcnt(0)
	ds_write_b16 v20, v4
	ds_write_b16 v20, v5 offset:128
	ds_write_b16 v20, v6 offset:256
	;; [unrolled: 1-line block ×23, first 2 shown]
	s_waitcnt lgkmcnt(0)
	; wave barrier
.LBB80_52:
	v_mul_u32_u24_e32 v21, 24, v0
	v_lshlrev_b32_e32 v22, 1, v21
	s_waitcnt lgkmcnt(0)
	ds_read_b128 v[10:13], v22
	ds_read_b128 v[6:9], v22 offset:16
	ds_read_b128 v[2:5], v22 offset:32
	s_load_dwordx2 s[26:27], s[4:5], 0x20
	s_cmp_lg_u32 s6, 0
	v_mbcnt_lo_u32_b32 v57, -1, 0
	s_waitcnt lgkmcnt(0)
	v_lshrrev_b32_e32 v42, 16, v11
	v_lshrrev_b32_e32 v38, 16, v12
	v_lshrrev_b32_e32 v35, 16, v13
	v_lshrrev_b32_e32 v31, 16, v6
	v_lshrrev_b32_e32 v28, 16, v7
	v_lshrrev_b32_e32 v26, 16, v8
	v_lshrrev_b32_e32 v25, 16, v9
	v_lshrrev_b32_e32 v24, 16, v2
	v_lshrrev_b32_e32 v23, 16, v3
	v_lshrrev_b32_e32 v1, 16, v4
	v_lshrrev_b32_e32 v55, 16, v5
	v_lshlrev_b32_e32 v52, 16, v11
	v_lshlrev_b32_e32 v51, 16, v42
	;; [unrolled: 1-line block ×23, first 2 shown]
	v_lshrrev_b32_e32 v53, 16, v10
	v_cmp_eq_u32_e32 vcc, 63, v0
	s_waitcnt lgkmcnt(0)
	; wave barrier
	s_cbranch_scc0 .LBB80_79
; %bb.53:
	v_and_b32_e32 v58, 0xffff0000, v10
	v_cmp_lt_f32_e64 s[0:1], v54, v58
	v_cndmask_b32_e64 v14, v10, v53, s[0:1]
	v_lshlrev_b32_e32 v15, 16, v14
	v_cmp_lt_f32_e64 s[0:1], v15, v52
	v_cndmask_b32_e64 v14, v14, v11, s[0:1]
	v_lshlrev_b32_e32 v15, 16, v14
	;; [unrolled: 3-line block ×22, first 2 shown]
	v_cmp_lt_f32_e64 s[0:1], v15, v56
	v_cndmask_b32_e64 v14, v14, v55, s[0:1]
	v_and_b32_e32 v17, 0xffff, v14
	v_lshlrev_b32_e32 v59, 16, v14
	v_mbcnt_hi_u32_b32 v15, -1, v57
	v_mov_b32_dpp v18, v17 row_shr:1 row_mask:0xf bank_mask:0xf
	v_lshlrev_b32_e32 v19, 16, v18
	v_cmp_lt_f32_e64 s[0:1], v19, v59
	v_and_b32_e32 v16, 15, v15
	v_cndmask_b32_e64 v18, v18, v14, s[0:1]
	v_and_b32_e32 v19, 0xffff, v18
	v_cmp_eq_u32_e64 s[0:1], 0, v16
	v_cndmask_b32_e64 v17, v19, v17, s[0:1]
	v_cndmask_b32_e64 v14, v18, v14, s[0:1]
	v_lshlrev_b32_e32 v19, 16, v17
	v_mov_b32_dpp v18, v17 row_shr:2 row_mask:0xf bank_mask:0xf
	v_lshlrev_b32_e32 v59, 16, v18
	v_cmp_lt_f32_e64 s[0:1], v59, v19
	v_cndmask_b32_e64 v18, v18, v14, s[0:1]
	v_and_b32_e32 v19, 0xffff, v18
	v_cmp_lt_u32_e64 s[0:1], 1, v16
	v_cndmask_b32_e64 v17, v17, v19, s[0:1]
	v_cndmask_b32_e64 v14, v14, v18, s[0:1]
	v_lshlrev_b32_e32 v19, 16, v17
	v_mov_b32_dpp v18, v17 row_shr:4 row_mask:0xf bank_mask:0xf
	v_lshlrev_b32_e32 v59, 16, v18
	v_cmp_lt_f32_e64 s[0:1], v59, v19
	v_cndmask_b32_e64 v18, v18, v14, s[0:1]
	v_and_b32_e32 v19, 0xffff, v18
	v_cmp_lt_u32_e64 s[0:1], 3, v16
	;; [unrolled: 9-line block ×3, first 2 shown]
	v_cndmask_b32_e64 v16, v17, v19, s[0:1]
	v_lshlrev_b32_e32 v19, 16, v16
	v_cndmask_b32_e64 v14, v14, v18, s[0:1]
	v_mov_b32_dpp v17, v16 row_bcast:15 row_mask:0xf bank_mask:0xf
	v_lshlrev_b32_e32 v59, 16, v17
	v_cmp_lt_f32_e64 s[0:1], v59, v19
	v_and_b32_e32 v18, 16, v15
	v_cndmask_b32_e64 v17, v17, v14, s[0:1]
	v_and_b32_e32 v19, 0xffff, v17
	v_cmp_eq_u32_e64 s[0:1], 0, v18
	v_cndmask_b32_e64 v16, v19, v16, s[0:1]
	v_cndmask_b32_e64 v14, v17, v14, s[0:1]
	s_nop 0
	v_mov_b32_dpp v17, v16 row_bcast:31 row_mask:0xf bank_mask:0xf
	v_lshlrev_b32_e32 v16, 16, v16
	v_lshlrev_b32_e32 v18, 16, v17
	v_cmp_lt_f32_e64 s[0:1], v18, v16
	v_cndmask_b32_e64 v16, v17, v14, s[0:1]
	v_cmp_lt_u32_e64 s[0:1], 31, v15
	v_cndmask_b32_e64 v14, v14, v16, s[0:1]
	s_and_saveexec_b64 s[0:1], vcc
	s_cbranch_execz .LBB80_55
; %bb.54:
	v_mov_b32_e32 v16, 0
	ds_write_b16 v16, v14
.LBB80_55:
	s_or_b64 exec, exec, s[0:1]
	v_add_u32_e32 v16, -1, v15
	v_and_b32_e32 v17, 64, v15
	v_cmp_lt_i32_e32 vcc, v16, v17
	v_cndmask_b32_e32 v16, v16, v15, vcc
	v_and_b32_e32 v14, 0xffff, v14
	v_lshlrev_b32_e32 v16, 2, v16
	ds_bpermute_b32 v59, v16, v14
	v_cmp_gt_u32_e32 vcc, 64, v0
	s_waitcnt lgkmcnt(0)
	; wave barrier
	s_waitcnt lgkmcnt(0)
	s_and_saveexec_b64 s[28:29], vcc
	s_cbranch_execz .LBB80_78
; %bb.56:
	v_mov_b32_e32 v17, 0
	ds_read_u16 v60, v17
	s_mov_b32 s9, 0
	v_cmp_eq_u32_e64 s[0:1], 0, v15
	s_and_saveexec_b64 s[2:3], s[0:1]
	s_cbranch_execz .LBB80_58
; %bb.57:
	s_add_i32 s8, s6, 64
	s_lshl_b64 s[8:9], s[8:9], 2
	s_add_u32 s8, s26, s8
	s_addc_u32 s9, s27, s9
	s_waitcnt lgkmcnt(0)
	v_or_b32_e32 v14, 0x10000, v60
	global_store_dword v17, v14, s[8:9]
.LBB80_58:
	s_or_b64 exec, exec, s[2:3]
	v_xad_u32 v14, v15, -1, s6
	v_add_u32_e32 v16, 64, v14
	v_lshlrev_b64 v[18:19], 2, v[16:17]
	v_mov_b32_e32 v16, s27
	v_add_co_u32_e32 v18, vcc, s26, v18
	v_addc_co_u32_e32 v19, vcc, v16, v19, vcc
	global_load_dword v76, v[18:19], off glc
	s_waitcnt vmcnt(0)
	v_lshrrev_b32_e32 v62, 16, v76
	v_cmp_eq_u16_sdwa s[8:9], v62, v17 src0_sel:BYTE_0 src1_sel:DWORD
	s_and_saveexec_b64 s[2:3], s[8:9]
	s_cbranch_execz .LBB80_62
; %bb.59:
	s_mov_b64 s[8:9], 0
	v_mov_b32_e32 v16, 0
.LBB80_60:                              ; =>This Inner Loop Header: Depth=1
	global_load_dword v76, v[18:19], off glc
	s_waitcnt vmcnt(0)
	v_lshrrev_b32_e32 v62, 16, v76
	v_cmp_ne_u16_sdwa s[10:11], v62, v16 src0_sel:BYTE_0 src1_sel:DWORD
	s_or_b64 s[8:9], s[10:11], s[8:9]
	s_andn2_b64 exec, exec, s[8:9]
	s_cbranch_execnz .LBB80_60
; %bb.61:
	s_or_b64 exec, exec, s[8:9]
.LBB80_62:
	s_or_b64 exec, exec, s[2:3]
	v_and_b32_e32 v73, 63, v15
	v_cmp_ne_u32_e32 vcc, 63, v73
	v_addc_co_u32_e32 v63, vcc, 0, v15, vcc
	v_mov_b32_e32 v61, 2
	v_and_b32_e32 v65, 0xffff, v76
	v_lshlrev_b32_e32 v63, 2, v63
	v_cmp_eq_u16_sdwa s[2:3], v62, v61 src0_sel:BYTE_0 src1_sel:DWORD
	v_lshlrev_b64 v[16:17], v15, -1
	ds_bpermute_b32 v66, v63, v65
	v_and_b32_e32 v18, s3, v17
	v_or_b32_e32 v18, 0x80000000, v18
	v_and_b32_e32 v19, s2, v16
	v_ffbl_b32_e32 v18, v18
	v_add_u32_e32 v18, 32, v18
	v_ffbl_b32_e32 v19, v19
	v_min_u32_e32 v78, v19, v18
	s_waitcnt lgkmcnt(0)
	v_lshlrev_b32_e32 v18, 16, v66
	v_lshlrev_b32_e32 v19, 16, v76
	v_cmp_lt_f32_e32 vcc, v18, v19
	v_add_u32_e32 v64, 1, v15
	v_cndmask_b32_e32 v18, v66, v76, vcc
	v_and_b32_e32 v19, 0xffff, v18
	v_cmp_le_u32_e64 s[8:9], v64, v78
	v_cmp_gt_u32_e32 vcc, 62, v73
	v_cndmask_b32_e64 v19, v65, v19, s[8:9]
	v_cndmask_b32_e64 v65, 0, 1, vcc
	v_lshlrev_b32_e32 v65, 1, v65
	v_add_lshl_u32 v65, v65, v15, 2
	ds_bpermute_b32 v67, v65, v19
	v_lshlrev_b32_e32 v68, 16, v19
	v_cndmask_b32_e64 v18, v76, v18, s[8:9]
	v_add_u32_e32 v66, 2, v15
	v_cmp_le_u32_e64 s[10:11], v66, v78
	s_waitcnt lgkmcnt(0)
	v_lshlrev_b32_e32 v69, 16, v67
	v_cmp_lt_f32_e32 vcc, v69, v68
	v_cndmask_b32_e32 v68, v67, v18, vcc
	v_and_b32_e32 v67, 0xffff, v68
	v_cmp_gt_u32_e32 vcc, 60, v73
	v_cndmask_b32_e64 v19, v19, v67, s[10:11]
	v_cndmask_b32_e64 v67, 0, 1, vcc
	v_lshlrev_b32_e32 v67, 2, v67
	v_add_lshl_u32 v67, v67, v15, 2
	ds_bpermute_b32 v69, v67, v19
	v_lshlrev_b32_e32 v70, 16, v19
	v_cndmask_b32_e64 v18, v18, v68, s[10:11]
	v_add_u32_e32 v68, 4, v15
	v_cmp_le_u32_e64 s[12:13], v68, v78
	s_waitcnt lgkmcnt(0)
	v_lshlrev_b32_e32 v71, 16, v69
	v_cmp_lt_f32_e32 vcc, v71, v70
	v_cndmask_b32_e32 v70, v69, v18, vcc
	v_and_b32_e32 v69, 0xffff, v70
	;; [unrolled: 15-line block ×3, first 2 shown]
	v_cmp_gt_u32_e32 vcc, 48, v73
	v_cndmask_b32_e64 v74, v19, v71, s[14:15]
	v_cndmask_b32_e64 v19, 0, 1, vcc
	v_lshlrev_b32_e32 v19, 4, v19
	v_add_lshl_u32 v71, v19, v15, 2
	ds_bpermute_b32 v19, v71, v74
	v_lshlrev_b32_e32 v75, 16, v74
	v_cndmask_b32_e64 v18, v18, v72, s[14:15]
	v_add_u32_e32 v72, 16, v15
	v_cmp_gt_u32_e64 s[2:3], 32, v73
	s_waitcnt lgkmcnt(0)
	v_lshlrev_b32_e32 v77, 16, v19
	v_cmp_lt_f32_e32 vcc, v77, v75
	v_cndmask_b32_e32 v19, v19, v18, vcc
	v_and_b32_e32 v75, 0xffff, v19
	v_cmp_le_u32_e32 vcc, v72, v78
	v_cndmask_b32_e64 v73, 0, 1, s[2:3]
	v_cndmask_b32_e32 v75, v74, v75, vcc
	v_lshlrev_b32_e32 v73, 5, v73
	v_add_u32_e32 v74, 32, v15
	v_add_lshl_u32 v73, v73, v15, 2
	v_cmp_le_u32_e64 s[16:17], v74, v78
	ds_bpermute_b32 v77, v73, v75
	s_or_b64 s[10:11], s[10:11], s[16:17]
	s_or_b64 s[8:9], s[8:9], s[10:11]
	;; [unrolled: 1-line block ×4, first 2 shown]
	v_cmp_gt_u32_e64 s[2:3], v74, v78
	s_or_b64 s[10:11], vcc, s[8:9]
	s_and_saveexec_b64 s[8:9], s[10:11]
	s_cbranch_execz .LBB80_64
; %bb.63:
	v_cndmask_b32_e32 v15, v18, v19, vcc
	s_waitcnt lgkmcnt(0)
	v_lshlrev_b32_e32 v18, 16, v77
	v_lshlrev_b32_e32 v19, 16, v75
	v_cmp_lt_f32_e32 vcc, v18, v19
	s_or_b64 vcc, s[2:3], vcc
	v_cndmask_b32_e32 v76, v77, v15, vcc
.LBB80_64:
	s_or_b64 exec, exec, s[8:9]
	v_mov_b32_e32 v15, 0
	s_branch .LBB80_66
.LBB80_65:                              ;   in Loop: Header=BB80_66 Depth=1
                                        ; implicit-def: $vgpr76
                                        ; implicit-def: $vgpr62
	s_cbranch_execnz .LBB80_74
.LBB80_66:                              ; =>This Loop Header: Depth=1
                                        ;     Child Loop BB80_69 Depth 2
	v_cmp_ne_u16_sdwa s[2:3], v62, v61 src0_sel:BYTE_0 src1_sel:DWORD
	v_cndmask_b32_e64 v18, 0, 1, s[2:3]
	;;#ASMSTART
	;;#ASMEND
	v_cmp_ne_u32_e32 vcc, 0, v18
	s_cmp_lg_u64 vcc, exec
	v_mov_b32_e32 v75, v76
	s_cbranch_scc1 .LBB80_65
; %bb.67:                               ;   in Loop: Header=BB80_66 Depth=1
	v_lshlrev_b64 v[18:19], 2, v[14:15]
	v_mov_b32_e32 v62, s27
	v_add_co_u32_e32 v18, vcc, s26, v18
	v_addc_co_u32_e32 v19, vcc, v62, v19, vcc
	global_load_dword v76, v[18:19], off glc
	s_waitcnt vmcnt(0)
	v_lshrrev_b32_e32 v62, 16, v76
	v_cmp_eq_u16_sdwa s[8:9], v62, v15 src0_sel:BYTE_0 src1_sel:DWORD
	s_and_saveexec_b64 s[2:3], s[8:9]
	s_cbranch_execz .LBB80_71
; %bb.68:                               ;   in Loop: Header=BB80_66 Depth=1
	s_mov_b64 s[8:9], 0
.LBB80_69:                              ;   Parent Loop BB80_66 Depth=1
                                        ; =>  This Inner Loop Header: Depth=2
	global_load_dword v76, v[18:19], off glc
	s_waitcnt vmcnt(0)
	v_lshrrev_b32_e32 v62, 16, v76
	v_cmp_ne_u16_sdwa s[10:11], v62, v15 src0_sel:BYTE_0 src1_sel:DWORD
	s_or_b64 s[8:9], s[10:11], s[8:9]
	s_andn2_b64 exec, exec, s[8:9]
	s_cbranch_execnz .LBB80_69
; %bb.70:                               ;   in Loop: Header=BB80_66 Depth=1
	s_or_b64 exec, exec, s[8:9]
.LBB80_71:                              ;   in Loop: Header=BB80_66 Depth=1
	s_or_b64 exec, exec, s[2:3]
	s_waitcnt lgkmcnt(0)
	v_and_b32_e32 v77, 0xffff, v76
	v_cmp_eq_u16_sdwa s[2:3], v62, v61 src0_sel:BYTE_0 src1_sel:DWORD
	ds_bpermute_b32 v78, v63, v77
	v_and_b32_e32 v18, s3, v17
	v_or_b32_e32 v18, 0x80000000, v18
	v_and_b32_e32 v19, s2, v16
	v_ffbl_b32_e32 v18, v18
	v_add_u32_e32 v18, 32, v18
	v_ffbl_b32_e32 v19, v19
	v_min_u32_e32 v79, v19, v18
	v_lshlrev_b32_e32 v18, 16, v76
	s_waitcnt lgkmcnt(0)
	v_lshlrev_b32_e32 v19, 16, v78
	v_cmp_lt_f32_e32 vcc, v19, v18
	v_cndmask_b32_e32 v18, v78, v76, vcc
	v_and_b32_e32 v19, 0xffff, v18
	v_cmp_le_u32_e64 s[8:9], v64, v79
	v_cndmask_b32_e64 v19, v77, v19, s[8:9]
	ds_bpermute_b32 v77, v65, v19
	v_lshlrev_b32_e32 v78, 16, v19
	v_cndmask_b32_e64 v18, v76, v18, s[8:9]
	v_cmp_le_u32_e64 s[10:11], v66, v79
	v_cmp_le_u32_e64 s[12:13], v68, v79
	s_waitcnt lgkmcnt(0)
	v_lshlrev_b32_e32 v80, 16, v77
	v_cmp_lt_f32_e32 vcc, v80, v78
	v_cndmask_b32_e32 v77, v77, v18, vcc
	v_and_b32_e32 v78, 0xffff, v77
	v_cndmask_b32_e64 v19, v19, v78, s[10:11]
	ds_bpermute_b32 v78, v67, v19
	v_cndmask_b32_e64 v18, v18, v77, s[10:11]
	v_lshlrev_b32_e32 v77, 16, v19
	v_cmp_le_u32_e64 s[14:15], v70, v79
	v_cmp_le_u32_e64 s[2:3], v72, v79
	s_waitcnt lgkmcnt(0)
	v_lshlrev_b32_e32 v80, 16, v78
	v_cmp_lt_f32_e32 vcc, v80, v77
	v_cndmask_b32_e32 v77, v78, v18, vcc
	v_and_b32_e32 v78, 0xffff, v77
	v_cndmask_b32_e64 v19, v19, v78, s[12:13]
	ds_bpermute_b32 v78, v69, v19
	v_cndmask_b32_e64 v18, v18, v77, s[12:13]
	v_lshlrev_b32_e32 v77, 16, v19
	v_cmp_le_u32_e64 s[16:17], v74, v79
	s_or_b64 s[10:11], s[10:11], s[16:17]
	s_waitcnt lgkmcnt(0)
	v_lshlrev_b32_e32 v80, 16, v78
	v_cmp_lt_f32_e32 vcc, v80, v77
	v_cndmask_b32_e32 v77, v78, v18, vcc
	v_and_b32_e32 v78, 0xffff, v77
	v_cndmask_b32_e64 v19, v19, v78, s[14:15]
	ds_bpermute_b32 v78, v71, v19
	v_cndmask_b32_e64 v18, v18, v77, s[14:15]
	v_lshlrev_b32_e32 v77, 16, v19
	s_or_b64 s[8:9], s[8:9], s[10:11]
	s_or_b64 s[8:9], s[12:13], s[8:9]
	s_waitcnt lgkmcnt(0)
	v_lshlrev_b32_e32 v80, 16, v78
	v_cmp_lt_f32_e32 vcc, v80, v77
	v_cndmask_b32_e32 v77, v78, v18, vcc
	v_and_b32_e32 v78, 0xffff, v77
	v_cndmask_b32_e64 v78, v19, v78, s[2:3]
	ds_bpermute_b32 v19, v73, v78
	s_or_b64 s[8:9], s[14:15], s[8:9]
	v_cmp_gt_u32_e32 vcc, v74, v79
	s_or_b64 s[10:11], s[2:3], s[8:9]
	s_and_saveexec_b64 s[8:9], s[10:11]
	s_cbranch_execz .LBB80_73
; %bb.72:                               ;   in Loop: Header=BB80_66 Depth=1
	v_cndmask_b32_e64 v18, v18, v77, s[2:3]
	s_waitcnt lgkmcnt(0)
	v_lshlrev_b32_e32 v76, 16, v19
	v_lshlrev_b32_e32 v77, 16, v78
	v_cmp_lt_f32_e64 s[2:3], v76, v77
	s_or_b64 vcc, vcc, s[2:3]
	v_cndmask_b32_e32 v76, v19, v18, vcc
.LBB80_73:                              ;   in Loop: Header=BB80_66 Depth=1
	s_or_b64 exec, exec, s[8:9]
	v_lshlrev_b32_e32 v18, 16, v75
	s_waitcnt lgkmcnt(0)
	v_lshlrev_b32_e32 v19, 16, v76
	v_cmp_lt_f32_e32 vcc, v19, v18
	v_subrev_u32_e32 v14, 64, v14
	v_cndmask_b32_e32 v76, v76, v75, vcc
	s_branch .LBB80_66
.LBB80_74:
	s_and_saveexec_b64 s[2:3], s[0:1]
	s_cbranch_execz .LBB80_76
; %bb.75:
	v_lshlrev_b32_e32 v14, 16, v60
	v_lshlrev_b32_e32 v15, 16, v75
	s_add_i32 s0, s6, 64
	s_mov_b32 s1, 0
	v_cmp_lt_f32_e32 vcc, v15, v14
	s_lshl_b64 s[0:1], s[0:1], 2
	v_cndmask_b32_e32 v14, v75, v60, vcc
	s_add_u32 s0, s26, s0
	s_mov_b32 s6, 0x20000
	s_addc_u32 s1, s27, s1
	v_mov_b32_e32 v15, 0
	v_or_b32_sdwa v14, v14, s6 dst_sel:DWORD dst_unused:UNUSED_PAD src0_sel:WORD_0 src1_sel:DWORD
	global_store_dword v15, v14, s[0:1]
.LBB80_76:
	s_or_b64 exec, exec, s[2:3]
	v_cmp_eq_u32_e32 vcc, 0, v0
	s_and_b64 exec, exec, vcc
	s_cbranch_execz .LBB80_78
; %bb.77:
	v_mov_b32_e32 v14, 0
	ds_write_b16 v14, v75
.LBB80_78:
	s_or_b64 exec, exec, s[28:29]
	v_mov_b32_e32 v14, 0
	s_waitcnt lgkmcnt(0)
	; wave barrier
	s_waitcnt lgkmcnt(0)
	ds_read_u16 v14, v14
	v_lshlrev_b32_e32 v15, 16, v59
	s_waitcnt lgkmcnt(0)
	v_lshlrev_b32_e32 v16, 16, v14
	v_cmp_lt_f32_e32 vcc, v16, v15
	v_cndmask_b32_e32 v15, v14, v59, vcc
	v_cmp_eq_u32_e32 vcc, 0, v0
	v_cndmask_b32_e32 v15, v15, v14, vcc
	v_lshlrev_b32_e32 v14, 16, v15
	v_cmp_gt_f32_e32 vcc, v54, v14
	v_cndmask_b32_e32 v14, v15, v10, vcc
	v_lshlrev_b32_e32 v16, 16, v14
	v_cmp_gt_f32_e32 vcc, v58, v16
	;; [unrolled: 3-line block ×23, first 2 shown]
	v_cndmask_b32_e32 v75, v74, v5, vcc
	s_load_dwordx4 s[0:3], s[4:5], 0x30
	s_branch .LBB80_87
.LBB80_79:
                                        ; implicit-def: $vgpr15
                                        ; implicit-def: $vgpr14
                                        ; implicit-def: $vgpr16
                                        ; implicit-def: $vgpr17
                                        ; implicit-def: $vgpr18
                                        ; implicit-def: $vgpr19
                                        ; implicit-def: $vgpr58
                                        ; implicit-def: $vgpr60
                                        ; implicit-def: $vgpr59
                                        ; implicit-def: $vgpr61
                                        ; implicit-def: $vgpr62
                                        ; implicit-def: $vgpr63
                                        ; implicit-def: $vgpr64
                                        ; implicit-def: $vgpr65
                                        ; implicit-def: $vgpr66
                                        ; implicit-def: $vgpr68
                                        ; implicit-def: $vgpr67
                                        ; implicit-def: $vgpr69
                                        ; implicit-def: $vgpr70
                                        ; implicit-def: $vgpr71
                                        ; implicit-def: $vgpr72
                                        ; implicit-def: $vgpr73
                                        ; implicit-def: $vgpr74
                                        ; implicit-def: $vgpr75
	s_load_dwordx4 s[0:3], s[4:5], 0x30
	s_cbranch_execz .LBB80_87
; %bb.80:
	s_load_dword s6, s[4:5], 0x40
	s_load_dword s7, s[4:5], 0x18
	s_waitcnt lgkmcnt(0)
	s_bitcmp0_b32 s6, 0
	v_mov_b32_e32 v75, s7
	s_cbranch_scc1 .LBB80_82
; %bb.81:
	v_mov_b32_e32 v14, 0
	global_load_ushort v15, v14, s[20:21] offset:-2
	global_load_ushort v16, v14, s[0:1]
	s_waitcnt vmcnt(1)
	v_lshlrev_b32_e32 v14, 16, v15
	s_waitcnt vmcnt(0)
	v_lshlrev_b32_e32 v17, 16, v16
	v_cmp_lt_f32_e32 vcc, v17, v14
	v_cndmask_b32_e32 v75, v16, v15, vcc
.LBB80_82:
	v_and_b32_e32 v16, 0xffff0000, v10
	v_cmp_lt_f32_e32 vcc, v54, v16
	v_cndmask_b32_e32 v14, v10, v53, vcc
	v_lshlrev_b32_e32 v15, 16, v14
	v_cmp_lt_f32_e32 vcc, v15, v52
	v_cndmask_b32_e32 v14, v14, v11, vcc
	v_lshlrev_b32_e32 v15, 16, v14
	;; [unrolled: 3-line block ×22, first 2 shown]
	v_cmp_lt_f32_e32 vcc, v15, v56
	v_cndmask_b32_e32 v15, v14, v55, vcc
	v_and_b32_e32 v18, 0xffff, v15
	v_lshlrev_b32_e32 v56, 16, v15
	v_mbcnt_hi_u32_b32 v14, -1, v57
	v_mov_b32_dpp v19, v18 row_shr:1 row_mask:0xf bank_mask:0xf
	v_lshlrev_b32_e32 v55, 16, v19
	v_cmp_lt_f32_e32 vcc, v55, v56
	v_and_b32_e32 v17, 15, v14
	v_cndmask_b32_e32 v19, v19, v15, vcc
	v_and_b32_e32 v55, 0xffff, v19
	v_cmp_eq_u32_e32 vcc, 0, v17
	v_cndmask_b32_e32 v18, v55, v18, vcc
	v_cndmask_b32_e32 v15, v19, v15, vcc
	v_lshlrev_b32_e32 v55, 16, v18
	v_mov_b32_dpp v19, v18 row_shr:2 row_mask:0xf bank_mask:0xf
	v_lshlrev_b32_e32 v56, 16, v19
	v_cmp_lt_f32_e32 vcc, v56, v55
	v_cndmask_b32_e32 v19, v19, v15, vcc
	v_and_b32_e32 v55, 0xffff, v19
	v_cmp_lt_u32_e32 vcc, 1, v17
	v_cndmask_b32_e32 v18, v18, v55, vcc
	v_cndmask_b32_e32 v15, v15, v19, vcc
	v_lshlrev_b32_e32 v55, 16, v18
	v_mov_b32_dpp v19, v18 row_shr:4 row_mask:0xf bank_mask:0xf
	v_lshlrev_b32_e32 v56, 16, v19
	v_cmp_lt_f32_e32 vcc, v56, v55
	v_cndmask_b32_e32 v19, v19, v15, vcc
	v_and_b32_e32 v55, 0xffff, v19
	v_cmp_lt_u32_e32 vcc, 3, v17
	;; [unrolled: 9-line block ×3, first 2 shown]
	v_cndmask_b32_e32 v17, v18, v55, vcc
	v_lshlrev_b32_e32 v55, 16, v17
	v_cndmask_b32_e32 v15, v15, v19, vcc
	v_mov_b32_dpp v18, v17 row_bcast:15 row_mask:0xf bank_mask:0xf
	v_lshlrev_b32_e32 v56, 16, v18
	v_cmp_lt_f32_e32 vcc, v56, v55
	v_and_b32_e32 v19, 16, v14
	v_cndmask_b32_e32 v18, v18, v15, vcc
	v_and_b32_e32 v55, 0xffff, v18
	v_cmp_eq_u32_e32 vcc, 0, v19
	v_cndmask_b32_e32 v17, v55, v17, vcc
	v_cndmask_b32_e32 v15, v18, v15, vcc
	s_nop 0
	v_mov_b32_dpp v18, v17 row_bcast:31 row_mask:0xf bank_mask:0xf
	v_lshlrev_b32_e32 v17, 16, v17
	v_lshlrev_b32_e32 v19, 16, v18
	v_cmp_lt_f32_e32 vcc, v19, v17
	v_cndmask_b32_e32 v17, v18, v15, vcc
	v_cmp_lt_u32_e32 vcc, 31, v14
	v_cndmask_b32_e32 v15, v15, v17, vcc
	v_cmp_eq_u32_e32 vcc, 63, v0
	s_and_saveexec_b64 s[0:1], vcc
	s_cbranch_execz .LBB80_84
; %bb.83:
	v_mov_b32_e32 v17, 0
	ds_write_b16 v17, v15
.LBB80_84:
	s_or_b64 exec, exec, s[0:1]
	v_lshlrev_b32_e32 v55, 16, v75
	v_lshlrev_b32_e32 v17, 16, v15
	v_cmp_lt_f32_e32 vcc, v55, v17
	v_add_u32_e32 v17, -1, v14
	v_and_b32_e32 v18, 64, v14
	v_cndmask_b32_e32 v15, v75, v15, vcc
	v_cmp_lt_i32_e32 vcc, v17, v18
	v_cndmask_b32_e32 v17, v17, v14, vcc
	v_and_b32_e32 v15, 0xffff, v15
	v_lshlrev_b32_e32 v17, 2, v17
	ds_bpermute_b32 v15, v17, v15
	v_cmp_eq_u32_e32 vcc, 0, v14
	v_cmp_eq_u32_e64 s[0:1], 0, v0
	s_or_b64 vcc, s[0:1], vcc
	s_waitcnt lgkmcnt(0)
	v_cndmask_b32_e32 v15, v15, v75, vcc
	v_lshlrev_b32_e32 v14, 16, v15
	v_cmp_gt_f32_e32 vcc, v54, v14
	v_cndmask_b32_e32 v14, v15, v10, vcc
	v_lshlrev_b32_e32 v10, 16, v14
	v_cmp_gt_f32_e32 vcc, v16, v10
	;; [unrolled: 3-line block ×23, first 2 shown]
	; wave barrier
	s_and_saveexec_b64 s[6:7], s[0:1]
	s_cbranch_execz .LBB80_86
; %bb.85:
	v_mov_b32_e32 v1, 0
	ds_read_u16 v2, v1
	s_mov_b32 s8, 0x20000
	v_mov_b32_e32 v15, v75
	s_waitcnt lgkmcnt(0)
	v_lshlrev_b32_e32 v3, 16, v2
	v_cmp_lt_f32_e64 s[0:1], v55, v3
	v_cndmask_b32_e64 v2, v75, v2, s[0:1]
	v_or_b32_sdwa v2, v2, s8 dst_sel:DWORD dst_unused:UNUSED_PAD src0_sel:WORD_0 src1_sel:DWORD
	global_store_dword v1, v2, s[26:27] offset:256
.LBB80_86:
	s_or_b64 exec, exec, s[6:7]
	v_cndmask_b32_e32 v75, v74, v5, vcc
.LBB80_87:
	s_waitcnt lgkmcnt(0)
	s_add_u32 s0, s22, s24
	s_addc_u32 s1, s23, s25
	s_mov_b64 s[6:7], -1
	s_and_b64 vcc, exec, s[18:19]
	s_waitcnt lgkmcnt(0)
	; wave barrier
	s_cbranch_vccz .LBB80_89
; %bb.88:
	s_mov_b32 s6, 0x5040100
	v_perm_b32 v5, v60, v58, s6
	v_perm_b32 v4, v19, v18, s6
	;; [unrolled: 1-line block ×4, first 2 shown]
	ds_write_b128 v22, v[2:5]
	v_perm_b32 v5, v68, v66, s6
	v_perm_b32 v4, v65, v64, s6
	;; [unrolled: 1-line block ×4, first 2 shown]
	ds_write_b128 v22, v[2:5] offset:16
	v_perm_b32 v5, v75, v74, s6
	v_perm_b32 v4, v73, v72, s6
	;; [unrolled: 1-line block ×4, first 2 shown]
	ds_write_b128 v22, v[2:5] offset:32
	s_waitcnt lgkmcnt(0)
	; wave barrier
	s_waitcnt lgkmcnt(0)
	ds_read_u16 v1, v20
	ds_read_u16 v2, v20 offset:128
	ds_read_u16 v3, v20 offset:256
	;; [unrolled: 1-line block ×23, first 2 shown]
	s_waitcnt lgkmcnt(14)
	global_store_short v20, v1, s[0:1]
	global_store_short v20, v2, s[0:1] offset:128
	global_store_short v20, v3, s[0:1] offset:256
	;; [unrolled: 1-line block ×9, first 2 shown]
	s_waitcnt lgkmcnt(13)
	global_store_short v20, v11, s[0:1] offset:1280
	s_waitcnt lgkmcnt(12)
	global_store_short v20, v12, s[0:1] offset:1408
	s_waitcnt lgkmcnt(11)
	global_store_short v20, v13, s[0:1] offset:1536
	s_waitcnt lgkmcnt(10)
	global_store_short v20, v23, s[0:1] offset:1664
	s_waitcnt lgkmcnt(9)
	global_store_short v20, v24, s[0:1] offset:1792
	s_waitcnt lgkmcnt(8)
	global_store_short v20, v25, s[0:1] offset:1920
	s_waitcnt lgkmcnt(7)
	global_store_short v20, v26, s[0:1] offset:2048
	s_waitcnt lgkmcnt(6)
	global_store_short v20, v27, s[0:1] offset:2176
	s_waitcnt lgkmcnt(5)
	global_store_short v20, v28, s[0:1] offset:2304
	s_waitcnt lgkmcnt(4)
	global_store_short v20, v29, s[0:1] offset:2432
	s_waitcnt lgkmcnt(3)
	global_store_short v20, v30, s[0:1] offset:2560
	s_waitcnt lgkmcnt(2)
	global_store_short v20, v31, s[0:1] offset:2688
	s_waitcnt lgkmcnt(1)
	global_store_short v20, v32, s[0:1] offset:2816
	s_waitcnt lgkmcnt(0)
	global_store_short v20, v33, s[0:1] offset:2944
	s_mov_b64 s[6:7], 0
.LBB80_89:
	s_andn2_b64 vcc, exec, s[6:7]
	s_cbranch_vccnz .LBB80_146
; %bb.90:
	s_mov_b32 s6, 0x5040100
	v_perm_b32 v5, v60, v58, s6
	v_perm_b32 v4, v19, v18, s6
	;; [unrolled: 1-line block ×4, first 2 shown]
	ds_write_b128 v22, v[2:5]
	v_perm_b32 v5, v68, v66, s6
	v_perm_b32 v4, v65, v64, s6
	;; [unrolled: 1-line block ×4, first 2 shown]
	ds_write_b128 v22, v[2:5] offset:16
	v_perm_b32 v5, v75, v74, s6
	v_perm_b32 v4, v73, v72, s6
	;; [unrolled: 1-line block ×4, first 2 shown]
	s_movk_i32 s6, 0xffd2
	ds_write_b128 v22, v[2:5] offset:32
	v_mad_i32_i24 v2, v0, s6, v22
	s_waitcnt lgkmcnt(0)
	; wave barrier
	s_waitcnt lgkmcnt(0)
	ds_read_u16 v5, v2
	ds_read_u16 v4, v2 offset:128
	ds_read_u16 v7, v2 offset:256
	;; [unrolled: 1-line block ×23, first 2 shown]
	v_mov_b32_e32 v3, s1
	v_add_co_u32_e32 v2, vcc, s0, v20
	v_addc_co_u32_e32 v3, vcc, 0, v3, vcc
	v_mov_b32_e32 v1, 0
	v_cmp_gt_u32_e32 vcc, s30, v0
	s_and_saveexec_b64 s[0:1], vcc
	s_cbranch_execz .LBB80_92
; %bb.91:
	s_waitcnt lgkmcnt(14)
	global_store_short v[2:3], v5, off
.LBB80_92:
	s_or_b64 exec, exec, s[0:1]
	v_or_b32_e32 v20, 64, v0
	v_cmp_gt_u32_e32 vcc, s30, v20
	s_and_saveexec_b64 s[0:1], vcc
	s_cbranch_execz .LBB80_94
; %bb.93:
	s_waitcnt lgkmcnt(14)
	global_store_short v[2:3], v4, off offset:128
.LBB80_94:
	s_or_b64 exec, exec, s[0:1]
	v_or_b32_e32 v20, 0x80, v0
	v_cmp_gt_u32_e32 vcc, s30, v20
	s_and_saveexec_b64 s[0:1], vcc
	s_cbranch_execz .LBB80_96
; %bb.95:
	s_waitcnt lgkmcnt(14)
	global_store_short v[2:3], v7, off offset:256
.LBB80_96:
	;; [unrolled: 9-line block ×23, first 2 shown]
	s_or_b64 exec, exec, s[0:1]
	s_load_dword s0, s[4:5], 0x40
	s_waitcnt lgkmcnt(0)
	s_bfe_u32 s0, s0, 0x10008
	s_cmp_eq_u32 s0, 0
	s_cbranch_scc1 .LBB80_146
; %bb.139:
	s_add_u32 s0, s30, -1
	s_addc_u32 s1, s31, -1
	s_add_u32 s4, 0, 0xaaaa0000
	s_addc_u32 s5, 0, 42
	s_add_i32 s5, s5, 0xaaaaa80
	s_mul_hi_u32 s9, s4, 0xffffffe8
	s_sub_i32 s9, s9, s4
	s_mul_i32 s10, s5, 0xffffffe8
	s_mul_i32 s6, s4, 0xffffffe8
	s_add_i32 s9, s9, s10
	s_mul_hi_u32 s7, s5, s6
	s_mul_i32 s8, s5, s6
	s_mul_i32 s11, s4, s9
	s_mul_hi_u32 s6, s4, s6
	s_mul_hi_u32 s10, s4, s9
	s_add_u32 s6, s6, s11
	s_addc_u32 s10, 0, s10
	s_add_u32 s6, s6, s8
	s_mul_hi_u32 s11, s5, s9
	s_addc_u32 s6, s10, s7
	s_addc_u32 s7, s11, 0
	s_mul_i32 s8, s5, s9
	s_add_u32 s6, s6, s8
	v_mov_b32_e32 v2, s6
	s_addc_u32 s7, 0, s7
	v_add_co_u32_e32 v2, vcc, s4, v2
	s_cmp_lg_u64 vcc, 0
	s_addc_u32 s4, s5, s7
	v_readfirstlane_b32 s7, v2
	s_mul_i32 s6, s0, s4
	s_mul_hi_u32 s8, s0, s7
	s_mul_hi_u32 s5, s0, s4
	s_add_u32 s6, s8, s6
	s_addc_u32 s5, 0, s5
	s_mul_hi_u32 s9, s1, s7
	s_mul_i32 s7, s1, s7
	s_add_u32 s6, s6, s7
	s_mul_hi_u32 s8, s1, s4
	s_addc_u32 s5, s5, s9
	s_addc_u32 s6, s8, 0
	s_mul_i32 s4, s1, s4
	s_add_u32 s4, s5, s4
	s_addc_u32 s5, 0, s6
	s_add_u32 s6, s4, 1
	s_addc_u32 s7, s5, 0
	s_add_u32 s8, s4, 2
	s_mul_i32 s10, s5, 24
	s_mul_hi_u32 s11, s4, 24
	s_addc_u32 s9, s5, 0
	s_add_i32 s11, s11, s10
	s_mul_i32 s10, s4, 24
	v_mov_b32_e32 v2, s10
	v_sub_co_u32_e32 v2, vcc, s0, v2
	s_cmp_lg_u64 vcc, 0
	s_subb_u32 s10, s1, s11
	v_subrev_co_u32_e32 v3, vcc, 24, v2
	s_cmp_lg_u64 vcc, 0
	s_subb_u32 s11, s10, 0
	v_readfirstlane_b32 s12, v3
	s_cmp_gt_u32 s12, 23
	s_cselect_b32 s12, -1, 0
	s_cmp_eq_u32 s11, 0
	s_cselect_b32 s11, s12, -1
	s_cmp_lg_u32 s11, 0
	s_cselect_b32 s6, s8, s6
	v_readfirstlane_b32 s8, v2
	s_cselect_b32 s7, s9, s7
	s_cmp_gt_u32 s8, 23
	s_cselect_b32 s8, -1, 0
	s_cmp_eq_u32 s10, 0
	s_cselect_b32 s8, s8, -1
	s_cmp_lg_u32 s8, 0
	s_cselect_b32 s5, s7, s5
	s_cselect_b32 s4, s6, s4
	v_cmp_eq_u64_e32 vcc, s[4:5], v[0:1]
	s_and_saveexec_b64 s[4:5], vcc
	s_cbranch_execz .LBB80_146
; %bb.140:
	v_mul_hi_u32_u24_e32 v1, 24, v0
	v_mov_b32_e32 v2, s1
	v_sub_co_u32_e32 v0, vcc, s0, v21
	v_subb_co_u32_e32 v1, vcc, v2, v1, vcc
	v_cmp_lt_i64_e32 vcc, 11, v[0:1]
	s_mov_b64 s[0:1], 0
	s_mov_b64 s[10:11], 0
	;; [unrolled: 1-line block ×4, first 2 shown]
	s_and_saveexec_b64 s[4:5], vcc
	s_xor_b64 s[4:5], exec, s[4:5]
	s_cbranch_execnz .LBB80_147
; %bb.141:
	s_andn2_saveexec_b64 s[4:5], s[4:5]
	s_cbranch_execnz .LBB80_192
.LBB80_142:
	s_or_b64 exec, exec, s[4:5]
	s_and_saveexec_b64 s[4:5], s[10:11]
	s_cbranch_execnz .LBB80_209
.LBB80_143:
	s_or_b64 exec, exec, s[4:5]
	s_and_saveexec_b64 s[4:5], s[8:9]
	s_cbranch_execnz .LBB80_210
.LBB80_144:
	s_or_b64 exec, exec, s[4:5]
	s_and_saveexec_b64 s[4:5], s[6:7]
	s_xor_b64 s[4:5], exec, s[4:5]
	s_cbranch_execnz .LBB80_211
.LBB80_145:
	s_or_b64 exec, exec, s[4:5]
	s_and_b64 exec, exec, s[0:1]
	s_cbranch_execnz .LBB80_212
.LBB80_146:
	s_endpgm
.LBB80_147:
	v_cmp_lt_i64_e32 vcc, 17, v[0:1]
	s_and_saveexec_b64 s[12:13], vcc
	s_xor_b64 s[12:13], exec, s[12:13]
	s_cbranch_execz .LBB80_169
; %bb.148:
	v_cmp_lt_i64_e32 vcc, 20, v[0:1]
                                        ; implicit-def: $vgpr10
	s_and_saveexec_b64 s[14:15], vcc
	s_xor_b64 s[14:15], exec, s[14:15]
	s_cbranch_execz .LBB80_158
; %bb.149:
	v_cmp_lt_i64_e32 vcc, 21, v[0:1]
	s_mov_b64 s[16:17], 0
                                        ; implicit-def: $vgpr10
	s_and_saveexec_b64 s[6:7], vcc
	s_xor_b64 s[6:7], exec, s[6:7]
	s_cbranch_execz .LBB80_155
; %bb.150:
	v_cmp_lt_i64_e32 vcc, 22, v[0:1]
	s_and_saveexec_b64 s[16:17], vcc
	s_xor_b64 s[16:17], exec, s[16:17]
	s_cbranch_execz .LBB80_152
; %bb.151:
	v_mov_b32_e32 v2, 0
	global_store_short v2, v29, s[2:3]
                                        ; implicit-def: $vgpr28
.LBB80_152:
	s_or_saveexec_b64 s[16:17], s[16:17]
	s_mov_b64 s[18:19], 0
	s_xor_b64 exec, exec, s[16:17]
; %bb.153:
	s_mov_b64 s[18:19], exec
; %bb.154:
	s_or_b64 exec, exec, s[16:17]
	s_and_b64 s[16:17], s[18:19], exec
	v_mov_b32_e32 v10, v28
                                        ; implicit-def: $vgpr11
.LBB80_155:
	s_andn2_saveexec_b64 s[6:7], s[6:7]
; %bb.156:
	s_mov_b64 s[8:9], exec
                                        ; implicit-def: $vgpr10
; %bb.157:
	s_or_b64 exec, exec, s[6:7]
	s_and_b64 s[6:7], s[16:17], exec
	s_and_b64 s[8:9], s[8:9], exec
                                        ; implicit-def: $vgpr26
                                        ; implicit-def: $vgpr12
                                        ; implicit-def: $vgpr23
.LBB80_158:
	s_andn2_saveexec_b64 s[14:15], s[14:15]
	s_cbranch_execz .LBB80_168
; %bb.159:
	v_cmp_lt_i64_e32 vcc, 18, v[0:1]
	s_mov_b64 s[16:17], 0
	s_and_saveexec_b64 s[10:11], vcc
	s_xor_b64 s[10:11], exec, s[10:11]
	s_cbranch_execz .LBB80_165
; %bb.160:
	v_cmp_lt_i64_e32 vcc, 19, v[0:1]
	s_and_saveexec_b64 s[18:19], vcc
	s_xor_b64 s[18:19], exec, s[18:19]
; %bb.161:
	s_mov_b64 s[16:17], exec
                                        ; implicit-def: $vgpr23
; %bb.162:
	s_andn2_saveexec_b64 s[18:19], s[18:19]
	s_cbranch_execz .LBB80_164
; %bb.163:
	v_mov_b32_e32 v2, 0
	global_store_short v2, v23, s[2:3]
                                        ; implicit-def: $vgpr12
.LBB80_164:
	s_or_b64 exec, exec, s[18:19]
	s_and_b64 s[16:17], s[16:17], exec
                                        ; implicit-def: $vgpr26
.LBB80_165:
	s_andn2_saveexec_b64 s[10:11], s[10:11]
	s_cbranch_execz .LBB80_167
; %bb.166:
	v_mov_b32_e32 v2, 0
	global_store_short v2, v26, s[2:3]
                                        ; implicit-def: $vgpr12
.LBB80_167:
	s_or_b64 exec, exec, s[10:11]
	s_and_b64 s[10:11], s[16:17], exec
                                        ; implicit-def: $vgpr10
                                        ; implicit-def: $vgpr11
.LBB80_168:
	s_or_b64 exec, exec, s[14:15]
	s_and_b64 s[6:7], s[6:7], exec
	s_and_b64 s[8:9], s[8:9], exec
	s_and_b64 s[10:11], s[10:11], exec
                                        ; implicit-def: $vgpr18
                                        ; implicit-def: $vgpr13
                                        ; implicit-def: $vgpr14
                                        ; implicit-def: $vgpr24
                                        ; implicit-def: $vgpr27
.LBB80_169:
	s_andn2_saveexec_b64 s[12:13], s[12:13]
	s_cbranch_execz .LBB80_191
; %bb.170:
	v_cmp_lt_i64_e32 vcc, 14, v[0:1]
	s_mov_b64 s[14:15], s[6:7]
	s_and_saveexec_b64 s[16:17], vcc
	s_xor_b64 s[16:17], exec, s[16:17]
	s_cbranch_execz .LBB80_180
; %bb.171:
	v_cmp_lt_i64_e32 vcc, 15, v[0:1]
	s_and_saveexec_b64 s[14:15], vcc
	s_xor_b64 s[14:15], exec, s[14:15]
	s_cbranch_execz .LBB80_177
; %bb.172:
	v_cmp_lt_i64_e32 vcc, 16, v[0:1]
	s_and_saveexec_b64 s[18:19], vcc
	s_xor_b64 s[18:19], exec, s[18:19]
	s_cbranch_execz .LBB80_174
; %bb.173:
	v_mov_b32_e32 v2, 0
	global_store_short v2, v27, s[2:3]
                                        ; implicit-def: $vgpr24
.LBB80_174:
	s_andn2_saveexec_b64 s[18:19], s[18:19]
	s_cbranch_execz .LBB80_176
; %bb.175:
	v_mov_b32_e32 v2, 0
	global_store_short v2, v24, s[2:3]
.LBB80_176:
	s_or_b64 exec, exec, s[18:19]
                                        ; implicit-def: $vgpr10
.LBB80_177:
	s_or_saveexec_b64 s[14:15], s[14:15]
	s_mov_b64 s[18:19], s[6:7]
	s_xor_b64 exec, exec, s[14:15]
; %bb.178:
	s_or_b64 s[18:19], s[6:7], exec
; %bb.179:
	s_or_b64 exec, exec, s[14:15]
	s_andn2_b64 s[14:15], s[6:7], exec
	s_and_b64 s[18:19], s[18:19], exec
	s_or_b64 s[14:15], s[14:15], s[18:19]
                                        ; implicit-def: $vgpr18
                                        ; implicit-def: $vgpr13
                                        ; implicit-def: $vgpr14
.LBB80_180:
	s_or_saveexec_b64 s[16:17], s[16:17]
	s_mov_b64 s[18:19], s[8:9]
                                        ; implicit-def: $vgpr11
	s_xor_b64 exec, exec, s[16:17]
	s_cbranch_execz .LBB80_190
; %bb.181:
	v_cmp_lt_i64_e32 vcc, 12, v[0:1]
	s_mov_b64 s[20:21], s[8:9]
	s_mov_b64 s[22:23], s[14:15]
                                        ; implicit-def: $vgpr10
                                        ; implicit-def: $vgpr11
	s_and_saveexec_b64 s[18:19], vcc
	s_xor_b64 s[18:19], exec, s[18:19]
	s_cbranch_execz .LBB80_187
; %bb.182:
	v_cmp_lt_i64_e32 vcc, 13, v[0:1]
	s_mov_b64 s[20:21], s[14:15]
	s_and_saveexec_b64 s[22:23], vcc
	s_xor_b64 s[22:23], exec, s[22:23]
; %bb.183:
	s_or_b64 s[20:21], s[14:15], exec
                                        ; implicit-def: $vgpr13
; %bb.184:
	s_or_saveexec_b64 s[22:23], s[22:23]
	s_mov_b64 s[24:25], s[8:9]
	s_xor_b64 exec, exec, s[22:23]
; %bb.185:
	s_or_b64 s[24:25], s[8:9], exec
                                        ; implicit-def: $vgpr14
; %bb.186:
	s_or_b64 exec, exec, s[22:23]
	s_andn2_b64 s[22:23], s[14:15], exec
	s_and_b64 s[20:21], s[20:21], exec
	s_or_b64 s[22:23], s[22:23], s[20:21]
	s_andn2_b64 s[20:21], s[8:9], exec
	s_and_b64 s[24:25], s[24:25], exec
	s_or_b64 s[20:21], s[20:21], s[24:25]
	v_mov_b32_e32 v10, v14
	v_mov_b32_e32 v11, v13
                                        ; implicit-def: $vgpr18
.LBB80_187:
	s_andn2_saveexec_b64 s[18:19], s[18:19]
; %bb.188:
	s_or_b64 s[20:21], s[20:21], exec
                                        ; implicit-def: $vgpr10
	v_mov_b32_e32 v11, v18
; %bb.189:
	s_or_b64 exec, exec, s[18:19]
	s_andn2_b64 s[14:15], s[14:15], exec
	s_and_b64 s[18:19], s[22:23], exec
	s_or_b64 s[14:15], s[14:15], s[18:19]
	s_andn2_b64 s[18:19], s[8:9], exec
	s_and_b64 s[20:21], s[20:21], exec
	s_or_b64 s[18:19], s[18:19], s[20:21]
.LBB80_190:
	s_or_b64 exec, exec, s[16:17]
	s_andn2_b64 s[6:7], s[6:7], exec
	s_and_b64 s[14:15], s[14:15], exec
	s_or_b64 s[6:7], s[6:7], s[14:15]
	s_andn2_b64 s[8:9], s[8:9], exec
	s_and_b64 s[14:15], s[18:19], exec
	s_or_b64 s[8:9], s[8:9], s[14:15]
                                        ; implicit-def: $vgpr12
.LBB80_191:
	s_or_b64 exec, exec, s[12:13]
	s_and_b64 s[6:7], s[6:7], exec
	s_and_b64 s[8:9], s[8:9], exec
	;; [unrolled: 1-line block ×3, first 2 shown]
                                        ; implicit-def: $vgpr17
                                        ; implicit-def: $vgpr15
                                        ; implicit-def: $vgpr16
                                        ; implicit-def: $vgpr25
                                        ; implicit-def: $vgpr22
                                        ; implicit-def: $vgpr19
	s_andn2_saveexec_b64 s[4:5], s[4:5]
	s_cbranch_execz .LBB80_142
.LBB80_192:
	v_cmp_lt_i64_e32 vcc, 5, v[0:1]
	s_mov_b64 s[14:15], -1
	s_mov_b64 s[12:13], s[10:11]
	s_mov_b64 s[16:17], s[8:9]
	;; [unrolled: 1-line block ×3, first 2 shown]
                                        ; implicit-def: $vgpr10
                                        ; implicit-def: $vgpr11
                                        ; implicit-def: $vgpr12
	s_and_saveexec_b64 s[0:1], vcc
	s_cbranch_execz .LBB80_208
; %bb.193:
	v_cmp_lt_i64_e32 vcc, 8, v[0:1]
	s_mov_b64 s[12:13], s[10:11]
                                        ; implicit-def: $vgpr12
	s_and_saveexec_b64 s[14:15], vcc
	s_xor_b64 s[14:15], exec, s[14:15]
	s_cbranch_execz .LBB80_203
; %bb.194:
	v_cmp_lt_i64_e32 vcc, 9, v[0:1]
	s_and_saveexec_b64 s[12:13], vcc
	s_xor_b64 s[12:13], exec, s[12:13]
	s_cbranch_execz .LBB80_200
; %bb.195:
	v_cmp_lt_i64_e32 vcc, 10, v[0:1]
	s_and_saveexec_b64 s[16:17], vcc
	s_xor_b64 s[16:17], exec, s[16:17]
; %bb.196:
                                        ; implicit-def: $vgpr22
; %bb.197:
	s_andn2_saveexec_b64 s[16:17], s[16:17]
; %bb.198:
	v_mov_b32_e32 v19, v22
; %bb.199:
	s_or_b64 exec, exec, s[16:17]
                                        ; implicit-def: $vgpr25
.LBB80_200:
	s_andn2_saveexec_b64 s[12:13], s[12:13]
; %bb.201:
	v_mov_b32_e32 v19, v25
; %bb.202:
	s_or_b64 exec, exec, s[12:13]
	s_or_b64 s[12:13], s[10:11], exec
	v_mov_b32_e32 v12, v19
                                        ; implicit-def: $vgpr17
                                        ; implicit-def: $vgpr15
                                        ; implicit-def: $vgpr16
.LBB80_203:
	s_or_saveexec_b64 s[14:15], s[14:15]
	s_mov_b64 s[16:17], s[8:9]
	s_mov_b64 s[20:21], s[6:7]
                                        ; implicit-def: $vgpr10
                                        ; implicit-def: $vgpr11
	s_xor_b64 exec, exec, s[14:15]
	s_cbranch_execz .LBB80_207
; %bb.204:
	v_cmp_lt_i64_e32 vcc, 6, v[0:1]
	s_mov_b64 s[20:21], -1
	s_mov_b64 s[18:19], s[12:13]
	s_mov_b64 s[16:17], s[8:9]
	s_and_saveexec_b64 s[22:23], vcc
; %bb.205:
	v_cmp_lt_i64_e32 vcc, 7, v[0:1]
	s_andn2_b64 s[18:19], s[12:13], exec
	s_and_b64 s[24:25], vcc, exec
	s_xor_b64 s[20:21], exec, -1
	s_or_b64 s[16:17], s[8:9], exec
	s_or_b64 s[18:19], s[18:19], s[24:25]
                                        ; implicit-def: $vgpr17
; %bb.206:
	s_or_b64 exec, exec, s[22:23]
	s_andn2_b64 s[22:23], s[6:7], exec
	s_and_b64 s[20:21], s[20:21], exec
	s_or_b64 s[20:21], s[22:23], s[20:21]
	s_andn2_b64 s[22:23], s[8:9], exec
	s_and_b64 s[16:17], s[16:17], exec
	s_andn2_b64 s[12:13], s[12:13], exec
	s_and_b64 s[18:19], s[18:19], exec
	s_or_b64 s[16:17], s[22:23], s[16:17]
	s_or_b64 s[12:13], s[12:13], s[18:19]
	v_mov_b32_e32 v10, v17
	v_mov_b32_e32 v11, v15
	;; [unrolled: 1-line block ×3, first 2 shown]
.LBB80_207:
	s_or_b64 exec, exec, s[14:15]
	s_andn2_b64 s[18:19], s[6:7], exec
	s_and_b64 s[20:21], s[20:21], exec
	s_or_b64 s[18:19], s[18:19], s[20:21]
	s_andn2_b64 s[20:21], s[8:9], exec
	s_and_b64 s[16:17], s[16:17], exec
	s_or_b64 s[16:17], s[20:21], s[16:17]
	s_andn2_b64 s[20:21], s[10:11], exec
	s_and_b64 s[12:13], s[12:13], exec
	s_xor_b64 s[14:15], exec, -1
	s_or_b64 s[12:13], s[20:21], s[12:13]
.LBB80_208:
	s_or_b64 exec, exec, s[0:1]
	s_and_b64 s[0:1], s[14:15], exec
	s_andn2_b64 s[6:7], s[6:7], exec
	s_and_b64 s[14:15], s[18:19], exec
	s_or_b64 s[6:7], s[6:7], s[14:15]
	s_andn2_b64 s[8:9], s[8:9], exec
	s_and_b64 s[14:15], s[16:17], exec
	s_andn2_b64 s[10:11], s[10:11], exec
	s_and_b64 s[12:13], s[12:13], exec
	s_or_b64 s[8:9], s[8:9], s[14:15]
	s_or_b64 s[10:11], s[10:11], s[12:13]
	s_or_b64 exec, exec, s[4:5]
	s_and_saveexec_b64 s[4:5], s[10:11]
	s_cbranch_execz .LBB80_143
.LBB80_209:
	v_mov_b32_e32 v2, 0
	s_andn2_b64 s[8:9], s[8:9], exec
	global_store_short v2, v12, s[2:3]
                                        ; implicit-def: $vgpr10
                                        ; implicit-def: $vgpr11
	s_or_b64 exec, exec, s[4:5]
	s_and_saveexec_b64 s[4:5], s[8:9]
	s_cbranch_execz .LBB80_144
.LBB80_210:
	v_mov_b32_e32 v2, 0
	global_store_short v2, v11, s[2:3]
                                        ; implicit-def: $vgpr10
	s_or_b64 exec, exec, s[4:5]
	s_and_saveexec_b64 s[4:5], s[6:7]
	s_xor_b64 s[4:5], exec, s[4:5]
	s_cbranch_execz .LBB80_145
.LBB80_211:
	v_mov_b32_e32 v2, 0
	global_store_short v2, v10, s[2:3]
	s_or_b64 exec, exec, s[4:5]
	s_and_b64 exec, exec, s[0:1]
	s_cbranch_execz .LBB80_146
.LBB80_212:
	v_cmp_lt_i64_e32 vcc, 2, v[0:1]
	s_and_saveexec_b64 s[0:1], vcc
	s_xor_b64 s[0:1], exec, s[0:1]
	s_cbranch_execz .LBB80_222
; %bb.213:
	v_cmp_lt_i64_e32 vcc, 3, v[0:1]
	s_and_saveexec_b64 s[4:5], vcc
	s_xor_b64 s[4:5], exec, s[4:5]
	s_cbranch_execz .LBB80_219
; %bb.214:
	;; [unrolled: 5-line block ×3, first 2 shown]
	v_mov_b32_e32 v0, 0
	global_store_short v0, v9, s[2:3]
                                        ; implicit-def: $vgpr6
.LBB80_216:
	s_andn2_saveexec_b64 s[6:7], s[6:7]
	s_cbranch_execz .LBB80_218
; %bb.217:
	v_mov_b32_e32 v0, 0
	global_store_short v0, v6, s[2:3]
.LBB80_218:
	s_or_b64 exec, exec, s[6:7]
                                        ; implicit-def: $vgpr8
.LBB80_219:
	s_andn2_saveexec_b64 s[4:5], s[4:5]
	s_cbranch_execz .LBB80_221
; %bb.220:
	v_mov_b32_e32 v0, 0
	global_store_short v0, v8, s[2:3]
.LBB80_221:
	s_or_b64 exec, exec, s[4:5]
                                        ; implicit-def: $vgpr0_vgpr1
                                        ; implicit-def: $vgpr7
                                        ; implicit-def: $vgpr4
                                        ; implicit-def: $vgpr5
.LBB80_222:
	s_andn2_saveexec_b64 s[0:1], s[0:1]
	s_cbranch_execz .LBB80_146
; %bb.223:
	v_cmp_lt_i64_e32 vcc, 1, v[0:1]
	s_and_saveexec_b64 s[0:1], vcc
	s_xor_b64 s[0:1], exec, s[0:1]
	s_cbranch_execz .LBB80_225
; %bb.224:
	v_mov_b32_e32 v0, 0
	global_store_short v0, v7, s[2:3]
                                        ; implicit-def: $vgpr4
                                        ; implicit-def: $vgpr0_vgpr1
                                        ; implicit-def: $vgpr5
.LBB80_225:
	s_andn2_saveexec_b64 s[0:1], s[0:1]
	s_cbranch_execz .LBB80_146
; %bb.226:
	v_cmp_ne_u64_e32 vcc, 1, v[0:1]
	s_and_saveexec_b64 s[0:1], vcc
	s_xor_b64 s[0:1], exec, s[0:1]
	s_cbranch_execz .LBB80_228
; %bb.227:
	v_mov_b32_e32 v0, 0
	global_store_short v0, v5, s[2:3]
                                        ; implicit-def: $vgpr4
.LBB80_228:
	s_andn2_saveexec_b64 s[0:1], s[0:1]
	s_cbranch_execz .LBB80_146
; %bb.229:
	v_mov_b32_e32 v0, 0
	global_store_short v0, v4, s[2:3]
	s_endpgm
	.section	.rodata,"a",@progbits
	.p2align	6, 0x0
	.amdhsa_kernel _ZN7rocprim6detail20lookback_scan_kernelILNS0_25lookback_scan_determinismE0ELb1ENS0_19wrapped_scan_configINS_14default_configE12hip_bfloat16EEPS5_S7_N6hipcub3MaxES5_S5_NS0_19lookback_scan_stateIS5_Lb0ELb1EEEEEvT2_T3_mT5_T4_T7_jPT6_SI_bb
		.amdhsa_group_segment_fixed_size 3072
		.amdhsa_private_segment_fixed_size 0
		.amdhsa_kernarg_size 68
		.amdhsa_user_sgpr_count 6
		.amdhsa_user_sgpr_private_segment_buffer 1
		.amdhsa_user_sgpr_dispatch_ptr 0
		.amdhsa_user_sgpr_queue_ptr 0
		.amdhsa_user_sgpr_kernarg_segment_ptr 1
		.amdhsa_user_sgpr_dispatch_id 0
		.amdhsa_user_sgpr_flat_scratch_init 0
		.amdhsa_user_sgpr_kernarg_preload_length 0
		.amdhsa_user_sgpr_kernarg_preload_offset 0
		.amdhsa_user_sgpr_private_segment_size 0
		.amdhsa_uses_dynamic_stack 0
		.amdhsa_system_sgpr_private_segment_wavefront_offset 0
		.amdhsa_system_sgpr_workgroup_id_x 1
		.amdhsa_system_sgpr_workgroup_id_y 0
		.amdhsa_system_sgpr_workgroup_id_z 0
		.amdhsa_system_sgpr_workgroup_info 0
		.amdhsa_system_vgpr_workitem_id 0
		.amdhsa_next_free_vgpr 81
		.amdhsa_next_free_sgpr 32
		.amdhsa_accum_offset 84
		.amdhsa_reserve_vcc 1
		.amdhsa_reserve_flat_scratch 0
		.amdhsa_float_round_mode_32 0
		.amdhsa_float_round_mode_16_64 0
		.amdhsa_float_denorm_mode_32 3
		.amdhsa_float_denorm_mode_16_64 3
		.amdhsa_dx10_clamp 1
		.amdhsa_ieee_mode 1
		.amdhsa_fp16_overflow 0
		.amdhsa_tg_split 0
		.amdhsa_exception_fp_ieee_invalid_op 0
		.amdhsa_exception_fp_denorm_src 0
		.amdhsa_exception_fp_ieee_div_zero 0
		.amdhsa_exception_fp_ieee_overflow 0
		.amdhsa_exception_fp_ieee_underflow 0
		.amdhsa_exception_fp_ieee_inexact 0
		.amdhsa_exception_int_div_zero 0
	.end_amdhsa_kernel
	.section	.text._ZN7rocprim6detail20lookback_scan_kernelILNS0_25lookback_scan_determinismE0ELb1ENS0_19wrapped_scan_configINS_14default_configE12hip_bfloat16EEPS5_S7_N6hipcub3MaxES5_S5_NS0_19lookback_scan_stateIS5_Lb0ELb1EEEEEvT2_T3_mT5_T4_T7_jPT6_SI_bb,"axG",@progbits,_ZN7rocprim6detail20lookback_scan_kernelILNS0_25lookback_scan_determinismE0ELb1ENS0_19wrapped_scan_configINS_14default_configE12hip_bfloat16EEPS5_S7_N6hipcub3MaxES5_S5_NS0_19lookback_scan_stateIS5_Lb0ELb1EEEEEvT2_T3_mT5_T4_T7_jPT6_SI_bb,comdat
.Lfunc_end80:
	.size	_ZN7rocprim6detail20lookback_scan_kernelILNS0_25lookback_scan_determinismE0ELb1ENS0_19wrapped_scan_configINS_14default_configE12hip_bfloat16EEPS5_S7_N6hipcub3MaxES5_S5_NS0_19lookback_scan_stateIS5_Lb0ELb1EEEEEvT2_T3_mT5_T4_T7_jPT6_SI_bb, .Lfunc_end80-_ZN7rocprim6detail20lookback_scan_kernelILNS0_25lookback_scan_determinismE0ELb1ENS0_19wrapped_scan_configINS_14default_configE12hip_bfloat16EEPS5_S7_N6hipcub3MaxES5_S5_NS0_19lookback_scan_stateIS5_Lb0ELb1EEEEEvT2_T3_mT5_T4_T7_jPT6_SI_bb
                                        ; -- End function
	.section	.AMDGPU.csdata,"",@progbits
; Kernel info:
; codeLenInByte = 9232
; NumSgprs: 36
; NumVgprs: 81
; NumAgprs: 0
; TotalNumVgprs: 81
; ScratchSize: 0
; MemoryBound: 0
; FloatMode: 240
; IeeeMode: 1
; LDSByteSize: 3072 bytes/workgroup (compile time only)
; SGPRBlocks: 4
; VGPRBlocks: 10
; NumSGPRsForWavesPerEU: 36
; NumVGPRsForWavesPerEU: 81
; AccumOffset: 84
; Occupancy: 5
; WaveLimiterHint : 1
; COMPUTE_PGM_RSRC2:SCRATCH_EN: 0
; COMPUTE_PGM_RSRC2:USER_SGPR: 6
; COMPUTE_PGM_RSRC2:TRAP_HANDLER: 0
; COMPUTE_PGM_RSRC2:TGID_X_EN: 1
; COMPUTE_PGM_RSRC2:TGID_Y_EN: 0
; COMPUTE_PGM_RSRC2:TGID_Z_EN: 0
; COMPUTE_PGM_RSRC2:TIDIG_COMP_CNT: 0
; COMPUTE_PGM_RSRC3_GFX90A:ACCUM_OFFSET: 20
; COMPUTE_PGM_RSRC3_GFX90A:TG_SPLIT: 0
	.section	.text._ZN7rocprim6detail18single_scan_kernelILb1ENS0_19wrapped_scan_configINS_14default_configE12hip_bfloat16EEPS4_S6_N6hipcub3MaxES4_S4_EEvT1_mT4_T2_T3_,"axG",@progbits,_ZN7rocprim6detail18single_scan_kernelILb1ENS0_19wrapped_scan_configINS_14default_configE12hip_bfloat16EEPS4_S6_N6hipcub3MaxES4_S4_EEvT1_mT4_T2_T3_,comdat
	.protected	_ZN7rocprim6detail18single_scan_kernelILb1ENS0_19wrapped_scan_configINS_14default_configE12hip_bfloat16EEPS4_S6_N6hipcub3MaxES4_S4_EEvT1_mT4_T2_T3_ ; -- Begin function _ZN7rocprim6detail18single_scan_kernelILb1ENS0_19wrapped_scan_configINS_14default_configE12hip_bfloat16EEPS4_S6_N6hipcub3MaxES4_S4_EEvT1_mT4_T2_T3_
	.globl	_ZN7rocprim6detail18single_scan_kernelILb1ENS0_19wrapped_scan_configINS_14default_configE12hip_bfloat16EEPS4_S6_N6hipcub3MaxES4_S4_EEvT1_mT4_T2_T3_
	.p2align	8
	.type	_ZN7rocprim6detail18single_scan_kernelILb1ENS0_19wrapped_scan_configINS_14default_configE12hip_bfloat16EEPS4_S6_N6hipcub3MaxES4_S4_EEvT1_mT4_T2_T3_,@function
_ZN7rocprim6detail18single_scan_kernelILb1ENS0_19wrapped_scan_configINS_14default_configE12hip_bfloat16EEPS4_S6_N6hipcub3MaxES4_S4_EEvT1_mT4_T2_T3_: ; @_ZN7rocprim6detail18single_scan_kernelILb1ENS0_19wrapped_scan_configINS_14default_configE12hip_bfloat16EEPS4_S6_N6hipcub3MaxES4_S4_EEvT1_mT4_T2_T3_
; %bb.0:
	s_load_dwordx4 s[44:47], s[4:5], 0x0
	v_mov_b32_e32 v1, 0
	v_lshlrev_b32_e32 v14, 1, v0
	s_waitcnt lgkmcnt(0)
	global_load_ushort v1, v1, s[44:45]
	v_mov_b32_e32 v3, s45
	v_add_co_u32_e32 v2, vcc, s44, v14
	v_addc_co_u32_e32 v3, vcc, 0, v3, vcc
	v_cmp_gt_u32_e32 vcc, s46, v0
	s_waitcnt vmcnt(0)
	v_mov_b32_e32 v4, v1
	s_and_saveexec_b64 s[0:1], vcc
	s_cbranch_execz .LBB81_2
; %bb.1:
	global_load_ushort v4, v[2:3], off
.LBB81_2:
	s_or_b64 exec, exec, s[0:1]
	v_or_b32_e32 v5, 64, v0
	v_cmp_gt_u32_e64 s[0:1], s46, v5
	v_mov_b32_e32 v5, v1
	s_and_saveexec_b64 s[2:3], s[0:1]
	s_cbranch_execz .LBB81_4
; %bb.3:
	global_load_ushort v5, v[2:3], off offset:128
.LBB81_4:
	s_or_b64 exec, exec, s[2:3]
	v_or_b32_e32 v6, 0x80, v0
	v_cmp_gt_u32_e64 s[2:3], s46, v6
	v_mov_b32_e32 v6, v1
	s_and_saveexec_b64 s[6:7], s[2:3]
	s_cbranch_execz .LBB81_6
; %bb.5:
	global_load_ushort v6, v[2:3], off offset:256
.LBB81_6:
	;; [unrolled: 9-line block ×22, first 2 shown]
	s_or_b64 exec, exec, s[50:51]
	v_or_b32_e32 v28, 0x5c0, v0
	v_cmp_gt_u32_e64 s[46:47], s46, v28
	s_and_saveexec_b64 s[50:51], s[46:47]
	s_cbranch_execz .LBB81_48
; %bb.47:
	global_load_ushort v1, v[2:3], off offset:2944
.LBB81_48:
	s_or_b64 exec, exec, s[50:51]
	s_waitcnt vmcnt(0)
	ds_write_b16 v14, v4
	ds_write_b16 v14, v5 offset:128
	ds_write_b16 v14, v6 offset:256
	;; [unrolled: 1-line block ×23, first 2 shown]
	v_mad_u32_u24 v1, v0, 46, v14
	s_waitcnt lgkmcnt(0)
	; wave barrier
	s_waitcnt lgkmcnt(0)
	ds_read_b128 v[10:13], v1
	ds_read_b128 v[6:9], v1 offset:16
	ds_read_b128 v[2:5], v1 offset:32
	s_waitcnt lgkmcnt(0)
	; wave barrier
	s_waitcnt lgkmcnt(0)
	v_and_b32_e32 v25, 0xffff0000, v10
	v_lshlrev_b32_e32 v27, 16, v10
	v_lshrrev_b32_e32 v26, 16, v10
	v_cmp_lt_f32_e64 s[50:51], v27, v25
	v_cndmask_b32_e64 v29, v10, v26, s[50:51]
	v_lshlrev_b32_e32 v30, 16, v29
	v_lshlrev_b32_e32 v28, 16, v11
	v_cmp_lt_f32_e64 s[50:51], v30, v28
	v_cndmask_b32_e64 v30, v29, v11, s[50:51]
	v_lshlrev_b32_e32 v31, 16, v30
	v_and_b32_e32 v29, 0xffff0000, v11
	v_lshrrev_b32_e32 v24, 16, v11
	v_cmp_lt_f32_e64 s[50:51], v31, v29
	v_cndmask_b32_e64 v31, v30, v24, s[50:51]
	v_lshlrev_b32_e32 v32, 16, v31
	v_lshlrev_b32_e32 v30, 16, v12
	v_cmp_lt_f32_e64 s[50:51], v32, v30
	v_cndmask_b32_e64 v32, v31, v12, s[50:51]
	v_lshlrev_b32_e32 v33, 16, v32
	v_and_b32_e32 v31, 0xffff0000, v12
	;; [unrolled: 9-line block ×11, first 2 shown]
	v_lshrrev_b32_e32 v49, 16, v5
	v_cmp_lt_f32_e64 s[50:51], v51, v52
	v_cndmask_b32_e64 v50, v50, v49, s[50:51]
	v_and_b32_e32 v52, 0xffff, v50
	v_mbcnt_lo_u32_b32 v49, -1, 0
	v_lshlrev_b32_e32 v55, 16, v50
	v_mov_b32_dpp v53, v52 row_shr:1 row_mask:0xf bank_mask:0xf
	v_lshlrev_b32_e32 v54, 16, v53
	v_mbcnt_hi_u32_b32 v49, -1, v49
	v_cmp_lt_f32_e64 s[50:51], v54, v55
	v_and_b32_e32 v51, 15, v49
	v_cndmask_b32_e64 v53, v53, v50, s[50:51]
	v_and_b32_e32 v54, 0xffff, v53
	v_cmp_eq_u32_e64 s[50:51], 0, v51
	v_cndmask_b32_e64 v52, v54, v52, s[50:51]
	v_cndmask_b32_e64 v50, v53, v50, s[50:51]
	v_lshlrev_b32_e32 v54, 16, v52
	v_mov_b32_dpp v53, v52 row_shr:2 row_mask:0xf bank_mask:0xf
	v_lshlrev_b32_e32 v55, 16, v53
	v_cmp_lt_f32_e64 s[50:51], v55, v54
	v_cndmask_b32_e64 v53, v53, v50, s[50:51]
	v_and_b32_e32 v54, 0xffff, v53
	v_cmp_lt_u32_e64 s[50:51], 1, v51
	v_cndmask_b32_e64 v52, v52, v54, s[50:51]
	v_cndmask_b32_e64 v50, v50, v53, s[50:51]
	v_lshlrev_b32_e32 v54, 16, v52
	v_mov_b32_dpp v53, v52 row_shr:4 row_mask:0xf bank_mask:0xf
	v_lshlrev_b32_e32 v55, 16, v53
	v_cmp_lt_f32_e64 s[50:51], v55, v54
	v_cndmask_b32_e64 v53, v53, v50, s[50:51]
	v_and_b32_e32 v54, 0xffff, v53
	v_cmp_lt_u32_e64 s[50:51], 3, v51
	;; [unrolled: 9-line block ×3, first 2 shown]
	v_cndmask_b32_e64 v51, v52, v54, s[50:51]
	v_lshlrev_b32_e32 v54, 16, v51
	v_cndmask_b32_e64 v50, v50, v53, s[50:51]
	v_mov_b32_dpp v52, v51 row_bcast:15 row_mask:0xf bank_mask:0xf
	v_lshlrev_b32_e32 v55, 16, v52
	v_cmp_lt_f32_e64 s[50:51], v55, v54
	v_and_b32_e32 v53, 16, v49
	v_cndmask_b32_e64 v52, v52, v50, s[50:51]
	v_and_b32_e32 v54, 0xffff, v52
	v_cmp_eq_u32_e64 s[50:51], 0, v53
	v_cndmask_b32_e64 v51, v54, v51, s[50:51]
	v_cndmask_b32_e64 v50, v52, v50, s[50:51]
	s_nop 0
	v_mov_b32_dpp v52, v51 row_bcast:31 row_mask:0xf bank_mask:0xf
	v_lshlrev_b32_e32 v51, 16, v51
	v_lshlrev_b32_e32 v53, 16, v52
	v_cmp_lt_f32_e64 s[50:51], v53, v51
	v_cndmask_b32_e64 v51, v52, v50, s[50:51]
	v_cmp_lt_u32_e64 s[50:51], 31, v49
	v_cndmask_b32_e64 v50, v50, v51, s[50:51]
	v_cmp_eq_u32_e64 s[50:51], 63, v0
	s_and_saveexec_b64 s[52:53], s[50:51]
	s_cbranch_execz .LBB81_50
; %bb.49:
	v_mov_b32_e32 v51, 0
	ds_write_b16 v51, v50
.LBB81_50:
	s_or_b64 exec, exec, s[52:53]
	s_load_dword s33, s[4:5], 0x10
	s_load_dwordx2 s[52:53], s[4:5], 0x18
	v_lshlrev_b32_e32 v51, 16, v50
	v_and_b32_e32 v53, 64, v49
	v_cmp_eq_u32_e64 s[50:51], 0, v0
	s_waitcnt lgkmcnt(0)
	s_lshl_b32 s4, s33, 16
	v_mov_b32_e32 v52, s33
	v_cmp_lt_f32_e64 s[4:5], s4, v51
	v_add_u32_e32 v51, -1, v49
	v_cndmask_b32_e64 v50, v52, v50, s[4:5]
	v_cmp_lt_i32_e64 s[4:5], v51, v53
	v_cndmask_b32_e64 v51, v51, v49, s[4:5]
	v_and_b32_e32 v50, 0xffff, v50
	v_lshlrev_b32_e32 v51, 2, v51
	ds_bpermute_b32 v50, v51, v50
	v_cmp_eq_u32_e64 s[4:5], 0, v49
	s_or_b64 s[4:5], s[50:51], s[4:5]
	s_waitcnt lgkmcnt(0)
	; wave barrier
	s_waitcnt lgkmcnt(0)
	v_cndmask_b32_e64 v49, v50, v52, s[4:5]
	v_lshlrev_b32_e32 v50, 16, v49
	v_cmp_gt_f32_e64 s[4:5], v27, v50
	v_cndmask_b32_e64 v10, v49, v10, s[4:5]
	v_lshlrev_b32_e32 v27, 16, v10
	v_cmp_gt_f32_e64 s[4:5], v25, v27
	;; [unrolled: 3-line block ×23, first 2 shown]
	v_cndmask_b32_e64 v29, v15, v5, s[4:5]
	s_mov_b32 s4, 0x5040100
	v_perm_b32 v5, v13, v23, s4
	v_perm_b32 v4, v12, v24, s4
	v_perm_b32 v3, v11, v25, s4
	v_perm_b32 v2, v10, v49, s4
	s_waitcnt lgkmcnt(0)
	; wave barrier
	ds_write_b128 v1, v[2:5]
	v_perm_b32 v5, v9, v19, s4
	v_perm_b32 v4, v8, v20, s4
	;; [unrolled: 1-line block ×4, first 2 shown]
	ds_write_b128 v1, v[2:5] offset:16
	v_perm_b32 v5, v29, v15, s4
	v_perm_b32 v4, v28, v16, s4
	;; [unrolled: 1-line block ×4, first 2 shown]
	s_movk_i32 s4, 0xffd2
	v_mad_i32_i24 v0, v0, s4, v1
	ds_write_b128 v1, v[2:5] offset:32
	s_waitcnt lgkmcnt(0)
	; wave barrier
	s_waitcnt lgkmcnt(0)
	ds_read_u16 v24, v0 offset:256
	ds_read_u16 v23, v0 offset:384
	;; [unrolled: 1-line block ×23, first 2 shown]
	v_mov_b32_e32 v1, s53
	v_add_co_u32_e64 v0, s[4:5], s52, v14
	v_addc_co_u32_e64 v1, s[4:5], 0, v1, s[4:5]
	s_and_saveexec_b64 s[4:5], vcc
	s_cbranch_execnz .LBB81_75
; %bb.51:
	s_or_b64 exec, exec, s[4:5]
	s_and_saveexec_b64 s[4:5], s[0:1]
	s_cbranch_execnz .LBB81_76
.LBB81_52:
	s_or_b64 exec, exec, s[4:5]
	s_and_saveexec_b64 s[0:1], s[2:3]
	s_cbranch_execnz .LBB81_77
.LBB81_53:
	s_or_b64 exec, exec, s[0:1]
	s_and_saveexec_b64 s[0:1], s[48:49]
	s_cbranch_execnz .LBB81_78
.LBB81_54:
	s_or_b64 exec, exec, s[0:1]
	s_and_saveexec_b64 s[0:1], s[6:7]
	s_cbranch_execnz .LBB81_79
.LBB81_55:
	s_or_b64 exec, exec, s[0:1]
	s_and_saveexec_b64 s[0:1], s[8:9]
	s_cbranch_execnz .LBB81_80
.LBB81_56:
	s_or_b64 exec, exec, s[0:1]
	s_and_saveexec_b64 s[0:1], s[10:11]
	s_cbranch_execnz .LBB81_81
.LBB81_57:
	s_or_b64 exec, exec, s[0:1]
	s_and_saveexec_b64 s[0:1], s[12:13]
	s_cbranch_execnz .LBB81_82
.LBB81_58:
	s_or_b64 exec, exec, s[0:1]
	s_and_saveexec_b64 s[0:1], s[14:15]
	s_cbranch_execnz .LBB81_83
.LBB81_59:
	s_or_b64 exec, exec, s[0:1]
	s_and_saveexec_b64 s[0:1], s[16:17]
	s_cbranch_execnz .LBB81_84
.LBB81_60:
	s_or_b64 exec, exec, s[0:1]
	s_and_saveexec_b64 s[0:1], s[18:19]
	s_cbranch_execnz .LBB81_85
.LBB81_61:
	s_or_b64 exec, exec, s[0:1]
	s_and_saveexec_b64 s[0:1], s[20:21]
	s_cbranch_execnz .LBB81_86
.LBB81_62:
	s_or_b64 exec, exec, s[0:1]
	s_and_saveexec_b64 s[0:1], s[22:23]
	s_cbranch_execnz .LBB81_87
.LBB81_63:
	s_or_b64 exec, exec, s[0:1]
	s_and_saveexec_b64 s[0:1], s[24:25]
	s_cbranch_execnz .LBB81_88
.LBB81_64:
	s_or_b64 exec, exec, s[0:1]
	s_and_saveexec_b64 s[0:1], s[26:27]
	s_cbranch_execnz .LBB81_89
.LBB81_65:
	s_or_b64 exec, exec, s[0:1]
	s_and_saveexec_b64 s[0:1], s[28:29]
	s_cbranch_execnz .LBB81_90
.LBB81_66:
	s_or_b64 exec, exec, s[0:1]
	s_and_saveexec_b64 s[0:1], s[30:31]
	s_cbranch_execnz .LBB81_91
.LBB81_67:
	s_or_b64 exec, exec, s[0:1]
	s_and_saveexec_b64 s[0:1], s[34:35]
	s_cbranch_execnz .LBB81_92
.LBB81_68:
	s_or_b64 exec, exec, s[0:1]
	s_and_saveexec_b64 s[0:1], s[36:37]
	s_cbranch_execnz .LBB81_93
.LBB81_69:
	s_or_b64 exec, exec, s[0:1]
	s_and_saveexec_b64 s[0:1], s[38:39]
	s_cbranch_execnz .LBB81_94
.LBB81_70:
	s_or_b64 exec, exec, s[0:1]
	s_and_saveexec_b64 s[0:1], s[40:41]
	s_cbranch_execnz .LBB81_95
.LBB81_71:
	s_or_b64 exec, exec, s[0:1]
	s_and_saveexec_b64 s[0:1], s[42:43]
	s_cbranch_execnz .LBB81_96
.LBB81_72:
	s_or_b64 exec, exec, s[0:1]
	s_and_saveexec_b64 s[0:1], s[44:45]
	s_cbranch_execnz .LBB81_97
.LBB81_73:
	s_or_b64 exec, exec, s[0:1]
	s_and_saveexec_b64 s[0:1], s[46:47]
	s_cbranch_execnz .LBB81_98
.LBB81_74:
	s_endpgm
.LBB81_75:
	ds_read_u16 v14, v14
	s_waitcnt lgkmcnt(0)
	global_store_short v[0:1], v14, off
	s_or_b64 exec, exec, s[4:5]
	s_and_saveexec_b64 s[4:5], s[0:1]
	s_cbranch_execz .LBB81_52
.LBB81_76:
	s_waitcnt lgkmcnt(8)
	global_store_short v[0:1], v25, off offset:128
	s_or_b64 exec, exec, s[4:5]
	s_and_saveexec_b64 s[0:1], s[2:3]
	s_cbranch_execz .LBB81_53
.LBB81_77:
	s_waitcnt lgkmcnt(14)
	global_store_short v[0:1], v24, off offset:256
	s_or_b64 exec, exec, s[0:1]
	s_and_saveexec_b64 s[0:1], s[48:49]
	s_cbranch_execz .LBB81_54
.LBB81_78:
	s_waitcnt lgkmcnt(14)
	global_store_short v[0:1], v23, off offset:384
	s_or_b64 exec, exec, s[0:1]
	s_and_saveexec_b64 s[0:1], s[6:7]
	s_cbranch_execz .LBB81_55
.LBB81_79:
	s_waitcnt lgkmcnt(14)
	global_store_short v[0:1], v22, off offset:512
	s_or_b64 exec, exec, s[0:1]
	s_and_saveexec_b64 s[0:1], s[8:9]
	s_cbranch_execz .LBB81_56
.LBB81_80:
	s_waitcnt lgkmcnt(14)
	global_store_short v[0:1], v21, off offset:640
	s_or_b64 exec, exec, s[0:1]
	s_and_saveexec_b64 s[0:1], s[10:11]
	s_cbranch_execz .LBB81_57
.LBB81_81:
	s_waitcnt lgkmcnt(14)
	global_store_short v[0:1], v20, off offset:768
	s_or_b64 exec, exec, s[0:1]
	s_and_saveexec_b64 s[0:1], s[12:13]
	s_cbranch_execz .LBB81_58
.LBB81_82:
	s_waitcnt lgkmcnt(14)
	global_store_short v[0:1], v19, off offset:896
	s_or_b64 exec, exec, s[0:1]
	s_and_saveexec_b64 s[0:1], s[14:15]
	s_cbranch_execz .LBB81_59
.LBB81_83:
	s_waitcnt lgkmcnt(14)
	global_store_short v[0:1], v18, off offset:1024
	s_or_b64 exec, exec, s[0:1]
	s_and_saveexec_b64 s[0:1], s[16:17]
	s_cbranch_execz .LBB81_60
.LBB81_84:
	s_waitcnt lgkmcnt(14)
	global_store_short v[0:1], v17, off offset:1152
	s_or_b64 exec, exec, s[0:1]
	s_and_saveexec_b64 s[0:1], s[18:19]
	s_cbranch_execz .LBB81_61
.LBB81_85:
	s_waitcnt lgkmcnt(14)
	global_store_short v[0:1], v16, off offset:1280
	s_or_b64 exec, exec, s[0:1]
	s_and_saveexec_b64 s[0:1], s[20:21]
	s_cbranch_execz .LBB81_62
.LBB81_86:
	s_waitcnt lgkmcnt(13)
	global_store_short v[0:1], v15, off offset:1408
	s_or_b64 exec, exec, s[0:1]
	s_and_saveexec_b64 s[0:1], s[22:23]
	s_cbranch_execz .LBB81_63
.LBB81_87:
	s_waitcnt lgkmcnt(12)
	global_store_short v[0:1], v13, off offset:1536
	s_or_b64 exec, exec, s[0:1]
	s_and_saveexec_b64 s[0:1], s[24:25]
	s_cbranch_execz .LBB81_64
.LBB81_88:
	s_waitcnt lgkmcnt(11)
	global_store_short v[0:1], v12, off offset:1664
	s_or_b64 exec, exec, s[0:1]
	s_and_saveexec_b64 s[0:1], s[26:27]
	s_cbranch_execz .LBB81_65
.LBB81_89:
	s_waitcnt lgkmcnt(10)
	global_store_short v[0:1], v11, off offset:1792
	s_or_b64 exec, exec, s[0:1]
	s_and_saveexec_b64 s[0:1], s[28:29]
	s_cbranch_execz .LBB81_66
.LBB81_90:
	s_waitcnt lgkmcnt(9)
	global_store_short v[0:1], v10, off offset:1920
	s_or_b64 exec, exec, s[0:1]
	s_and_saveexec_b64 s[0:1], s[30:31]
	s_cbranch_execz .LBB81_67
.LBB81_91:
	s_waitcnt lgkmcnt(7)
	global_store_short v[0:1], v9, off offset:2048
	s_or_b64 exec, exec, s[0:1]
	s_and_saveexec_b64 s[0:1], s[34:35]
	s_cbranch_execz .LBB81_68
.LBB81_92:
	s_waitcnt lgkmcnt(6)
	global_store_short v[0:1], v8, off offset:2176
	s_or_b64 exec, exec, s[0:1]
	s_and_saveexec_b64 s[0:1], s[36:37]
	s_cbranch_execz .LBB81_69
.LBB81_93:
	s_waitcnt lgkmcnt(5)
	global_store_short v[0:1], v7, off offset:2304
	s_or_b64 exec, exec, s[0:1]
	s_and_saveexec_b64 s[0:1], s[38:39]
	s_cbranch_execz .LBB81_70
.LBB81_94:
	s_waitcnt lgkmcnt(4)
	global_store_short v[0:1], v6, off offset:2432
	s_or_b64 exec, exec, s[0:1]
	s_and_saveexec_b64 s[0:1], s[40:41]
	s_cbranch_execz .LBB81_71
.LBB81_95:
	s_waitcnt lgkmcnt(3)
	global_store_short v[0:1], v5, off offset:2560
	s_or_b64 exec, exec, s[0:1]
	s_and_saveexec_b64 s[0:1], s[42:43]
	s_cbranch_execz .LBB81_72
.LBB81_96:
	s_waitcnt lgkmcnt(2)
	global_store_short v[0:1], v4, off offset:2688
	s_or_b64 exec, exec, s[0:1]
	s_and_saveexec_b64 s[0:1], s[44:45]
	s_cbranch_execz .LBB81_73
.LBB81_97:
	s_waitcnt lgkmcnt(1)
	global_store_short v[0:1], v3, off offset:2816
	s_or_b64 exec, exec, s[0:1]
	s_and_saveexec_b64 s[0:1], s[46:47]
	s_cbranch_execz .LBB81_74
.LBB81_98:
	s_waitcnt lgkmcnt(0)
	global_store_short v[0:1], v2, off offset:2944
	s_endpgm
	.section	.rodata,"a",@progbits
	.p2align	6, 0x0
	.amdhsa_kernel _ZN7rocprim6detail18single_scan_kernelILb1ENS0_19wrapped_scan_configINS_14default_configE12hip_bfloat16EEPS4_S6_N6hipcub3MaxES4_S4_EEvT1_mT4_T2_T3_
		.amdhsa_group_segment_fixed_size 3072
		.amdhsa_private_segment_fixed_size 0
		.amdhsa_kernarg_size 36
		.amdhsa_user_sgpr_count 6
		.amdhsa_user_sgpr_private_segment_buffer 1
		.amdhsa_user_sgpr_dispatch_ptr 0
		.amdhsa_user_sgpr_queue_ptr 0
		.amdhsa_user_sgpr_kernarg_segment_ptr 1
		.amdhsa_user_sgpr_dispatch_id 0
		.amdhsa_user_sgpr_flat_scratch_init 0
		.amdhsa_user_sgpr_kernarg_preload_length 0
		.amdhsa_user_sgpr_kernarg_preload_offset 0
		.amdhsa_user_sgpr_private_segment_size 0
		.amdhsa_uses_dynamic_stack 0
		.amdhsa_system_sgpr_private_segment_wavefront_offset 0
		.amdhsa_system_sgpr_workgroup_id_x 1
		.amdhsa_system_sgpr_workgroup_id_y 0
		.amdhsa_system_sgpr_workgroup_id_z 0
		.amdhsa_system_sgpr_workgroup_info 0
		.amdhsa_system_vgpr_workitem_id 0
		.amdhsa_next_free_vgpr 56
		.amdhsa_next_free_sgpr 54
		.amdhsa_accum_offset 56
		.amdhsa_reserve_vcc 1
		.amdhsa_reserve_flat_scratch 0
		.amdhsa_float_round_mode_32 0
		.amdhsa_float_round_mode_16_64 0
		.amdhsa_float_denorm_mode_32 3
		.amdhsa_float_denorm_mode_16_64 3
		.amdhsa_dx10_clamp 1
		.amdhsa_ieee_mode 1
		.amdhsa_fp16_overflow 0
		.amdhsa_tg_split 0
		.amdhsa_exception_fp_ieee_invalid_op 0
		.amdhsa_exception_fp_denorm_src 0
		.amdhsa_exception_fp_ieee_div_zero 0
		.amdhsa_exception_fp_ieee_overflow 0
		.amdhsa_exception_fp_ieee_underflow 0
		.amdhsa_exception_fp_ieee_inexact 0
		.amdhsa_exception_int_div_zero 0
	.end_amdhsa_kernel
	.section	.text._ZN7rocprim6detail18single_scan_kernelILb1ENS0_19wrapped_scan_configINS_14default_configE12hip_bfloat16EEPS4_S6_N6hipcub3MaxES4_S4_EEvT1_mT4_T2_T3_,"axG",@progbits,_ZN7rocprim6detail18single_scan_kernelILb1ENS0_19wrapped_scan_configINS_14default_configE12hip_bfloat16EEPS4_S6_N6hipcub3MaxES4_S4_EEvT1_mT4_T2_T3_,comdat
.Lfunc_end81:
	.size	_ZN7rocprim6detail18single_scan_kernelILb1ENS0_19wrapped_scan_configINS_14default_configE12hip_bfloat16EEPS4_S6_N6hipcub3MaxES4_S4_EEvT1_mT4_T2_T3_, .Lfunc_end81-_ZN7rocprim6detail18single_scan_kernelILb1ENS0_19wrapped_scan_configINS_14default_configE12hip_bfloat16EEPS4_S6_N6hipcub3MaxES4_S4_EEvT1_mT4_T2_T3_
                                        ; -- End function
	.section	.AMDGPU.csdata,"",@progbits
; Kernel info:
; codeLenInByte = 4120
; NumSgprs: 58
; NumVgprs: 56
; NumAgprs: 0
; TotalNumVgprs: 56
; ScratchSize: 0
; MemoryBound: 0
; FloatMode: 240
; IeeeMode: 1
; LDSByteSize: 3072 bytes/workgroup (compile time only)
; SGPRBlocks: 7
; VGPRBlocks: 6
; NumSGPRsForWavesPerEU: 58
; NumVGPRsForWavesPerEU: 56
; AccumOffset: 56
; Occupancy: 6
; WaveLimiterHint : 0
; COMPUTE_PGM_RSRC2:SCRATCH_EN: 0
; COMPUTE_PGM_RSRC2:USER_SGPR: 6
; COMPUTE_PGM_RSRC2:TRAP_HANDLER: 0
; COMPUTE_PGM_RSRC2:TGID_X_EN: 1
; COMPUTE_PGM_RSRC2:TGID_Y_EN: 0
; COMPUTE_PGM_RSRC2:TGID_Z_EN: 0
; COMPUTE_PGM_RSRC2:TIDIG_COMP_CNT: 0
; COMPUTE_PGM_RSRC3_GFX90A:ACCUM_OFFSET: 13
; COMPUTE_PGM_RSRC3_GFX90A:TG_SPLIT: 0
	.section	.text._ZN7rocprim6detail20lookback_scan_kernelILNS0_25lookback_scan_determinismE0ELb1ENS0_19wrapped_scan_configINS_14default_configEiEEN6hipcub22TransformInputIteratorIiNS6_6CastOpIiEEPilEEPdNS6_3SumEiiNS0_19lookback_scan_stateIiLb1ELb1EEEEEvT2_T3_mT5_T4_T7_jPT6_SM_bb,"axG",@progbits,_ZN7rocprim6detail20lookback_scan_kernelILNS0_25lookback_scan_determinismE0ELb1ENS0_19wrapped_scan_configINS_14default_configEiEEN6hipcub22TransformInputIteratorIiNS6_6CastOpIiEEPilEEPdNS6_3SumEiiNS0_19lookback_scan_stateIiLb1ELb1EEEEEvT2_T3_mT5_T4_T7_jPT6_SM_bb,comdat
	.protected	_ZN7rocprim6detail20lookback_scan_kernelILNS0_25lookback_scan_determinismE0ELb1ENS0_19wrapped_scan_configINS_14default_configEiEEN6hipcub22TransformInputIteratorIiNS6_6CastOpIiEEPilEEPdNS6_3SumEiiNS0_19lookback_scan_stateIiLb1ELb1EEEEEvT2_T3_mT5_T4_T7_jPT6_SM_bb ; -- Begin function _ZN7rocprim6detail20lookback_scan_kernelILNS0_25lookback_scan_determinismE0ELb1ENS0_19wrapped_scan_configINS_14default_configEiEEN6hipcub22TransformInputIteratorIiNS6_6CastOpIiEEPilEEPdNS6_3SumEiiNS0_19lookback_scan_stateIiLb1ELb1EEEEEvT2_T3_mT5_T4_T7_jPT6_SM_bb
	.globl	_ZN7rocprim6detail20lookback_scan_kernelILNS0_25lookback_scan_determinismE0ELb1ENS0_19wrapped_scan_configINS_14default_configEiEEN6hipcub22TransformInputIteratorIiNS6_6CastOpIiEEPilEEPdNS6_3SumEiiNS0_19lookback_scan_stateIiLb1ELb1EEEEEvT2_T3_mT5_T4_T7_jPT6_SM_bb
	.p2align	8
	.type	_ZN7rocprim6detail20lookback_scan_kernelILNS0_25lookback_scan_determinismE0ELb1ENS0_19wrapped_scan_configINS_14default_configEiEEN6hipcub22TransformInputIteratorIiNS6_6CastOpIiEEPilEEPdNS6_3SumEiiNS0_19lookback_scan_stateIiLb1ELb1EEEEEvT2_T3_mT5_T4_T7_jPT6_SM_bb,@function
_ZN7rocprim6detail20lookback_scan_kernelILNS0_25lookback_scan_determinismE0ELb1ENS0_19wrapped_scan_configINS_14default_configEiEEN6hipcub22TransformInputIteratorIiNS6_6CastOpIiEEPilEEPdNS6_3SumEiiNS0_19lookback_scan_stateIiLb1ELb1EEEEEvT2_T3_mT5_T4_T7_jPT6_SM_bb: ; @_ZN7rocprim6detail20lookback_scan_kernelILNS0_25lookback_scan_determinismE0ELb1ENS0_19wrapped_scan_configINS_14default_configEiEEN6hipcub22TransformInputIteratorIiNS6_6CastOpIiEEPilEEPdNS6_3SumEiiNS0_19lookback_scan_stateIiLb1ELb1EEEEEvT2_T3_mT5_T4_T7_jPT6_SM_bb
; %bb.0:
	s_endpgm
	.section	.rodata,"a",@progbits
	.p2align	6, 0x0
	.amdhsa_kernel _ZN7rocprim6detail20lookback_scan_kernelILNS0_25lookback_scan_determinismE0ELb1ENS0_19wrapped_scan_configINS_14default_configEiEEN6hipcub22TransformInputIteratorIiNS6_6CastOpIiEEPilEEPdNS6_3SumEiiNS0_19lookback_scan_stateIiLb1ELb1EEEEEvT2_T3_mT5_T4_T7_jPT6_SM_bb
		.amdhsa_group_segment_fixed_size 0
		.amdhsa_private_segment_fixed_size 0
		.amdhsa_kernarg_size 76
		.amdhsa_user_sgpr_count 6
		.amdhsa_user_sgpr_private_segment_buffer 1
		.amdhsa_user_sgpr_dispatch_ptr 0
		.amdhsa_user_sgpr_queue_ptr 0
		.amdhsa_user_sgpr_kernarg_segment_ptr 1
		.amdhsa_user_sgpr_dispatch_id 0
		.amdhsa_user_sgpr_flat_scratch_init 0
		.amdhsa_user_sgpr_kernarg_preload_length 0
		.amdhsa_user_sgpr_kernarg_preload_offset 0
		.amdhsa_user_sgpr_private_segment_size 0
		.amdhsa_uses_dynamic_stack 0
		.amdhsa_system_sgpr_private_segment_wavefront_offset 0
		.amdhsa_system_sgpr_workgroup_id_x 1
		.amdhsa_system_sgpr_workgroup_id_y 0
		.amdhsa_system_sgpr_workgroup_id_z 0
		.amdhsa_system_sgpr_workgroup_info 0
		.amdhsa_system_vgpr_workitem_id 0
		.amdhsa_next_free_vgpr 1
		.amdhsa_next_free_sgpr 0
		.amdhsa_accum_offset 4
		.amdhsa_reserve_vcc 0
		.amdhsa_reserve_flat_scratch 0
		.amdhsa_float_round_mode_32 0
		.amdhsa_float_round_mode_16_64 0
		.amdhsa_float_denorm_mode_32 3
		.amdhsa_float_denorm_mode_16_64 3
		.amdhsa_dx10_clamp 1
		.amdhsa_ieee_mode 1
		.amdhsa_fp16_overflow 0
		.amdhsa_tg_split 0
		.amdhsa_exception_fp_ieee_invalid_op 0
		.amdhsa_exception_fp_denorm_src 0
		.amdhsa_exception_fp_ieee_div_zero 0
		.amdhsa_exception_fp_ieee_overflow 0
		.amdhsa_exception_fp_ieee_underflow 0
		.amdhsa_exception_fp_ieee_inexact 0
		.amdhsa_exception_int_div_zero 0
	.end_amdhsa_kernel
	.section	.text._ZN7rocprim6detail20lookback_scan_kernelILNS0_25lookback_scan_determinismE0ELb1ENS0_19wrapped_scan_configINS_14default_configEiEEN6hipcub22TransformInputIteratorIiNS6_6CastOpIiEEPilEEPdNS6_3SumEiiNS0_19lookback_scan_stateIiLb1ELb1EEEEEvT2_T3_mT5_T4_T7_jPT6_SM_bb,"axG",@progbits,_ZN7rocprim6detail20lookback_scan_kernelILNS0_25lookback_scan_determinismE0ELb1ENS0_19wrapped_scan_configINS_14default_configEiEEN6hipcub22TransformInputIteratorIiNS6_6CastOpIiEEPilEEPdNS6_3SumEiiNS0_19lookback_scan_stateIiLb1ELb1EEEEEvT2_T3_mT5_T4_T7_jPT6_SM_bb,comdat
.Lfunc_end82:
	.size	_ZN7rocprim6detail20lookback_scan_kernelILNS0_25lookback_scan_determinismE0ELb1ENS0_19wrapped_scan_configINS_14default_configEiEEN6hipcub22TransformInputIteratorIiNS6_6CastOpIiEEPilEEPdNS6_3SumEiiNS0_19lookback_scan_stateIiLb1ELb1EEEEEvT2_T3_mT5_T4_T7_jPT6_SM_bb, .Lfunc_end82-_ZN7rocprim6detail20lookback_scan_kernelILNS0_25lookback_scan_determinismE0ELb1ENS0_19wrapped_scan_configINS_14default_configEiEEN6hipcub22TransformInputIteratorIiNS6_6CastOpIiEEPilEEPdNS6_3SumEiiNS0_19lookback_scan_stateIiLb1ELb1EEEEEvT2_T3_mT5_T4_T7_jPT6_SM_bb
                                        ; -- End function
	.section	.AMDGPU.csdata,"",@progbits
; Kernel info:
; codeLenInByte = 4
; NumSgprs: 4
; NumVgprs: 0
; NumAgprs: 0
; TotalNumVgprs: 0
; ScratchSize: 0
; MemoryBound: 0
; FloatMode: 240
; IeeeMode: 1
; LDSByteSize: 0 bytes/workgroup (compile time only)
; SGPRBlocks: 0
; VGPRBlocks: 0
; NumSGPRsForWavesPerEU: 4
; NumVGPRsForWavesPerEU: 1
; AccumOffset: 4
; Occupancy: 8
; WaveLimiterHint : 0
; COMPUTE_PGM_RSRC2:SCRATCH_EN: 0
; COMPUTE_PGM_RSRC2:USER_SGPR: 6
; COMPUTE_PGM_RSRC2:TRAP_HANDLER: 0
; COMPUTE_PGM_RSRC2:TGID_X_EN: 1
; COMPUTE_PGM_RSRC2:TGID_Y_EN: 0
; COMPUTE_PGM_RSRC2:TGID_Z_EN: 0
; COMPUTE_PGM_RSRC2:TIDIG_COMP_CNT: 0
; COMPUTE_PGM_RSRC3_GFX90A:ACCUM_OFFSET: 0
; COMPUTE_PGM_RSRC3_GFX90A:TG_SPLIT: 0
	.section	.text._ZN7rocprim6detail20lookback_scan_kernelILNS0_25lookback_scan_determinismE0ELb1ENS0_19wrapped_scan_configINS_14default_configEiEEN6hipcub22TransformInputIteratorIiNS6_6CastOpIiEEPilEEPdNS6_3SumEiiNS0_19lookback_scan_stateIiLb0ELb1EEEEEvT2_T3_mT5_T4_T7_jPT6_SM_bb,"axG",@progbits,_ZN7rocprim6detail20lookback_scan_kernelILNS0_25lookback_scan_determinismE0ELb1ENS0_19wrapped_scan_configINS_14default_configEiEEN6hipcub22TransformInputIteratorIiNS6_6CastOpIiEEPilEEPdNS6_3SumEiiNS0_19lookback_scan_stateIiLb0ELb1EEEEEvT2_T3_mT5_T4_T7_jPT6_SM_bb,comdat
	.protected	_ZN7rocprim6detail20lookback_scan_kernelILNS0_25lookback_scan_determinismE0ELb1ENS0_19wrapped_scan_configINS_14default_configEiEEN6hipcub22TransformInputIteratorIiNS6_6CastOpIiEEPilEEPdNS6_3SumEiiNS0_19lookback_scan_stateIiLb0ELb1EEEEEvT2_T3_mT5_T4_T7_jPT6_SM_bb ; -- Begin function _ZN7rocprim6detail20lookback_scan_kernelILNS0_25lookback_scan_determinismE0ELb1ENS0_19wrapped_scan_configINS_14default_configEiEEN6hipcub22TransformInputIteratorIiNS6_6CastOpIiEEPilEEPdNS6_3SumEiiNS0_19lookback_scan_stateIiLb0ELb1EEEEEvT2_T3_mT5_T4_T7_jPT6_SM_bb
	.globl	_ZN7rocprim6detail20lookback_scan_kernelILNS0_25lookback_scan_determinismE0ELb1ENS0_19wrapped_scan_configINS_14default_configEiEEN6hipcub22TransformInputIteratorIiNS6_6CastOpIiEEPilEEPdNS6_3SumEiiNS0_19lookback_scan_stateIiLb0ELb1EEEEEvT2_T3_mT5_T4_T7_jPT6_SM_bb
	.p2align	8
	.type	_ZN7rocprim6detail20lookback_scan_kernelILNS0_25lookback_scan_determinismE0ELb1ENS0_19wrapped_scan_configINS_14default_configEiEEN6hipcub22TransformInputIteratorIiNS6_6CastOpIiEEPilEEPdNS6_3SumEiiNS0_19lookback_scan_stateIiLb0ELb1EEEEEvT2_T3_mT5_T4_T7_jPT6_SM_bb,@function
_ZN7rocprim6detail20lookback_scan_kernelILNS0_25lookback_scan_determinismE0ELb1ENS0_19wrapped_scan_configINS_14default_configEiEEN6hipcub22TransformInputIteratorIiNS6_6CastOpIiEEPilEEPdNS6_3SumEiiNS0_19lookback_scan_stateIiLb0ELb1EEEEEvT2_T3_mT5_T4_T7_jPT6_SM_bb: ; @_ZN7rocprim6detail20lookback_scan_kernelILNS0_25lookback_scan_determinismE0ELb1ENS0_19wrapped_scan_configINS_14default_configEiEEN6hipcub22TransformInputIteratorIiNS6_6CastOpIiEEPilEEPdNS6_3SumEiiNS0_19lookback_scan_stateIiLb0ELb1EEEEEvT2_T3_mT5_T4_T7_jPT6_SM_bb
; %bb.0:
	s_load_dword s0, s[4:5], 0x30
	s_load_dwordx2 s[24:25], s[4:5], 0x0
	s_load_dwordx4 s[20:23], s[4:5], 0x10
	s_mul_i32 s18, s6, 0x500
	s_mov_b32 s19, 0
	s_waitcnt lgkmcnt(0)
	s_add_i32 s0, s0, -1
	s_mul_i32 s1, s0, 0x500
	s_sub_u32 s26, s22, s1
	s_subb_u32 s27, s23, 0
	s_cmp_lg_u32 s6, s0
	s_cselect_b64 s[22:23], -1, 0
	s_lshl_b64 s[0:1], s[18:19], 2
	s_add_u32 s2, s24, s0
	s_addc_u32 s3, s25, s1
	s_mov_b64 s[0:1], -1
	s_and_b64 vcc, exec, s[22:23]
	v_lshlrev_b32_e32 v23, 2, v0
	s_cbranch_vccz .LBB83_2
; %bb.1:
	v_mov_b32_e32 v1, s3
	v_add_co_u32_e32 v2, vcc, s2, v23
	v_addc_co_u32_e32 v1, vcc, 0, v1, vcc
	v_add_co_u32_e32 v2, vcc, 0x1000, v2
	v_addc_co_u32_e32 v3, vcc, 0, v1, vcc
	global_load_dword v4, v23, s[2:3]
	global_load_dword v5, v23, s[2:3] offset:512
	global_load_dword v6, v23, s[2:3] offset:1024
	;; [unrolled: 1-line block ×7, first 2 shown]
	global_load_dword v1, v[2:3], off
	global_load_dword v12, v[2:3], off offset:512
	s_mov_b64 s[0:1], 0
	s_waitcnt vmcnt(8)
	ds_write2st64_b32 v23, v4, v5 offset1:2
	s_waitcnt vmcnt(6)
	ds_write2st64_b32 v23, v6, v7 offset0:4 offset1:6
	s_waitcnt vmcnt(4)
	ds_write2st64_b32 v23, v8, v9 offset0:8 offset1:10
	;; [unrolled: 2-line block ×4, first 2 shown]
	s_waitcnt lgkmcnt(0)
	s_barrier
.LBB83_2:
	s_andn2_b64 vcc, exec, s[0:1]
	v_cmp_gt_u32_e64 s[0:1], s26, v0
	s_cbranch_vccnz .LBB83_24
; %bb.3:
	s_load_dword s8, s[2:3], 0x0
	v_mov_b32_e32 v1, s3
	v_add_co_u32_e32 v12, vcc, s2, v23
	v_addc_co_u32_e32 v13, vcc, 0, v1, vcc
	s_waitcnt lgkmcnt(0)
	s_mov_b32 s9, s8
	s_mov_b32 s10, s8
	s_mov_b32 s11, s8
	s_mov_b32 s12, s8
	s_mov_b32 s13, s8
	s_mov_b32 s14, s8
	s_mov_b32 s15, s8
	s_mov_b32 s16, s8
	s_mov_b32 s17, s8
	v_pk_mov_b32 v[2:3], s[8:9], s[8:9] op_sel:[0,1]
	v_pk_mov_b32 v[4:5], s[10:11], s[10:11] op_sel:[0,1]
	;; [unrolled: 1-line block ×5, first 2 shown]
	v_mov_b32_e32 v1, s8
	s_and_saveexec_b64 s[2:3], s[0:1]
	s_cbranch_execz .LBB83_5
; %bb.4:
	global_load_dword v1, v[12:13], off
	v_pk_mov_b32 v[2:3], s[8:9], s[8:9] op_sel:[0,1]
	v_pk_mov_b32 v[4:5], s[10:11], s[10:11] op_sel:[0,1]
	;; [unrolled: 1-line block ×5, first 2 shown]
                                        ; kill: def $vgpr2 killed $vgpr1 killed $exec
.LBB83_5:
	s_or_b64 exec, exec, s[2:3]
	v_or_b32_e32 v2, 0x80, v0
	v_cmp_gt_u32_e32 vcc, s26, v2
	s_and_saveexec_b64 s[0:1], vcc
	s_cbranch_execz .LBB83_7
; %bb.6:
	global_load_dword v3, v[12:13], off offset:512
.LBB83_7:
	s_or_b64 exec, exec, s[0:1]
	v_or_b32_e32 v2, 0x100, v0
	v_cmp_gt_u32_e32 vcc, s26, v2
	s_and_saveexec_b64 s[0:1], vcc
	s_cbranch_execz .LBB83_9
; %bb.8:
	global_load_dword v4, v[12:13], off offset:1024
.LBB83_9:
	;; [unrolled: 8-line block ×7, first 2 shown]
	s_or_b64 exec, exec, s[0:1]
	v_or_b32_e32 v2, 0x400, v0
	v_cmp_gt_u32_e32 vcc, s26, v2
	s_and_saveexec_b64 s[0:1], vcc
	s_cbranch_execz .LBB83_21
; %bb.20:
	v_add_co_u32_e32 v14, vcc, 0x1000, v12
	v_addc_co_u32_e32 v15, vcc, 0, v13, vcc
	global_load_dword v10, v[14:15], off
.LBB83_21:
	s_or_b64 exec, exec, s[0:1]
	v_or_b32_e32 v2, 0x480, v0
	v_cmp_gt_u32_e32 vcc, s26, v2
	s_and_saveexec_b64 s[0:1], vcc
	s_cbranch_execz .LBB83_23
; %bb.22:
	v_add_co_u32_e32 v12, vcc, 0x1000, v12
	v_addc_co_u32_e32 v13, vcc, 0, v13, vcc
	global_load_dword v11, v[12:13], off offset:512
.LBB83_23:
	s_or_b64 exec, exec, s[0:1]
	s_waitcnt vmcnt(0)
	ds_write2st64_b32 v23, v1, v3 offset1:2
	ds_write2st64_b32 v23, v4, v5 offset0:4 offset1:6
	ds_write2st64_b32 v23, v6, v7 offset0:8 offset1:10
	;; [unrolled: 1-line block ×4, first 2 shown]
	s_waitcnt lgkmcnt(0)
	s_barrier
.LBB83_24:
	v_mul_u32_u24_e32 v22, 10, v0
	v_lshlrev_b32_e32 v1, 2, v22
	s_load_dwordx2 s[8:9], s[4:5], 0x28
	s_waitcnt lgkmcnt(0)
	ds_read2_b64 v[16:19], v1 offset1:1
	ds_read2_b64 v[12:15], v1 offset0:2 offset1:3
	ds_read_b64 v[20:21], v1 offset:32
	s_cmp_lg_u32 s6, 0
	v_lshrrev_b32_e32 v24, 5, v0
	s_waitcnt lgkmcnt(2)
	v_add_u32_e32 v2, v17, v16
	v_add3_u32 v25, v2, v18, v19
	v_cmp_gt_u32_e32 vcc, 64, v0
	s_waitcnt lgkmcnt(0)
	s_barrier
	s_cbranch_scc0 .LBB83_49
; %bb.25:
	v_add3_u32 v2, v25, v12, v13
	v_add3_u32 v2, v2, v14, v15
	;; [unrolled: 1-line block ×3, first 2 shown]
	v_add_lshl_u32 v3, v24, v0, 2
	ds_write_b32 v3, v2
	s_waitcnt lgkmcnt(0)
	s_barrier
	s_and_saveexec_b64 s[2:3], vcc
	s_cbranch_execz .LBB83_27
; %bb.26:
	v_lshlrev_b32_e32 v3, 1, v0
	v_lshrrev_b32_e32 v4, 4, v0
	v_add_lshl_u32 v3, v4, v3, 2
	ds_read2_b32 v[4:5], v3 offset1:1
	v_mbcnt_lo_u32_b32 v6, -1, 0
	v_mbcnt_hi_u32_b32 v6, -1, v6
	v_and_b32_e32 v7, 15, v6
	v_cmp_ne_u32_e64 s[0:1], 0, v7
	s_waitcnt lgkmcnt(0)
	v_add_u32_e32 v8, v5, v4
	s_nop 1
	v_mov_b32_dpp v9, v8 row_shr:1 row_mask:0xf bank_mask:0xf
	v_cndmask_b32_e64 v9, 0, v9, s[0:1]
	v_add_u32_e32 v8, v9, v8
	v_cmp_lt_u32_e64 s[0:1], 1, v7
	s_nop 0
	v_mov_b32_dpp v9, v8 row_shr:2 row_mask:0xf bank_mask:0xf
	v_cndmask_b32_e64 v9, 0, v9, s[0:1]
	v_add_u32_e32 v8, v8, v9
	v_cmp_lt_u32_e64 s[0:1], 3, v7
	s_nop 0
	v_mov_b32_dpp v9, v8 row_shr:4 row_mask:0xf bank_mask:0xf
	v_cndmask_b32_e64 v9, 0, v9, s[0:1]
	v_add_u32_e32 v8, v8, v9
	v_cmp_lt_u32_e64 s[0:1], 7, v7
	s_nop 0
	v_mov_b32_dpp v9, v8 row_shr:8 row_mask:0xf bank_mask:0xf
	v_cndmask_b32_e64 v7, 0, v9, s[0:1]
	v_add_u32_e32 v7, v8, v7
	v_bfe_i32 v9, v6, 4, 1
	v_cmp_lt_u32_e64 s[0:1], 31, v6
	v_mov_b32_dpp v8, v7 row_bcast:15 row_mask:0xf bank_mask:0xf
	v_and_b32_e32 v8, v9, v8
	v_add_u32_e32 v7, v7, v8
	v_and_b32_e32 v9, 64, v6
	s_nop 0
	v_mov_b32_dpp v8, v7 row_bcast:31 row_mask:0xf bank_mask:0xf
	v_cndmask_b32_e64 v8, 0, v8, s[0:1]
	v_add_u32_e32 v7, v7, v8
	v_add_u32_e32 v8, -1, v6
	v_cmp_lt_i32_e64 s[0:1], v8, v9
	v_cndmask_b32_e64 v6, v8, v6, s[0:1]
	v_lshlrev_b32_e32 v6, 2, v6
	ds_bpermute_b32 v6, v6, v7
	v_cmp_eq_u32_e64 s[0:1], 0, v0
	s_waitcnt lgkmcnt(0)
	v_add_u32_e32 v4, v6, v4
	v_cndmask_b32_e64 v2, v4, v2, s[0:1]
	v_add_u32_e32 v4, v2, v5
	ds_write2_b32 v3, v2, v4 offset1:1
.LBB83_27:
	s_or_b64 exec, exec, s[2:3]
	v_cmp_eq_u32_e64 s[0:1], 0, v0
	v_cmp_ne_u32_e64 s[2:3], 0, v0
	v_mov_b32_e32 v26, 0
	s_waitcnt lgkmcnt(0)
	s_barrier
	s_and_saveexec_b64 s[10:11], s[2:3]
	s_cbranch_execz .LBB83_29
; %bb.28:
	v_add_u32_e32 v2, -1, v0
	v_lshrrev_b32_e32 v3, 5, v2
	v_add_lshl_u32 v2, v3, v2, 2
	ds_read_b32 v26, v2
.LBB83_29:
	s_or_b64 exec, exec, s[10:11]
	s_and_saveexec_b64 s[10:11], vcc
	s_cbranch_execz .LBB83_48
; %bb.30:
	v_mov_b32_e32 v9, 0
	ds_read_b32 v2, v9 offset:520
	v_mbcnt_lo_u32_b32 v3, -1, 0
	v_mbcnt_hi_u32_b32 v5, -1, v3
	s_mov_b32 s15, 0
	v_cmp_eq_u32_e64 s[2:3], 0, v5
	s_and_saveexec_b64 s[12:13], s[2:3]
	s_cbranch_execz .LBB83_32
; %bb.31:
	s_add_i32 s14, s6, 64
	s_lshl_b64 s[14:15], s[14:15], 3
	s_add_u32 s14, s8, s14
	s_addc_u32 s15, s9, s15
	v_mov_b32_e32 v3, 1
	s_waitcnt lgkmcnt(0)
	global_store_dwordx2 v9, v[2:3], s[14:15]
.LBB83_32:
	s_or_b64 exec, exec, s[12:13]
	v_xad_u32 v4, v5, -1, s6
	v_add_u32_e32 v8, 64, v4
	v_lshlrev_b64 v[6:7], 3, v[8:9]
	v_mov_b32_e32 v3, s9
	v_add_co_u32_e32 v10, vcc, s8, v6
	v_addc_co_u32_e32 v11, vcc, v3, v7, vcc
	global_load_dwordx2 v[6:7], v[10:11], off glc
	s_waitcnt vmcnt(0)
	v_cmp_eq_u16_sdwa s[14:15], v7, v9 src0_sel:BYTE_0 src1_sel:DWORD
	s_and_saveexec_b64 s[12:13], s[14:15]
	s_cbranch_execz .LBB83_36
; %bb.33:
	s_mov_b64 s[14:15], 0
	v_mov_b32_e32 v3, 0
.LBB83_34:                              ; =>This Inner Loop Header: Depth=1
	global_load_dwordx2 v[6:7], v[10:11], off glc
	s_waitcnt vmcnt(0)
	v_cmp_ne_u16_sdwa s[16:17], v7, v3 src0_sel:BYTE_0 src1_sel:DWORD
	s_or_b64 s[14:15], s[16:17], s[14:15]
	s_andn2_b64 exec, exec, s[14:15]
	s_cbranch_execnz .LBB83_34
; %bb.35:
	s_or_b64 exec, exec, s[14:15]
.LBB83_36:
	s_or_b64 exec, exec, s[12:13]
	v_and_b32_e32 v35, 63, v5
	v_mov_b32_e32 v3, 2
	v_cmp_ne_u32_e32 vcc, 63, v35
	v_cmp_eq_u16_sdwa s[12:13], v7, v3 src0_sel:BYTE_0 src1_sel:DWORD
	v_lshlrev_b64 v[8:9], v5, -1
	v_addc_co_u32_e32 v27, vcc, 0, v5, vcc
	v_and_b32_e32 v10, s13, v9
	v_lshlrev_b32_e32 v27, 2, v27
	v_or_b32_e32 v10, 0x80000000, v10
	ds_bpermute_b32 v29, v27, v6
	v_and_b32_e32 v11, s12, v8
	v_ffbl_b32_e32 v10, v10
	v_add_u32_e32 v10, 32, v10
	v_ffbl_b32_e32 v11, v11
	v_min_u32_e32 v10, v11, v10
	v_add_u32_e32 v28, 1, v5
	v_cmp_le_u32_e32 vcc, v28, v10
	s_waitcnt lgkmcnt(0)
	v_cndmask_b32_e32 v11, 0, v29, vcc
	v_cmp_gt_u32_e32 vcc, 62, v35
	v_add_u32_e32 v6, v11, v6
	v_cndmask_b32_e64 v11, 0, 1, vcc
	v_lshlrev_b32_e32 v11, 1, v11
	v_add_lshl_u32 v29, v11, v5, 2
	ds_bpermute_b32 v11, v29, v6
	v_add_u32_e32 v30, 2, v5
	v_cmp_le_u32_e32 vcc, v30, v10
	v_add_u32_e32 v32, 4, v5
	v_add_u32_e32 v34, 8, v5
	s_waitcnt lgkmcnt(0)
	v_cndmask_b32_e32 v11, 0, v11, vcc
	v_cmp_gt_u32_e32 vcc, 60, v35
	v_add_u32_e32 v6, v6, v11
	v_cndmask_b32_e64 v11, 0, 1, vcc
	v_lshlrev_b32_e32 v11, 2, v11
	v_add_lshl_u32 v31, v11, v5, 2
	ds_bpermute_b32 v11, v31, v6
	v_cmp_le_u32_e32 vcc, v32, v10
	v_add_u32_e32 v37, 16, v5
	v_add_u32_e32 v39, 32, v5
	s_waitcnt lgkmcnt(0)
	v_cndmask_b32_e32 v11, 0, v11, vcc
	v_cmp_gt_u32_e32 vcc, 56, v35
	v_add_u32_e32 v6, v6, v11
	v_cndmask_b32_e64 v11, 0, 1, vcc
	v_lshlrev_b32_e32 v11, 3, v11
	v_add_lshl_u32 v33, v11, v5, 2
	ds_bpermute_b32 v11, v33, v6
	v_cmp_le_u32_e32 vcc, v34, v10
	s_waitcnt lgkmcnt(0)
	v_cndmask_b32_e32 v11, 0, v11, vcc
	v_cmp_gt_u32_e32 vcc, 48, v35
	v_add_u32_e32 v6, v6, v11
	v_cndmask_b32_e64 v11, 0, 1, vcc
	v_lshlrev_b32_e32 v11, 4, v11
	v_add_lshl_u32 v36, v11, v5, 2
	ds_bpermute_b32 v11, v36, v6
	v_cmp_le_u32_e32 vcc, v37, v10
	;; [unrolled: 9-line block ×3, first 2 shown]
	s_waitcnt lgkmcnt(0)
	v_cndmask_b32_e32 v5, 0, v11, vcc
	v_add_u32_e32 v6, v6, v5
	v_mov_b32_e32 v5, 0
	s_branch .LBB83_38
.LBB83_37:                              ;   in Loop: Header=BB83_38 Depth=1
	s_or_b64 exec, exec, s[12:13]
	v_cmp_eq_u16_sdwa s[12:13], v7, v3 src0_sel:BYTE_0 src1_sel:DWORD
	v_and_b32_e32 v10, s13, v9
	v_or_b32_e32 v10, 0x80000000, v10
	ds_bpermute_b32 v40, v27, v6
	v_and_b32_e32 v11, s12, v8
	v_ffbl_b32_e32 v10, v10
	v_add_u32_e32 v10, 32, v10
	v_ffbl_b32_e32 v11, v11
	v_min_u32_e32 v10, v11, v10
	v_cmp_le_u32_e32 vcc, v28, v10
	s_waitcnt lgkmcnt(0)
	v_cndmask_b32_e32 v11, 0, v40, vcc
	v_add_u32_e32 v6, v11, v6
	ds_bpermute_b32 v11, v29, v6
	v_cmp_le_u32_e32 vcc, v30, v10
	v_subrev_u32_e32 v4, 64, v4
	s_waitcnt lgkmcnt(0)
	v_cndmask_b32_e32 v11, 0, v11, vcc
	v_add_u32_e32 v6, v6, v11
	ds_bpermute_b32 v11, v31, v6
	v_cmp_le_u32_e32 vcc, v32, v10
	s_waitcnt lgkmcnt(0)
	v_cndmask_b32_e32 v11, 0, v11, vcc
	v_add_u32_e32 v6, v6, v11
	ds_bpermute_b32 v11, v33, v6
	v_cmp_le_u32_e32 vcc, v34, v10
	;; [unrolled: 5-line block ×4, first 2 shown]
	s_waitcnt lgkmcnt(0)
	v_cndmask_b32_e32 v10, 0, v11, vcc
	v_add3_u32 v6, v10, v35, v6
.LBB83_38:                              ; =>This Loop Header: Depth=1
                                        ;     Child Loop BB83_41 Depth 2
	v_cmp_ne_u16_sdwa s[12:13], v7, v3 src0_sel:BYTE_0 src1_sel:DWORD
	v_cndmask_b32_e64 v7, 0, 1, s[12:13]
	;;#ASMSTART
	;;#ASMEND
	v_cmp_ne_u32_e32 vcc, 0, v7
	s_cmp_lg_u64 vcc, exec
	v_mov_b32_e32 v35, v6
	s_cbranch_scc1 .LBB83_43
; %bb.39:                               ;   in Loop: Header=BB83_38 Depth=1
	v_lshlrev_b64 v[6:7], 3, v[4:5]
	v_mov_b32_e32 v11, s9
	v_add_co_u32_e32 v10, vcc, s8, v6
	v_addc_co_u32_e32 v11, vcc, v11, v7, vcc
	global_load_dwordx2 v[6:7], v[10:11], off glc
	s_waitcnt vmcnt(0)
	v_cmp_eq_u16_sdwa s[14:15], v7, v5 src0_sel:BYTE_0 src1_sel:DWORD
	s_and_saveexec_b64 s[12:13], s[14:15]
	s_cbranch_execz .LBB83_37
; %bb.40:                               ;   in Loop: Header=BB83_38 Depth=1
	s_mov_b64 s[14:15], 0
.LBB83_41:                              ;   Parent Loop BB83_38 Depth=1
                                        ; =>  This Inner Loop Header: Depth=2
	global_load_dwordx2 v[6:7], v[10:11], off glc
	s_waitcnt vmcnt(0)
	v_cmp_ne_u16_sdwa s[16:17], v7, v5 src0_sel:BYTE_0 src1_sel:DWORD
	s_or_b64 s[14:15], s[16:17], s[14:15]
	s_andn2_b64 exec, exec, s[14:15]
	s_cbranch_execnz .LBB83_41
; %bb.42:                               ;   in Loop: Header=BB83_38 Depth=1
	s_or_b64 exec, exec, s[14:15]
	s_branch .LBB83_37
.LBB83_43:                              ;   in Loop: Header=BB83_38 Depth=1
                                        ; implicit-def: $vgpr6
                                        ; implicit-def: $vgpr7
	s_cbranch_execz .LBB83_38
; %bb.44:
	s_and_saveexec_b64 s[12:13], s[2:3]
	s_cbranch_execz .LBB83_46
; %bb.45:
	s_add_i32 s2, s6, 64
	s_mov_b32 s3, 0
	s_lshl_b64 s[2:3], s[2:3], 3
	s_add_u32 s2, s8, s2
	s_addc_u32 s3, s9, s3
	v_mov_b32_e32 v4, 0
	v_add_u32_e32 v2, v35, v2
	v_mov_b32_e32 v3, 2
	global_store_dwordx2 v4, v[2:3], s[2:3]
.LBB83_46:
	s_or_b64 exec, exec, s[12:13]
	s_and_b64 exec, exec, s[0:1]
	s_cbranch_execz .LBB83_48
; %bb.47:
	v_mov_b32_e32 v2, 0
	ds_write_b32 v2, v35
.LBB83_48:
	s_or_b64 exec, exec, s[10:11]
	v_mov_b32_e32 v2, 0
	s_waitcnt lgkmcnt(0)
	s_barrier
	ds_read_b32 v2, v2
	s_waitcnt lgkmcnt(0)
	v_add_u32_e32 v2, v2, v26
	v_add_u32_e32 v3, v2, v16
	;; [unrolled: 1-line block ×10, first 2 shown]
	s_load_dwordx4 s[0:3], s[4:5], 0x38
	s_branch .LBB83_59
.LBB83_49:
                                        ; implicit-def: $vgpr2_vgpr3_vgpr4_vgpr5_vgpr6_vgpr7_vgpr8_vgpr9_vgpr10_vgpr11
	s_load_dwordx4 s[0:3], s[4:5], 0x38
	s_cbranch_execz .LBB83_59
; %bb.50:
	s_load_dword s6, s[4:5], 0x48
	s_load_dword s7, s[4:5], 0x20
	s_waitcnt lgkmcnt(0)
	s_bitcmp0_b32 s6, 0
	v_mov_b32_e32 v26, s7
	s_cbranch_scc1 .LBB83_52
; %bb.51:
	v_mov_b32_e32 v2, 0
	global_load_dword v2, v2, s[24:25] offset:-4
	s_load_dword s0, s[0:1], 0x0
	s_waitcnt vmcnt(0) lgkmcnt(0)
	v_add_u32_e32 v26, s0, v2
.LBB83_52:
	v_add3_u32 v2, v25, v12, v13
	v_add3_u32 v2, v2, v14, v15
	;; [unrolled: 1-line block ×3, first 2 shown]
	v_add_lshl_u32 v3, v24, v0, 2
	v_cmp_gt_u32_e32 vcc, 64, v0
	ds_write_b32 v3, v2
	s_waitcnt lgkmcnt(0)
	s_barrier
	s_and_saveexec_b64 s[0:1], vcc
	s_cbranch_execz .LBB83_54
; %bb.53:
	v_lshlrev_b32_e32 v3, 1, v0
	v_lshrrev_b32_e32 v4, 4, v0
	v_add_lshl_u32 v3, v4, v3, 2
	ds_read2_b32 v[4:5], v3 offset1:1
	v_mbcnt_lo_u32_b32 v6, -1, 0
	v_mbcnt_hi_u32_b32 v6, -1, v6
	v_and_b32_e32 v7, 15, v6
	v_cmp_ne_u32_e32 vcc, 0, v7
	s_waitcnt lgkmcnt(0)
	v_add_u32_e32 v8, v5, v4
	s_nop 1
	v_mov_b32_dpp v9, v8 row_shr:1 row_mask:0xf bank_mask:0xf
	v_cndmask_b32_e32 v9, 0, v9, vcc
	v_add_u32_e32 v8, v9, v8
	v_cmp_lt_u32_e32 vcc, 1, v7
	s_nop 0
	v_mov_b32_dpp v9, v8 row_shr:2 row_mask:0xf bank_mask:0xf
	v_cndmask_b32_e32 v9, 0, v9, vcc
	v_add_u32_e32 v8, v8, v9
	v_cmp_lt_u32_e32 vcc, 3, v7
	s_nop 0
	v_mov_b32_dpp v9, v8 row_shr:4 row_mask:0xf bank_mask:0xf
	v_cndmask_b32_e32 v9, 0, v9, vcc
	v_add_u32_e32 v8, v8, v9
	v_cmp_lt_u32_e32 vcc, 7, v7
	s_nop 0
	v_mov_b32_dpp v9, v8 row_shr:8 row_mask:0xf bank_mask:0xf
	v_cndmask_b32_e32 v7, 0, v9, vcc
	v_add_u32_e32 v7, v8, v7
	v_bfe_i32 v9, v6, 4, 1
	v_cmp_lt_u32_e32 vcc, 31, v6
	v_mov_b32_dpp v8, v7 row_bcast:15 row_mask:0xf bank_mask:0xf
	v_and_b32_e32 v8, v9, v8
	v_add_u32_e32 v7, v7, v8
	v_and_b32_e32 v9, 64, v6
	s_nop 0
	v_mov_b32_dpp v8, v7 row_bcast:31 row_mask:0xf bank_mask:0xf
	v_cndmask_b32_e32 v8, 0, v8, vcc
	v_add_u32_e32 v7, v7, v8
	v_add_u32_e32 v8, -1, v6
	v_cmp_lt_i32_e32 vcc, v8, v9
	v_cndmask_b32_e32 v6, v8, v6, vcc
	v_lshlrev_b32_e32 v6, 2, v6
	ds_bpermute_b32 v6, v6, v7
	v_cmp_eq_u32_e32 vcc, 0, v0
	s_waitcnt lgkmcnt(0)
	v_add_u32_e32 v4, v6, v4
	v_cndmask_b32_e32 v2, v4, v2, vcc
	v_add_u32_e32 v4, v2, v5
	ds_write2_b32 v3, v2, v4 offset1:1
.LBB83_54:
	s_or_b64 exec, exec, s[0:1]
	v_cmp_eq_u32_e32 vcc, 0, v0
	v_cmp_ne_u32_e64 s[0:1], 0, v0
	v_mov_b32_e32 v2, v26
	s_waitcnt lgkmcnt(0)
	s_barrier
	s_and_saveexec_b64 s[6:7], s[0:1]
	s_cbranch_execz .LBB83_56
; %bb.55:
	v_add_u32_e32 v2, -1, v0
	v_lshrrev_b32_e32 v3, 5, v2
	v_add_lshl_u32 v2, v3, v2, 2
	ds_read_b32 v2, v2
	s_waitcnt lgkmcnt(0)
	v_add_u32_e32 v2, v2, v26
.LBB83_56:
	s_or_b64 exec, exec, s[6:7]
	v_add_u32_e32 v3, v2, v16
	v_add_u32_e32 v4, v3, v17
	;; [unrolled: 1-line block ×9, first 2 shown]
	s_and_saveexec_b64 s[0:1], vcc
	s_cbranch_execz .LBB83_58
; %bb.57:
	v_mov_b32_e32 v14, 0
	ds_read_b32 v12, v14 offset:520
	v_mov_b32_e32 v13, 2
	s_waitcnt lgkmcnt(0)
	v_add_u32_e32 v12, v12, v26
	global_store_dwordx2 v14, v[12:13], s[8:9] offset:512
.LBB83_58:
	s_or_b64 exec, exec, s[0:1]
.LBB83_59:
	s_waitcnt lgkmcnt(0)
	s_lshl_b64 s[0:1], s[18:19], 3
	s_add_u32 s0, s20, s0
	s_addc_u32 s1, s21, s1
	s_mov_b64 s[6:7], -1
	s_and_b64 vcc, exec, s[22:23]
	v_lshlrev_b32_e32 v12, 3, v0
	s_barrier
	s_cbranch_vccz .LBB83_61
; %bb.60:
	ds_write2_b64 v1, v[2:3], v[4:5] offset1:1
	ds_write2_b64 v1, v[6:7], v[8:9] offset0:2 offset1:3
	ds_write_b64 v1, v[10:11] offset:32
	s_waitcnt lgkmcnt(0)
	s_barrier
	ds_read2st64_b32 v[14:15], v23 offset1:2
	ds_read2st64_b32 v[16:17], v23 offset0:4 offset1:6
	ds_read2st64_b32 v[18:19], v23 offset0:8 offset1:10
	;; [unrolled: 1-line block ×4, first 2 shown]
	v_mov_b32_e32 v13, s1
	v_add_co_u32_e32 v28, vcc, s0, v12
	s_waitcnt lgkmcnt(4)
	v_cvt_f64_i32_e32 v[26:27], v14
	v_cvt_f64_i32_e32 v[14:15], v15
	v_addc_co_u32_e32 v13, vcc, 0, v13, vcc
	global_store_dwordx2 v12, v[14:15], s[0:1] offset:1024
	s_waitcnt lgkmcnt(3)
	v_cvt_f64_i32_e32 v[14:15], v16
	s_movk_i32 s6, 0x1000
	global_store_dwordx2 v12, v[14:15], s[0:1] offset:2048
	v_cvt_f64_i32_e32 v[14:15], v17
	v_add_co_u32_e32 v16, vcc, s6, v28
	global_store_dwordx2 v12, v[14:15], s[0:1] offset:3072
	s_waitcnt lgkmcnt(2)
	v_cvt_f64_i32_e32 v[14:15], v18
	v_addc_co_u32_e32 v17, vcc, 0, v13, vcc
	global_store_dwordx2 v[16:17], v[14:15], off
	v_cvt_f64_i32_e32 v[14:15], v19
	global_store_dwordx2 v[16:17], v[14:15], off offset:1024
	s_waitcnt lgkmcnt(1)
	v_cvt_f64_i32_e32 v[14:15], v20
	global_store_dwordx2 v[16:17], v[14:15], off offset:2048
	v_cvt_f64_i32_e32 v[14:15], v21
	global_store_dwordx2 v[16:17], v[14:15], off offset:3072
	v_add_co_u32_e32 v16, vcc, 0x2000, v28
	s_waitcnt lgkmcnt(0)
	v_cvt_f64_i32_e32 v[14:15], v24
	v_addc_co_u32_e32 v17, vcc, 0, v13, vcc
	global_store_dwordx2 v[16:17], v[14:15], off
	v_cvt_f64_i32_e32 v[14:15], v25
	global_store_dwordx2 v12, v[26:27], s[0:1]
	global_store_dwordx2 v[16:17], v[14:15], off offset:1024
	s_mov_b64 s[6:7], 0
.LBB83_61:
	s_andn2_b64 vcc, exec, s[6:7]
	s_cbranch_vccnz .LBB83_117
; %bb.62:
	ds_write2_b64 v1, v[2:3], v[4:5] offset1:1
	ds_write2_b64 v1, v[6:7], v[8:9] offset0:2 offset1:3
	ds_write_b64 v1, v[10:11] offset:32
	s_waitcnt lgkmcnt(0)
	s_barrier
	ds_read2st64_b32 v[2:3], v23 offset1:2
	ds_read2st64_b32 v[6:7], v23 offset0:4 offset1:6
	ds_read2st64_b32 v[4:5], v23 offset0:8 offset1:10
	;; [unrolled: 1-line block ×4, first 2 shown]
	v_mov_b32_e32 v13, s1
	v_add_co_u32_e32 v12, vcc, s0, v12
	v_addc_co_u32_e32 v13, vcc, 0, v13, vcc
	v_mov_b32_e32 v1, 0
	v_cmp_gt_u32_e32 vcc, s26, v0
	s_and_saveexec_b64 s[0:1], vcc
	s_cbranch_execz .LBB83_64
; %bb.63:
	s_waitcnt lgkmcnt(4)
	v_cvt_f64_i32_e32 v[14:15], v2
	global_store_dwordx2 v[12:13], v[14:15], off
.LBB83_64:
	s_or_b64 exec, exec, s[0:1]
	v_or_b32_e32 v14, 0x80, v0
	v_cmp_gt_u32_e32 vcc, s26, v14
	s_and_saveexec_b64 s[0:1], vcc
	s_cbranch_execz .LBB83_66
; %bb.65:
	s_waitcnt lgkmcnt(4)
	v_cvt_f64_i32_e32 v[14:15], v3
	global_store_dwordx2 v[12:13], v[14:15], off offset:1024
.LBB83_66:
	s_or_b64 exec, exec, s[0:1]
	v_or_b32_e32 v14, 0x100, v0
	v_cmp_gt_u32_e32 vcc, s26, v14
	s_and_saveexec_b64 s[0:1], vcc
	s_cbranch_execz .LBB83_68
; %bb.67:
	s_waitcnt lgkmcnt(3)
	v_cvt_f64_i32_e32 v[14:15], v6
	global_store_dwordx2 v[12:13], v[14:15], off offset:2048
.LBB83_68:
	;; [unrolled: 10-line block ×3, first 2 shown]
	s_or_b64 exec, exec, s[0:1]
	v_or_b32_e32 v14, 0x200, v0
	v_cmp_gt_u32_e32 vcc, s26, v14
	s_and_saveexec_b64 s[0:1], vcc
	s_cbranch_execz .LBB83_72
; %bb.71:
	v_add_co_u32_e32 v16, vcc, 0x1000, v12
	s_waitcnt lgkmcnt(2)
	v_cvt_f64_i32_e32 v[14:15], v4
	v_addc_co_u32_e32 v17, vcc, 0, v13, vcc
	global_store_dwordx2 v[16:17], v[14:15], off
.LBB83_72:
	s_or_b64 exec, exec, s[0:1]
	v_or_b32_e32 v14, 0x280, v0
	v_cmp_gt_u32_e32 vcc, s26, v14
	s_and_saveexec_b64 s[0:1], vcc
	s_cbranch_execz .LBB83_74
; %bb.73:
	v_add_co_u32_e32 v16, vcc, 0x1000, v12
	s_waitcnt lgkmcnt(2)
	v_cvt_f64_i32_e32 v[14:15], v5
	v_addc_co_u32_e32 v17, vcc, 0, v13, vcc
	global_store_dwordx2 v[16:17], v[14:15], off offset:1024
.LBB83_74:
	s_or_b64 exec, exec, s[0:1]
	v_or_b32_e32 v14, 0x300, v0
	v_cmp_gt_u32_e32 vcc, s26, v14
	s_and_saveexec_b64 s[0:1], vcc
	s_cbranch_execz .LBB83_76
; %bb.75:
	v_add_co_u32_e32 v16, vcc, 0x1000, v12
	s_waitcnt lgkmcnt(1)
	v_cvt_f64_i32_e32 v[14:15], v8
	v_addc_co_u32_e32 v17, vcc, 0, v13, vcc
	global_store_dwordx2 v[16:17], v[14:15], off offset:2048
.LBB83_76:
	;; [unrolled: 12-line block ×3, first 2 shown]
	s_or_b64 exec, exec, s[0:1]
	v_or_b32_e32 v14, 0x400, v0
	v_cmp_gt_u32_e32 vcc, s26, v14
	s_and_saveexec_b64 s[0:1], vcc
	s_cbranch_execz .LBB83_80
; %bb.79:
	v_add_co_u32_e32 v16, vcc, 0x2000, v12
	s_waitcnt lgkmcnt(0)
	v_cvt_f64_i32_e32 v[14:15], v10
	v_addc_co_u32_e32 v17, vcc, 0, v13, vcc
	global_store_dwordx2 v[16:17], v[14:15], off
.LBB83_80:
	s_or_b64 exec, exec, s[0:1]
	v_or_b32_e32 v14, 0x480, v0
	v_cmp_gt_u32_e32 vcc, s26, v14
	s_and_saveexec_b64 s[0:1], vcc
	s_cbranch_execz .LBB83_82
; %bb.81:
	v_add_co_u32_e32 v12, vcc, 0x2000, v12
	s_waitcnt lgkmcnt(0)
	v_cvt_f64_i32_e32 v[14:15], v11
	v_addc_co_u32_e32 v13, vcc, 0, v13, vcc
	global_store_dwordx2 v[12:13], v[14:15], off offset:1024
.LBB83_82:
	s_or_b64 exec, exec, s[0:1]
	s_load_dword s0, s[4:5], 0x48
	s_waitcnt lgkmcnt(0)
	s_bfe_u32 s0, s0, 0x10008
	s_cmp_eq_u32 s0, 0
	s_cbranch_scc1 .LBB83_117
; %bb.83:
	s_add_u32 s0, s26, -1
	s_addc_u32 s1, s27, -1
	s_add_u32 s4, 0, 0x99986000
	s_addc_u32 s5, 0, 0x59
	s_add_i32 s5, s5, 0x19999940
	s_mul_hi_u32 s9, s4, -10
	s_sub_i32 s9, s9, s4
	s_mul_i32 s10, s5, -10
	s_mul_i32 s6, s4, -10
	s_add_i32 s9, s9, s10
	s_mul_hi_u32 s7, s5, s6
	s_mul_i32 s8, s5, s6
	s_mul_i32 s11, s4, s9
	s_mul_hi_u32 s6, s4, s6
	s_mul_hi_u32 s10, s4, s9
	s_add_u32 s6, s6, s11
	s_addc_u32 s10, 0, s10
	s_add_u32 s6, s6, s8
	s_mul_hi_u32 s11, s5, s9
	s_addc_u32 s6, s10, s7
	s_addc_u32 s7, s11, 0
	s_mul_i32 s8, s5, s9
	s_add_u32 s6, s6, s8
	v_mov_b32_e32 v12, s6
	s_addc_u32 s7, 0, s7
	v_add_co_u32_e32 v12, vcc, s4, v12
	s_cmp_lg_u64 vcc, 0
	s_addc_u32 s4, s5, s7
	v_readfirstlane_b32 s7, v12
	s_mul_i32 s6, s0, s4
	s_mul_hi_u32 s8, s0, s7
	s_mul_hi_u32 s5, s0, s4
	s_add_u32 s6, s8, s6
	s_addc_u32 s5, 0, s5
	s_mul_hi_u32 s9, s1, s7
	s_mul_i32 s7, s1, s7
	s_add_u32 s6, s6, s7
	s_mul_hi_u32 s8, s1, s4
	s_addc_u32 s5, s5, s9
	s_addc_u32 s6, s8, 0
	s_mul_i32 s4, s1, s4
	s_add_u32 s4, s5, s4
	s_addc_u32 s5, 0, s6
	s_add_u32 s6, s4, 1
	s_addc_u32 s7, s5, 0
	s_add_u32 s8, s4, 2
	s_mul_i32 s10, s5, 10
	s_mul_hi_u32 s11, s4, 10
	s_addc_u32 s9, s5, 0
	s_add_i32 s11, s11, s10
	s_mul_i32 s10, s4, 10
	v_mov_b32_e32 v12, s10
	v_sub_co_u32_e32 v12, vcc, s0, v12
	s_cmp_lg_u64 vcc, 0
	s_subb_u32 s10, s1, s11
	v_subrev_co_u32_e32 v13, vcc, 10, v12
	s_cmp_lg_u64 vcc, 0
	s_subb_u32 s11, s10, 0
	v_readfirstlane_b32 s12, v13
	s_cmp_gt_u32 s12, 9
	s_cselect_b32 s12, -1, 0
	s_cmp_eq_u32 s11, 0
	s_cselect_b32 s11, s12, -1
	s_cmp_lg_u32 s11, 0
	s_cselect_b32 s6, s8, s6
	v_readfirstlane_b32 s8, v12
	s_cselect_b32 s7, s9, s7
	s_cmp_gt_u32 s8, 9
	s_cselect_b32 s8, -1, 0
	s_cmp_eq_u32 s10, 0
	s_cselect_b32 s8, s8, -1
	s_cmp_lg_u32 s8, 0
	s_cselect_b32 s5, s7, s5
	s_cselect_b32 s4, s6, s4
	v_cmp_eq_u64_e32 vcc, s[4:5], v[0:1]
	s_and_saveexec_b64 s[4:5], vcc
	s_cbranch_execz .LBB83_117
; %bb.84:
	v_mul_hi_u32_u24_e32 v1, 10, v0
	v_mov_b32_e32 v12, s1
	v_sub_co_u32_e32 v0, vcc, s0, v22
	v_subb_co_u32_e32 v1, vcc, v12, v1, vcc
	v_cmp_lt_i64_e32 vcc, 4, v[0:1]
	s_and_saveexec_b64 s[0:1], vcc
	s_xor_b64 s[0:1], exec, s[0:1]
	s_cbranch_execz .LBB83_102
; %bb.85:
	v_cmp_lt_i64_e32 vcc, 6, v[0:1]
	s_and_saveexec_b64 s[4:5], vcc
	s_xor_b64 s[4:5], exec, s[4:5]
	s_cbranch_execz .LBB83_95
; %bb.86:
	;; [unrolled: 5-line block ×4, first 2 shown]
	v_mov_b32_e32 v0, 0
	global_store_dword v0, v11, s[2:3]
                                        ; implicit-def: $vgpr10_vgpr11
.LBB83_89:
	s_andn2_saveexec_b64 s[8:9], s[8:9]
	s_cbranch_execz .LBB83_91
; %bb.90:
	v_mov_b32_e32 v0, 0
	global_store_dword v0, v10, s[2:3]
.LBB83_91:
	s_or_b64 exec, exec, s[8:9]
                                        ; implicit-def: $vgpr8_vgpr9
.LBB83_92:
	s_andn2_saveexec_b64 s[6:7], s[6:7]
	s_cbranch_execz .LBB83_94
; %bb.93:
	v_mov_b32_e32 v0, 0
	global_store_dword v0, v9, s[2:3]
.LBB83_94:
	s_or_b64 exec, exec, s[6:7]
                                        ; implicit-def: $vgpr4_vgpr5
                                        ; implicit-def: $vgpr0_vgpr1
                                        ; implicit-def: $vgpr8_vgpr9
.LBB83_95:
	s_andn2_saveexec_b64 s[4:5], s[4:5]
	s_cbranch_execz .LBB83_101
; %bb.96:
	v_cmp_lt_i64_e32 vcc, 5, v[0:1]
	s_and_saveexec_b64 s[6:7], vcc
	s_xor_b64 s[6:7], exec, s[6:7]
	s_cbranch_execz .LBB83_98
; %bb.97:
	v_mov_b32_e32 v0, 0
	global_store_dword v0, v8, s[2:3]
                                        ; implicit-def: $vgpr4_vgpr5
.LBB83_98:
	s_andn2_saveexec_b64 s[6:7], s[6:7]
	s_cbranch_execz .LBB83_100
; %bb.99:
	v_mov_b32_e32 v0, 0
	global_store_dword v0, v5, s[2:3]
.LBB83_100:
	s_or_b64 exec, exec, s[6:7]
.LBB83_101:
	s_or_b64 exec, exec, s[4:5]
                                        ; implicit-def: $vgpr0_vgpr1
                                        ; implicit-def: $vgpr6_vgpr7
                                        ; implicit-def: $vgpr2_vgpr3
                                        ; implicit-def: $vgpr4_vgpr5
.LBB83_102:
	s_andn2_saveexec_b64 s[0:1], s[0:1]
	s_cbranch_execz .LBB83_117
; %bb.103:
	v_cmp_lt_i64_e32 vcc, 2, v[0:1]
	s_and_saveexec_b64 s[0:1], vcc
	s_xor_b64 s[0:1], exec, s[0:1]
	s_cbranch_execz .LBB83_109
; %bb.104:
	v_cmp_lt_i64_e32 vcc, 3, v[0:1]
	s_and_saveexec_b64 s[4:5], vcc
	s_xor_b64 s[4:5], exec, s[4:5]
	s_cbranch_execz .LBB83_106
; %bb.105:
	v_mov_b32_e32 v0, 0
	global_store_dword v0, v4, s[2:3]
                                        ; implicit-def: $vgpr6_vgpr7
.LBB83_106:
	s_andn2_saveexec_b64 s[4:5], s[4:5]
	s_cbranch_execz .LBB83_108
; %bb.107:
	v_mov_b32_e32 v0, 0
	global_store_dword v0, v7, s[2:3]
.LBB83_108:
	s_or_b64 exec, exec, s[4:5]
                                        ; implicit-def: $vgpr0_vgpr1
                                        ; implicit-def: $vgpr6_vgpr7
                                        ; implicit-def: $vgpr2_vgpr3
.LBB83_109:
	s_andn2_saveexec_b64 s[0:1], s[0:1]
	s_cbranch_execz .LBB83_117
; %bb.110:
	v_cmp_lt_i64_e32 vcc, 1, v[0:1]
	s_and_saveexec_b64 s[0:1], vcc
	s_xor_b64 s[0:1], exec, s[0:1]
	s_cbranch_execz .LBB83_112
; %bb.111:
	v_mov_b32_e32 v0, 0
	global_store_dword v0, v6, s[2:3]
                                        ; implicit-def: $vgpr2_vgpr3
                                        ; implicit-def: $vgpr0_vgpr1
.LBB83_112:
	s_andn2_saveexec_b64 s[0:1], s[0:1]
	s_cbranch_execz .LBB83_117
; %bb.113:
	v_cmp_ne_u64_e32 vcc, 1, v[0:1]
	s_and_saveexec_b64 s[0:1], vcc
	s_xor_b64 s[0:1], exec, s[0:1]
	s_cbranch_execz .LBB83_115
; %bb.114:
	v_mov_b32_e32 v0, 0
	global_store_dword v0, v2, s[2:3]
                                        ; implicit-def: $vgpr2_vgpr3
.LBB83_115:
	s_andn2_saveexec_b64 s[0:1], s[0:1]
	s_cbranch_execz .LBB83_117
; %bb.116:
	v_mov_b32_e32 v0, 0
	global_store_dword v0, v3, s[2:3]
.LBB83_117:
	s_endpgm
	.section	.rodata,"a",@progbits
	.p2align	6, 0x0
	.amdhsa_kernel _ZN7rocprim6detail20lookback_scan_kernelILNS0_25lookback_scan_determinismE0ELb1ENS0_19wrapped_scan_configINS_14default_configEiEEN6hipcub22TransformInputIteratorIiNS6_6CastOpIiEEPilEEPdNS6_3SumEiiNS0_19lookback_scan_stateIiLb0ELb1EEEEEvT2_T3_mT5_T4_T7_jPT6_SM_bb
		.amdhsa_group_segment_fixed_size 5120
		.amdhsa_private_segment_fixed_size 0
		.amdhsa_kernarg_size 76
		.amdhsa_user_sgpr_count 6
		.amdhsa_user_sgpr_private_segment_buffer 1
		.amdhsa_user_sgpr_dispatch_ptr 0
		.amdhsa_user_sgpr_queue_ptr 0
		.amdhsa_user_sgpr_kernarg_segment_ptr 1
		.amdhsa_user_sgpr_dispatch_id 0
		.amdhsa_user_sgpr_flat_scratch_init 0
		.amdhsa_user_sgpr_kernarg_preload_length 0
		.amdhsa_user_sgpr_kernarg_preload_offset 0
		.amdhsa_user_sgpr_private_segment_size 0
		.amdhsa_uses_dynamic_stack 0
		.amdhsa_system_sgpr_private_segment_wavefront_offset 0
		.amdhsa_system_sgpr_workgroup_id_x 1
		.amdhsa_system_sgpr_workgroup_id_y 0
		.amdhsa_system_sgpr_workgroup_id_z 0
		.amdhsa_system_sgpr_workgroup_info 0
		.amdhsa_system_vgpr_workitem_id 0
		.amdhsa_next_free_vgpr 41
		.amdhsa_next_free_sgpr 28
		.amdhsa_accum_offset 44
		.amdhsa_reserve_vcc 1
		.amdhsa_reserve_flat_scratch 0
		.amdhsa_float_round_mode_32 0
		.amdhsa_float_round_mode_16_64 0
		.amdhsa_float_denorm_mode_32 3
		.amdhsa_float_denorm_mode_16_64 3
		.amdhsa_dx10_clamp 1
		.amdhsa_ieee_mode 1
		.amdhsa_fp16_overflow 0
		.amdhsa_tg_split 0
		.amdhsa_exception_fp_ieee_invalid_op 0
		.amdhsa_exception_fp_denorm_src 0
		.amdhsa_exception_fp_ieee_div_zero 0
		.amdhsa_exception_fp_ieee_overflow 0
		.amdhsa_exception_fp_ieee_underflow 0
		.amdhsa_exception_fp_ieee_inexact 0
		.amdhsa_exception_int_div_zero 0
	.end_amdhsa_kernel
	.section	.text._ZN7rocprim6detail20lookback_scan_kernelILNS0_25lookback_scan_determinismE0ELb1ENS0_19wrapped_scan_configINS_14default_configEiEEN6hipcub22TransformInputIteratorIiNS6_6CastOpIiEEPilEEPdNS6_3SumEiiNS0_19lookback_scan_stateIiLb0ELb1EEEEEvT2_T3_mT5_T4_T7_jPT6_SM_bb,"axG",@progbits,_ZN7rocprim6detail20lookback_scan_kernelILNS0_25lookback_scan_determinismE0ELb1ENS0_19wrapped_scan_configINS_14default_configEiEEN6hipcub22TransformInputIteratorIiNS6_6CastOpIiEEPilEEPdNS6_3SumEiiNS0_19lookback_scan_stateIiLb0ELb1EEEEEvT2_T3_mT5_T4_T7_jPT6_SM_bb,comdat
.Lfunc_end83:
	.size	_ZN7rocprim6detail20lookback_scan_kernelILNS0_25lookback_scan_determinismE0ELb1ENS0_19wrapped_scan_configINS_14default_configEiEEN6hipcub22TransformInputIteratorIiNS6_6CastOpIiEEPilEEPdNS6_3SumEiiNS0_19lookback_scan_stateIiLb0ELb1EEEEEvT2_T3_mT5_T4_T7_jPT6_SM_bb, .Lfunc_end83-_ZN7rocprim6detail20lookback_scan_kernelILNS0_25lookback_scan_determinismE0ELb1ENS0_19wrapped_scan_configINS_14default_configEiEEN6hipcub22TransformInputIteratorIiNS6_6CastOpIiEEPilEEPdNS6_3SumEiiNS0_19lookback_scan_stateIiLb0ELb1EEEEEvT2_T3_mT5_T4_T7_jPT6_SM_bb
                                        ; -- End function
	.section	.AMDGPU.csdata,"",@progbits
; Kernel info:
; codeLenInByte = 4480
; NumSgprs: 32
; NumVgprs: 41
; NumAgprs: 0
; TotalNumVgprs: 41
; ScratchSize: 0
; MemoryBound: 0
; FloatMode: 240
; IeeeMode: 1
; LDSByteSize: 5120 bytes/workgroup (compile time only)
; SGPRBlocks: 3
; VGPRBlocks: 5
; NumSGPRsForWavesPerEU: 32
; NumVGPRsForWavesPerEU: 41
; AccumOffset: 44
; Occupancy: 6
; WaveLimiterHint : 1
; COMPUTE_PGM_RSRC2:SCRATCH_EN: 0
; COMPUTE_PGM_RSRC2:USER_SGPR: 6
; COMPUTE_PGM_RSRC2:TRAP_HANDLER: 0
; COMPUTE_PGM_RSRC2:TGID_X_EN: 1
; COMPUTE_PGM_RSRC2:TGID_Y_EN: 0
; COMPUTE_PGM_RSRC2:TGID_Z_EN: 0
; COMPUTE_PGM_RSRC2:TIDIG_COMP_CNT: 0
; COMPUTE_PGM_RSRC3_GFX90A:ACCUM_OFFSET: 10
; COMPUTE_PGM_RSRC3_GFX90A:TG_SPLIT: 0
	.section	.text._ZN7rocprim6detail18single_scan_kernelILb1ENS0_19wrapped_scan_configINS_14default_configEiEEN6hipcub22TransformInputIteratorIiNS5_6CastOpIiEEPilEEPdNS5_3SumEiiEEvT1_mT4_T2_T3_,"axG",@progbits,_ZN7rocprim6detail18single_scan_kernelILb1ENS0_19wrapped_scan_configINS_14default_configEiEEN6hipcub22TransformInputIteratorIiNS5_6CastOpIiEEPilEEPdNS5_3SumEiiEEvT1_mT4_T2_T3_,comdat
	.protected	_ZN7rocprim6detail18single_scan_kernelILb1ENS0_19wrapped_scan_configINS_14default_configEiEEN6hipcub22TransformInputIteratorIiNS5_6CastOpIiEEPilEEPdNS5_3SumEiiEEvT1_mT4_T2_T3_ ; -- Begin function _ZN7rocprim6detail18single_scan_kernelILb1ENS0_19wrapped_scan_configINS_14default_configEiEEN6hipcub22TransformInputIteratorIiNS5_6CastOpIiEEPilEEPdNS5_3SumEiiEEvT1_mT4_T2_T3_
	.globl	_ZN7rocprim6detail18single_scan_kernelILb1ENS0_19wrapped_scan_configINS_14default_configEiEEN6hipcub22TransformInputIteratorIiNS5_6CastOpIiEEPilEEPdNS5_3SumEiiEEvT1_mT4_T2_T3_
	.p2align	8
	.type	_ZN7rocprim6detail18single_scan_kernelILb1ENS0_19wrapped_scan_configINS_14default_configEiEEN6hipcub22TransformInputIteratorIiNS5_6CastOpIiEEPilEEPdNS5_3SumEiiEEvT1_mT4_T2_T3_,@function
_ZN7rocprim6detail18single_scan_kernelILb1ENS0_19wrapped_scan_configINS_14default_configEiEEN6hipcub22TransformInputIteratorIiNS5_6CastOpIiEEPilEEPdNS5_3SumEiiEEvT1_mT4_T2_T3_: ; @_ZN7rocprim6detail18single_scan_kernelILb1ENS0_19wrapped_scan_configINS_14default_configEiEEN6hipcub22TransformInputIteratorIiNS5_6CastOpIiEEPilEEPdNS5_3SumEiiEEvT1_mT4_T2_T3_
; %bb.0:
	s_load_dwordx2 s[0:1], s[4:5], 0x0
	s_load_dword s22, s[4:5], 0x10
	v_lshlrev_b32_e32 v14, 2, v0
	s_waitcnt lgkmcnt(0)
	s_load_dword s8, s[0:1], 0x0
	v_mov_b32_e32 v1, s1
	v_add_co_u32_e32 v12, vcc, s0, v14
	v_addc_co_u32_e32 v13, vcc, 0, v1, vcc
	s_waitcnt lgkmcnt(0)
	s_mov_b32 s9, s8
	s_mov_b32 s10, s8
	;; [unrolled: 1-line block ×9, first 2 shown]
	v_pk_mov_b32 v[2:3], s[8:9], s[8:9] op_sel:[0,1]
	v_cmp_gt_u32_e64 s[0:1], s22, v0
	v_pk_mov_b32 v[4:5], s[10:11], s[10:11] op_sel:[0,1]
	v_pk_mov_b32 v[6:7], s[12:13], s[12:13] op_sel:[0,1]
	;; [unrolled: 1-line block ×4, first 2 shown]
	v_mov_b32_e32 v1, s8
	s_and_saveexec_b64 s[2:3], s[0:1]
	s_cbranch_execz .LBB84_2
; %bb.1:
	global_load_dword v1, v[12:13], off
	v_pk_mov_b32 v[2:3], s[8:9], s[8:9] op_sel:[0,1]
	v_pk_mov_b32 v[4:5], s[10:11], s[10:11] op_sel:[0,1]
	;; [unrolled: 1-line block ×5, first 2 shown]
                                        ; kill: def $vgpr2 killed $vgpr1 killed $exec
.LBB84_2:
	s_or_b64 exec, exec, s[2:3]
	v_or_b32_e32 v2, 0x80, v0
	v_cmp_gt_u32_e64 s[2:3], s22, v2
	s_and_saveexec_b64 s[6:7], s[2:3]
	s_cbranch_execz .LBB84_4
; %bb.3:
	global_load_dword v3, v[12:13], off offset:512
.LBB84_4:
	s_or_b64 exec, exec, s[6:7]
	v_or_b32_e32 v2, 0x100, v0
	v_cmp_gt_u32_e64 s[6:7], s22, v2
	s_and_saveexec_b64 s[8:9], s[6:7]
	s_cbranch_execz .LBB84_6
; %bb.5:
	global_load_dword v4, v[12:13], off offset:1024
.LBB84_6:
	;; [unrolled: 8-line block ×7, first 2 shown]
	s_or_b64 exec, exec, s[18:19]
	v_or_b32_e32 v2, 0x400, v0
	v_cmp_gt_u32_e64 s[18:19], s22, v2
	s_and_saveexec_b64 s[20:21], s[18:19]
	s_cbranch_execz .LBB84_18
; %bb.17:
	v_add_co_u32_e32 v16, vcc, 0x1000, v12
	v_addc_co_u32_e32 v17, vcc, 0, v13, vcc
	global_load_dword v10, v[16:17], off
.LBB84_18:
	s_or_b64 exec, exec, s[20:21]
	v_or_b32_e32 v2, 0x480, v0
	v_cmp_gt_u32_e64 s[20:21], s22, v2
	s_and_saveexec_b64 s[22:23], s[20:21]
	s_cbranch_execz .LBB84_20
; %bb.19:
	v_add_co_u32_e32 v12, vcc, 0x1000, v12
	v_addc_co_u32_e32 v13, vcc, 0, v13, vcc
	global_load_dword v11, v[12:13], off offset:512
.LBB84_20:
	s_or_b64 exec, exec, s[22:23]
	s_waitcnt vmcnt(0)
	ds_write2st64_b32 v14, v1, v3 offset1:2
	ds_write2st64_b32 v14, v4, v5 offset0:4 offset1:6
	ds_write2st64_b32 v14, v6, v7 offset0:8 offset1:10
	ds_write2st64_b32 v14, v8, v9 offset0:12 offset1:14
	ds_write2st64_b32 v14, v10, v11 offset0:16 offset1:18
	v_mad_u32_u24 v1, v0, 36, v14
	s_waitcnt lgkmcnt(0)
	s_barrier
	ds_read2_b64 v[6:9], v1 offset1:1
	ds_read2_b64 v[2:5], v1 offset0:2 offset1:3
	ds_read_b64 v[10:11], v1 offset:32
	v_cmp_gt_u32_e32 vcc, 64, v0
	s_waitcnt lgkmcnt(0)
	v_add_u32_e32 v1, v7, v6
	v_add3_u32 v1, v1, v8, v9
	v_add3_u32 v1, v1, v2, v3
	;; [unrolled: 1-line block ×4, first 2 shown]
	v_lshrrev_b32_e32 v11, 3, v0
	v_and_b32_e32 v11, 12, v11
	v_add_u32_e32 v11, v14, v11
	s_barrier
	ds_write_b32 v11, v1
	s_waitcnt lgkmcnt(0)
	s_barrier
	s_and_saveexec_b64 s[22:23], vcc
	s_cbranch_execz .LBB84_22
; %bb.21:
	v_lshlrev_b32_e32 v11, 1, v0
	v_lshrrev_b32_e32 v12, 4, v0
	v_add_lshl_u32 v11, v12, v11, 2
	ds_read2_b32 v[12:13], v11 offset1:1
	v_mbcnt_lo_u32_b32 v15, -1, 0
	v_mbcnt_hi_u32_b32 v15, -1, v15
	v_and_b32_e32 v16, 15, v15
	v_cmp_ne_u32_e32 vcc, 0, v16
	s_waitcnt lgkmcnt(0)
	v_add_u32_e32 v17, v13, v12
	s_nop 1
	v_mov_b32_dpp v18, v17 row_shr:1 row_mask:0xf bank_mask:0xf
	v_cndmask_b32_e32 v18, 0, v18, vcc
	v_add_u32_e32 v17, v18, v17
	v_cmp_lt_u32_e32 vcc, 1, v16
	s_nop 0
	v_mov_b32_dpp v18, v17 row_shr:2 row_mask:0xf bank_mask:0xf
	v_cndmask_b32_e32 v18, 0, v18, vcc
	v_add_u32_e32 v17, v17, v18
	v_cmp_lt_u32_e32 vcc, 3, v16
	s_nop 0
	v_mov_b32_dpp v18, v17 row_shr:4 row_mask:0xf bank_mask:0xf
	v_cndmask_b32_e32 v18, 0, v18, vcc
	v_add_u32_e32 v17, v17, v18
	v_cmp_lt_u32_e32 vcc, 7, v16
	s_nop 0
	v_mov_b32_dpp v18, v17 row_shr:8 row_mask:0xf bank_mask:0xf
	v_cndmask_b32_e32 v16, 0, v18, vcc
	v_add_u32_e32 v16, v17, v16
	v_bfe_i32 v18, v15, 4, 1
	v_cmp_lt_u32_e32 vcc, 31, v15
	v_mov_b32_dpp v17, v16 row_bcast:15 row_mask:0xf bank_mask:0xf
	v_and_b32_e32 v17, v18, v17
	v_add_u32_e32 v16, v16, v17
	v_and_b32_e32 v18, 64, v15
	s_nop 0
	v_mov_b32_dpp v17, v16 row_bcast:31 row_mask:0xf bank_mask:0xf
	v_cndmask_b32_e32 v17, 0, v17, vcc
	v_add_u32_e32 v16, v16, v17
	v_add_u32_e32 v17, -1, v15
	v_cmp_lt_i32_e32 vcc, v17, v18
	v_cndmask_b32_e32 v15, v17, v15, vcc
	v_lshlrev_b32_e32 v15, 2, v15
	ds_bpermute_b32 v15, v15, v16
	v_cmp_eq_u32_e32 vcc, 0, v0
	s_waitcnt lgkmcnt(0)
	v_add_u32_e32 v12, v15, v12
	v_cndmask_b32_e32 v1, v12, v1, vcc
	v_add_u32_e32 v12, v1, v13
	ds_write2_b32 v11, v1, v12 offset1:1
.LBB84_22:
	s_or_b64 exec, exec, s[22:23]
	s_load_dword s24, s[4:5], 0x18
	v_mul_u32_u24_e32 v1, 36, v0
	v_cmp_ne_u32_e32 vcc, 0, v0
	s_waitcnt lgkmcnt(0)
	s_barrier
	v_mov_b32_e32 v12, s24
	s_and_saveexec_b64 s[22:23], vcc
	s_cbranch_execz .LBB84_24
; %bb.23:
	v_add_u32_e32 v11, -1, v0
	v_lshrrev_b32_e32 v12, 5, v11
	v_add_lshl_u32 v11, v12, v11, 2
	ds_read_b32 v11, v11
	s_waitcnt lgkmcnt(0)
	v_add_u32_e32 v12, s24, v11
.LBB84_24:
	s_or_b64 exec, exec, s[22:23]
	v_add_u32_e32 v13, v12, v6
	v_add_u32_e32 v6, v13, v7
	;; [unrolled: 1-line block ×10, first 2 shown]
	s_barrier
	ds_write2_b64 v1, v[12:13], v[6:7] offset1:1
	ds_write2_b64 v1, v[8:9], v[2:3] offset0:2 offset1:3
	ds_write_b64 v1, v[4:5] offset:32
	s_waitcnt lgkmcnt(0)
	s_barrier
	ds_read2st64_b32 v[8:9], v14 offset0:2 offset1:4
	ds_read2st64_b32 v[6:7], v14 offset0:6 offset1:8
	;; [unrolled: 1-line block ×4, first 2 shown]
	ds_read_b32 v10, v14 offset:4608
	s_load_dwordx2 s[4:5], s[4:5], 0x20
	v_lshlrev_b32_e32 v0, 3, v0
	s_waitcnt lgkmcnt(0)
	v_mov_b32_e32 v1, s5
	v_add_co_u32_e32 v0, vcc, s4, v0
	v_addc_co_u32_e32 v1, vcc, 0, v1, vcc
	s_and_saveexec_b64 s[4:5], s[0:1]
	s_cbranch_execnz .LBB84_35
; %bb.25:
	s_or_b64 exec, exec, s[4:5]
	s_and_saveexec_b64 s[0:1], s[2:3]
	s_cbranch_execnz .LBB84_36
.LBB84_26:
	s_or_b64 exec, exec, s[0:1]
	s_and_saveexec_b64 s[0:1], s[6:7]
	s_cbranch_execnz .LBB84_37
.LBB84_27:
	s_or_b64 exec, exec, s[0:1]
	s_and_saveexec_b64 s[0:1], s[8:9]
	s_cbranch_execnz .LBB84_38
.LBB84_28:
	s_or_b64 exec, exec, s[0:1]
	s_and_saveexec_b64 s[0:1], s[10:11]
	s_cbranch_execnz .LBB84_39
.LBB84_29:
	s_or_b64 exec, exec, s[0:1]
	s_and_saveexec_b64 s[0:1], s[12:13]
	s_cbranch_execnz .LBB84_40
.LBB84_30:
	s_or_b64 exec, exec, s[0:1]
	s_and_saveexec_b64 s[0:1], s[14:15]
	s_cbranch_execnz .LBB84_41
.LBB84_31:
	s_or_b64 exec, exec, s[0:1]
	s_and_saveexec_b64 s[0:1], s[16:17]
	s_cbranch_execnz .LBB84_42
.LBB84_32:
	s_or_b64 exec, exec, s[0:1]
	s_and_saveexec_b64 s[0:1], s[18:19]
	s_cbranch_execnz .LBB84_43
.LBB84_33:
	s_or_b64 exec, exec, s[0:1]
	s_and_saveexec_b64 s[0:1], s[20:21]
	s_cbranch_execnz .LBB84_44
.LBB84_34:
	s_endpgm
.LBB84_35:
	ds_read_b32 v11, v14
	s_waitcnt lgkmcnt(0)
	v_cvt_f64_i32_e32 v[12:13], v11
	global_store_dwordx2 v[0:1], v[12:13], off
	s_or_b64 exec, exec, s[4:5]
	s_and_saveexec_b64 s[0:1], s[2:3]
	s_cbranch_execz .LBB84_26
.LBB84_36:
	v_cvt_f64_i32_e32 v[12:13], v8
	global_store_dwordx2 v[0:1], v[12:13], off offset:1024
	s_or_b64 exec, exec, s[0:1]
	s_and_saveexec_b64 s[0:1], s[6:7]
	s_cbranch_execz .LBB84_27
.LBB84_37:
	v_cvt_f64_i32_e32 v[8:9], v9
	global_store_dwordx2 v[0:1], v[8:9], off offset:2048
	s_or_b64 exec, exec, s[0:1]
	s_and_saveexec_b64 s[0:1], s[8:9]
	s_cbranch_execz .LBB84_28
.LBB84_38:
	v_cvt_f64_i32_e32 v[8:9], v6
	global_store_dwordx2 v[0:1], v[8:9], off offset:3072
	s_or_b64 exec, exec, s[0:1]
	s_and_saveexec_b64 s[0:1], s[10:11]
	s_cbranch_execz .LBB84_29
.LBB84_39:
	v_add_co_u32_e32 v8, vcc, 0x1000, v0
	v_cvt_f64_i32_e32 v[6:7], v7
	v_addc_co_u32_e32 v9, vcc, 0, v1, vcc
	global_store_dwordx2 v[8:9], v[6:7], off
	s_or_b64 exec, exec, s[0:1]
	s_and_saveexec_b64 s[0:1], s[12:13]
	s_cbranch_execz .LBB84_30
.LBB84_40:
	v_add_co_u32_e32 v8, vcc, 0x1000, v0
	v_cvt_f64_i32_e32 v[6:7], v4
	v_addc_co_u32_e32 v9, vcc, 0, v1, vcc
	global_store_dwordx2 v[8:9], v[6:7], off offset:1024
	s_or_b64 exec, exec, s[0:1]
	s_and_saveexec_b64 s[0:1], s[14:15]
	s_cbranch_execz .LBB84_31
.LBB84_41:
	v_add_co_u32_e32 v6, vcc, 0x1000, v0
	v_cvt_f64_i32_e32 v[4:5], v5
	v_addc_co_u32_e32 v7, vcc, 0, v1, vcc
	global_store_dwordx2 v[6:7], v[4:5], off offset:2048
	s_or_b64 exec, exec, s[0:1]
	s_and_saveexec_b64 s[0:1], s[16:17]
	s_cbranch_execz .LBB84_32
.LBB84_42:
	v_add_co_u32_e32 v6, vcc, 0x1000, v0
	v_cvt_f64_i32_e32 v[4:5], v2
	v_addc_co_u32_e32 v7, vcc, 0, v1, vcc
	global_store_dwordx2 v[6:7], v[4:5], off offset:3072
	s_or_b64 exec, exec, s[0:1]
	s_and_saveexec_b64 s[0:1], s[18:19]
	s_cbranch_execz .LBB84_33
.LBB84_43:
	v_add_co_u32_e32 v4, vcc, 0x2000, v0
	v_cvt_f64_i32_e32 v[2:3], v3
	v_addc_co_u32_e32 v5, vcc, 0, v1, vcc
	global_store_dwordx2 v[4:5], v[2:3], off
	s_or_b64 exec, exec, s[0:1]
	s_and_saveexec_b64 s[0:1], s[20:21]
	s_cbranch_execz .LBB84_34
.LBB84_44:
	v_add_co_u32_e32 v0, vcc, 0x2000, v0
	v_cvt_f64_i32_e32 v[2:3], v10
	v_addc_co_u32_e32 v1, vcc, 0, v1, vcc
	global_store_dwordx2 v[0:1], v[2:3], off offset:1024
	s_endpgm
	.section	.rodata,"a",@progbits
	.p2align	6, 0x0
	.amdhsa_kernel _ZN7rocprim6detail18single_scan_kernelILb1ENS0_19wrapped_scan_configINS_14default_configEiEEN6hipcub22TransformInputIteratorIiNS5_6CastOpIiEEPilEEPdNS5_3SumEiiEEvT1_mT4_T2_T3_
		.amdhsa_group_segment_fixed_size 5120
		.amdhsa_private_segment_fixed_size 0
		.amdhsa_kernarg_size 44
		.amdhsa_user_sgpr_count 6
		.amdhsa_user_sgpr_private_segment_buffer 1
		.amdhsa_user_sgpr_dispatch_ptr 0
		.amdhsa_user_sgpr_queue_ptr 0
		.amdhsa_user_sgpr_kernarg_segment_ptr 1
		.amdhsa_user_sgpr_dispatch_id 0
		.amdhsa_user_sgpr_flat_scratch_init 0
		.amdhsa_user_sgpr_kernarg_preload_length 0
		.amdhsa_user_sgpr_kernarg_preload_offset 0
		.amdhsa_user_sgpr_private_segment_size 0
		.amdhsa_uses_dynamic_stack 0
		.amdhsa_system_sgpr_private_segment_wavefront_offset 0
		.amdhsa_system_sgpr_workgroup_id_x 1
		.amdhsa_system_sgpr_workgroup_id_y 0
		.amdhsa_system_sgpr_workgroup_id_z 0
		.amdhsa_system_sgpr_workgroup_info 0
		.amdhsa_system_vgpr_workitem_id 0
		.amdhsa_next_free_vgpr 19
		.amdhsa_next_free_sgpr 25
		.amdhsa_accum_offset 20
		.amdhsa_reserve_vcc 1
		.amdhsa_reserve_flat_scratch 0
		.amdhsa_float_round_mode_32 0
		.amdhsa_float_round_mode_16_64 0
		.amdhsa_float_denorm_mode_32 3
		.amdhsa_float_denorm_mode_16_64 3
		.amdhsa_dx10_clamp 1
		.amdhsa_ieee_mode 1
		.amdhsa_fp16_overflow 0
		.amdhsa_tg_split 0
		.amdhsa_exception_fp_ieee_invalid_op 0
		.amdhsa_exception_fp_denorm_src 0
		.amdhsa_exception_fp_ieee_div_zero 0
		.amdhsa_exception_fp_ieee_overflow 0
		.amdhsa_exception_fp_ieee_underflow 0
		.amdhsa_exception_fp_ieee_inexact 0
		.amdhsa_exception_int_div_zero 0
	.end_amdhsa_kernel
	.section	.text._ZN7rocprim6detail18single_scan_kernelILb1ENS0_19wrapped_scan_configINS_14default_configEiEEN6hipcub22TransformInputIteratorIiNS5_6CastOpIiEEPilEEPdNS5_3SumEiiEEvT1_mT4_T2_T3_,"axG",@progbits,_ZN7rocprim6detail18single_scan_kernelILb1ENS0_19wrapped_scan_configINS_14default_configEiEEN6hipcub22TransformInputIteratorIiNS5_6CastOpIiEEPilEEPdNS5_3SumEiiEEvT1_mT4_T2_T3_,comdat
.Lfunc_end84:
	.size	_ZN7rocprim6detail18single_scan_kernelILb1ENS0_19wrapped_scan_configINS_14default_configEiEEN6hipcub22TransformInputIteratorIiNS5_6CastOpIiEEPilEEPdNS5_3SumEiiEEvT1_mT4_T2_T3_, .Lfunc_end84-_ZN7rocprim6detail18single_scan_kernelILb1ENS0_19wrapped_scan_configINS_14default_configEiEEN6hipcub22TransformInputIteratorIiNS5_6CastOpIiEEPilEEPdNS5_3SumEiiEEvT1_mT4_T2_T3_
                                        ; -- End function
	.section	.AMDGPU.csdata,"",@progbits
; Kernel info:
; codeLenInByte = 1620
; NumSgprs: 29
; NumVgprs: 19
; NumAgprs: 0
; TotalNumVgprs: 19
; ScratchSize: 0
; MemoryBound: 0
; FloatMode: 240
; IeeeMode: 1
; LDSByteSize: 5120 bytes/workgroup (compile time only)
; SGPRBlocks: 3
; VGPRBlocks: 2
; NumSGPRsForWavesPerEU: 29
; NumVGPRsForWavesPerEU: 19
; AccumOffset: 20
; Occupancy: 6
; WaveLimiterHint : 0
; COMPUTE_PGM_RSRC2:SCRATCH_EN: 0
; COMPUTE_PGM_RSRC2:USER_SGPR: 6
; COMPUTE_PGM_RSRC2:TRAP_HANDLER: 0
; COMPUTE_PGM_RSRC2:TGID_X_EN: 1
; COMPUTE_PGM_RSRC2:TGID_Y_EN: 0
; COMPUTE_PGM_RSRC2:TGID_Z_EN: 0
; COMPUTE_PGM_RSRC2:TIDIG_COMP_CNT: 0
; COMPUTE_PGM_RSRC3_GFX90A:ACCUM_OFFSET: 4
; COMPUTE_PGM_RSRC3_GFX90A:TG_SPLIT: 0
	.section	.text._ZN7rocprim6detail20lookback_scan_kernelILNS0_25lookback_scan_determinismE0ELb1ENS0_19wrapped_scan_configINS_14default_configEsEEN6hipcub22TransformInputIteratorIsNS6_6CastOpIsEEPslEEPfNS6_3MaxEssNS0_19lookback_scan_stateIsLb1ELb1EEEEEvT2_T3_mT5_T4_T7_jPT6_SM_bb,"axG",@progbits,_ZN7rocprim6detail20lookback_scan_kernelILNS0_25lookback_scan_determinismE0ELb1ENS0_19wrapped_scan_configINS_14default_configEsEEN6hipcub22TransformInputIteratorIsNS6_6CastOpIsEEPslEEPfNS6_3MaxEssNS0_19lookback_scan_stateIsLb1ELb1EEEEEvT2_T3_mT5_T4_T7_jPT6_SM_bb,comdat
	.protected	_ZN7rocprim6detail20lookback_scan_kernelILNS0_25lookback_scan_determinismE0ELb1ENS0_19wrapped_scan_configINS_14default_configEsEEN6hipcub22TransformInputIteratorIsNS6_6CastOpIsEEPslEEPfNS6_3MaxEssNS0_19lookback_scan_stateIsLb1ELb1EEEEEvT2_T3_mT5_T4_T7_jPT6_SM_bb ; -- Begin function _ZN7rocprim6detail20lookback_scan_kernelILNS0_25lookback_scan_determinismE0ELb1ENS0_19wrapped_scan_configINS_14default_configEsEEN6hipcub22TransformInputIteratorIsNS6_6CastOpIsEEPslEEPfNS6_3MaxEssNS0_19lookback_scan_stateIsLb1ELb1EEEEEvT2_T3_mT5_T4_T7_jPT6_SM_bb
	.globl	_ZN7rocprim6detail20lookback_scan_kernelILNS0_25lookback_scan_determinismE0ELb1ENS0_19wrapped_scan_configINS_14default_configEsEEN6hipcub22TransformInputIteratorIsNS6_6CastOpIsEEPslEEPfNS6_3MaxEssNS0_19lookback_scan_stateIsLb1ELb1EEEEEvT2_T3_mT5_T4_T7_jPT6_SM_bb
	.p2align	8
	.type	_ZN7rocprim6detail20lookback_scan_kernelILNS0_25lookback_scan_determinismE0ELb1ENS0_19wrapped_scan_configINS_14default_configEsEEN6hipcub22TransformInputIteratorIsNS6_6CastOpIsEEPslEEPfNS6_3MaxEssNS0_19lookback_scan_stateIsLb1ELb1EEEEEvT2_T3_mT5_T4_T7_jPT6_SM_bb,@function
_ZN7rocprim6detail20lookback_scan_kernelILNS0_25lookback_scan_determinismE0ELb1ENS0_19wrapped_scan_configINS_14default_configEsEEN6hipcub22TransformInputIteratorIsNS6_6CastOpIsEEPslEEPfNS6_3MaxEssNS0_19lookback_scan_stateIsLb1ELb1EEEEEvT2_T3_mT5_T4_T7_jPT6_SM_bb: ; @_ZN7rocprim6detail20lookback_scan_kernelILNS0_25lookback_scan_determinismE0ELb1ENS0_19wrapped_scan_configINS_14default_configEsEEN6hipcub22TransformInputIteratorIsNS6_6CastOpIsEEPslEEPfNS6_3MaxEssNS0_19lookback_scan_stateIsLb1ELb1EEEEEvT2_T3_mT5_T4_T7_jPT6_SM_bb
; %bb.0:
	s_endpgm
	.section	.rodata,"a",@progbits
	.p2align	6, 0x0
	.amdhsa_kernel _ZN7rocprim6detail20lookback_scan_kernelILNS0_25lookback_scan_determinismE0ELb1ENS0_19wrapped_scan_configINS_14default_configEsEEN6hipcub22TransformInputIteratorIsNS6_6CastOpIsEEPslEEPfNS6_3MaxEssNS0_19lookback_scan_stateIsLb1ELb1EEEEEvT2_T3_mT5_T4_T7_jPT6_SM_bb
		.amdhsa_group_segment_fixed_size 0
		.amdhsa_private_segment_fixed_size 0
		.amdhsa_kernarg_size 76
		.amdhsa_user_sgpr_count 6
		.amdhsa_user_sgpr_private_segment_buffer 1
		.amdhsa_user_sgpr_dispatch_ptr 0
		.amdhsa_user_sgpr_queue_ptr 0
		.amdhsa_user_sgpr_kernarg_segment_ptr 1
		.amdhsa_user_sgpr_dispatch_id 0
		.amdhsa_user_sgpr_flat_scratch_init 0
		.amdhsa_user_sgpr_kernarg_preload_length 0
		.amdhsa_user_sgpr_kernarg_preload_offset 0
		.amdhsa_user_sgpr_private_segment_size 0
		.amdhsa_uses_dynamic_stack 0
		.amdhsa_system_sgpr_private_segment_wavefront_offset 0
		.amdhsa_system_sgpr_workgroup_id_x 1
		.amdhsa_system_sgpr_workgroup_id_y 0
		.amdhsa_system_sgpr_workgroup_id_z 0
		.amdhsa_system_sgpr_workgroup_info 0
		.amdhsa_system_vgpr_workitem_id 0
		.amdhsa_next_free_vgpr 1
		.amdhsa_next_free_sgpr 0
		.amdhsa_accum_offset 4
		.amdhsa_reserve_vcc 0
		.amdhsa_reserve_flat_scratch 0
		.amdhsa_float_round_mode_32 0
		.amdhsa_float_round_mode_16_64 0
		.amdhsa_float_denorm_mode_32 3
		.amdhsa_float_denorm_mode_16_64 3
		.amdhsa_dx10_clamp 1
		.amdhsa_ieee_mode 1
		.amdhsa_fp16_overflow 0
		.amdhsa_tg_split 0
		.amdhsa_exception_fp_ieee_invalid_op 0
		.amdhsa_exception_fp_denorm_src 0
		.amdhsa_exception_fp_ieee_div_zero 0
		.amdhsa_exception_fp_ieee_overflow 0
		.amdhsa_exception_fp_ieee_underflow 0
		.amdhsa_exception_fp_ieee_inexact 0
		.amdhsa_exception_int_div_zero 0
	.end_amdhsa_kernel
	.section	.text._ZN7rocprim6detail20lookback_scan_kernelILNS0_25lookback_scan_determinismE0ELb1ENS0_19wrapped_scan_configINS_14default_configEsEEN6hipcub22TransformInputIteratorIsNS6_6CastOpIsEEPslEEPfNS6_3MaxEssNS0_19lookback_scan_stateIsLb1ELb1EEEEEvT2_T3_mT5_T4_T7_jPT6_SM_bb,"axG",@progbits,_ZN7rocprim6detail20lookback_scan_kernelILNS0_25lookback_scan_determinismE0ELb1ENS0_19wrapped_scan_configINS_14default_configEsEEN6hipcub22TransformInputIteratorIsNS6_6CastOpIsEEPslEEPfNS6_3MaxEssNS0_19lookback_scan_stateIsLb1ELb1EEEEEvT2_T3_mT5_T4_T7_jPT6_SM_bb,comdat
.Lfunc_end85:
	.size	_ZN7rocprim6detail20lookback_scan_kernelILNS0_25lookback_scan_determinismE0ELb1ENS0_19wrapped_scan_configINS_14default_configEsEEN6hipcub22TransformInputIteratorIsNS6_6CastOpIsEEPslEEPfNS6_3MaxEssNS0_19lookback_scan_stateIsLb1ELb1EEEEEvT2_T3_mT5_T4_T7_jPT6_SM_bb, .Lfunc_end85-_ZN7rocprim6detail20lookback_scan_kernelILNS0_25lookback_scan_determinismE0ELb1ENS0_19wrapped_scan_configINS_14default_configEsEEN6hipcub22TransformInputIteratorIsNS6_6CastOpIsEEPslEEPfNS6_3MaxEssNS0_19lookback_scan_stateIsLb1ELb1EEEEEvT2_T3_mT5_T4_T7_jPT6_SM_bb
                                        ; -- End function
	.section	.AMDGPU.csdata,"",@progbits
; Kernel info:
; codeLenInByte = 4
; NumSgprs: 4
; NumVgprs: 0
; NumAgprs: 0
; TotalNumVgprs: 0
; ScratchSize: 0
; MemoryBound: 0
; FloatMode: 240
; IeeeMode: 1
; LDSByteSize: 0 bytes/workgroup (compile time only)
; SGPRBlocks: 0
; VGPRBlocks: 0
; NumSGPRsForWavesPerEU: 4
; NumVGPRsForWavesPerEU: 1
; AccumOffset: 4
; Occupancy: 8
; WaveLimiterHint : 0
; COMPUTE_PGM_RSRC2:SCRATCH_EN: 0
; COMPUTE_PGM_RSRC2:USER_SGPR: 6
; COMPUTE_PGM_RSRC2:TRAP_HANDLER: 0
; COMPUTE_PGM_RSRC2:TGID_X_EN: 1
; COMPUTE_PGM_RSRC2:TGID_Y_EN: 0
; COMPUTE_PGM_RSRC2:TGID_Z_EN: 0
; COMPUTE_PGM_RSRC2:TIDIG_COMP_CNT: 0
; COMPUTE_PGM_RSRC3_GFX90A:ACCUM_OFFSET: 0
; COMPUTE_PGM_RSRC3_GFX90A:TG_SPLIT: 0
	.section	.text._ZN7rocprim6detail20lookback_scan_kernelILNS0_25lookback_scan_determinismE0ELb1ENS0_19wrapped_scan_configINS_14default_configEsEEN6hipcub22TransformInputIteratorIsNS6_6CastOpIsEEPslEEPfNS6_3MaxEssNS0_19lookback_scan_stateIsLb0ELb1EEEEEvT2_T3_mT5_T4_T7_jPT6_SM_bb,"axG",@progbits,_ZN7rocprim6detail20lookback_scan_kernelILNS0_25lookback_scan_determinismE0ELb1ENS0_19wrapped_scan_configINS_14default_configEsEEN6hipcub22TransformInputIteratorIsNS6_6CastOpIsEEPslEEPfNS6_3MaxEssNS0_19lookback_scan_stateIsLb0ELb1EEEEEvT2_T3_mT5_T4_T7_jPT6_SM_bb,comdat
	.protected	_ZN7rocprim6detail20lookback_scan_kernelILNS0_25lookback_scan_determinismE0ELb1ENS0_19wrapped_scan_configINS_14default_configEsEEN6hipcub22TransformInputIteratorIsNS6_6CastOpIsEEPslEEPfNS6_3MaxEssNS0_19lookback_scan_stateIsLb0ELb1EEEEEvT2_T3_mT5_T4_T7_jPT6_SM_bb ; -- Begin function _ZN7rocprim6detail20lookback_scan_kernelILNS0_25lookback_scan_determinismE0ELb1ENS0_19wrapped_scan_configINS_14default_configEsEEN6hipcub22TransformInputIteratorIsNS6_6CastOpIsEEPslEEPfNS6_3MaxEssNS0_19lookback_scan_stateIsLb0ELb1EEEEEvT2_T3_mT5_T4_T7_jPT6_SM_bb
	.globl	_ZN7rocprim6detail20lookback_scan_kernelILNS0_25lookback_scan_determinismE0ELb1ENS0_19wrapped_scan_configINS_14default_configEsEEN6hipcub22TransformInputIteratorIsNS6_6CastOpIsEEPslEEPfNS6_3MaxEssNS0_19lookback_scan_stateIsLb0ELb1EEEEEvT2_T3_mT5_T4_T7_jPT6_SM_bb
	.p2align	8
	.type	_ZN7rocprim6detail20lookback_scan_kernelILNS0_25lookback_scan_determinismE0ELb1ENS0_19wrapped_scan_configINS_14default_configEsEEN6hipcub22TransformInputIteratorIsNS6_6CastOpIsEEPslEEPfNS6_3MaxEssNS0_19lookback_scan_stateIsLb0ELb1EEEEEvT2_T3_mT5_T4_T7_jPT6_SM_bb,@function
_ZN7rocprim6detail20lookback_scan_kernelILNS0_25lookback_scan_determinismE0ELb1ENS0_19wrapped_scan_configINS_14default_configEsEEN6hipcub22TransformInputIteratorIsNS6_6CastOpIsEEPslEEPfNS6_3MaxEssNS0_19lookback_scan_stateIsLb0ELb1EEEEEvT2_T3_mT5_T4_T7_jPT6_SM_bb: ; @_ZN7rocprim6detail20lookback_scan_kernelILNS0_25lookback_scan_determinismE0ELb1ENS0_19wrapped_scan_configINS_14default_configEsEEN6hipcub22TransformInputIteratorIsNS6_6CastOpIsEEPslEEPfNS6_3MaxEssNS0_19lookback_scan_stateIsLb0ELb1EEEEEvT2_T3_mT5_T4_T7_jPT6_SM_bb
; %bb.0:
	s_load_dword s0, s[4:5], 0x30
	s_load_dwordx2 s[16:17], s[4:5], 0x0
	s_load_dwordx4 s[12:15], s[4:5], 0x10
	s_mul_i32 s10, s6, 0xa00
	s_mov_b32 s11, 0
	s_waitcnt lgkmcnt(0)
	s_add_i32 s0, s0, -1
	s_mul_i32 s1, s0, 0xa00
	s_sub_u32 s24, s14, s1
	s_subb_u32 s25, s15, 0
	s_cmp_lg_u32 s6, s0
	s_cselect_b64 s[14:15], -1, 0
	s_lshl_b64 s[0:1], s[10:11], 1
	s_add_u32 s2, s16, s0
	s_addc_u32 s3, s17, s1
	s_mov_b64 s[0:1], -1
	s_and_b64 vcc, exec, s[14:15]
	v_lshlrev_b32_e32 v1, 1, v0
	s_cbranch_vccz .LBB86_2
; %bb.1:
	v_mov_b32_e32 v2, s3
	v_add_co_u32_e32 v3, vcc, s2, v1
	v_addc_co_u32_e32 v4, vcc, 0, v2, vcc
	v_add_co_u32_e32 v2, vcc, 0x1000, v3
	v_addc_co_u32_e32 v3, vcc, 0, v4, vcc
	global_load_ushort v5, v1, s[2:3]
	global_load_ushort v6, v1, s[2:3] offset:512
	global_load_ushort v7, v1, s[2:3] offset:1024
	;; [unrolled: 1-line block ×7, first 2 shown]
	global_load_ushort v4, v[2:3], off
	global_load_ushort v13, v[2:3], off offset:512
	s_mov_b64 s[0:1], 0
	s_waitcnt vmcnt(9)
	ds_write_b16 v1, v5
	s_waitcnt vmcnt(8)
	ds_write_b16 v1, v6 offset:512
	s_waitcnt vmcnt(7)
	ds_write_b16 v1, v7 offset:1024
	;; [unrolled: 2-line block ×9, first 2 shown]
	s_waitcnt lgkmcnt(0)
	s_barrier
.LBB86_2:
	s_andn2_b64 vcc, exec, s[0:1]
	v_cmp_gt_u32_e64 s[0:1], s24, v0
	s_cbranch_vccnz .LBB86_24
; %bb.3:
	v_mov_b32_e32 v2, 0
	global_load_ushort v12, v2, s[2:3]
	v_mov_b32_e32 v7, s3
	v_add_co_u32_e32 v10, vcc, s2, v1
	v_addc_co_u32_e32 v11, vcc, 0, v7, vcc
	s_waitcnt vmcnt(0)
	v_and_b32_e32 v2, 0xffff, v12
	v_lshl_or_b32 v2, v12, 16, v2
	v_mov_b32_e32 v3, v2
	v_mov_b32_e32 v4, v2
	;; [unrolled: 1-line block ×4, first 2 shown]
	s_and_saveexec_b64 s[2:3], s[0:1]
	s_cbranch_execz .LBB86_5
; %bb.4:
	global_load_ushort v12, v[10:11], off
	s_mov_b32 s0, 0xffff
	v_mov_b32_e32 v5, v2
	v_mov_b32_e32 v6, v2
	;; [unrolled: 1-line block ×4, first 2 shown]
	s_waitcnt vmcnt(0)
	v_bfi_b32 v4, s0, v12, v2
	v_pk_mov_b32 v[2:3], v[4:5], v[4:5] op_sel:[0,1]
	v_pk_mov_b32 v[4:5], v[6:7], v[6:7] op_sel:[0,1]
	;; [unrolled: 1-line block ×4, first 2 shown]
.LBB86_5:
	s_or_b64 exec, exec, s[2:3]
	v_or_b32_e32 v7, 0x100, v0
	v_cmp_gt_u32_e32 vcc, s24, v7
	s_and_saveexec_b64 s[0:1], vcc
	s_cbranch_execz .LBB86_7
; %bb.6:
	global_load_ushort v7, v[10:11], off offset:512
	s_mov_b32 s2, 0x5040100
	s_waitcnt vmcnt(0)
	v_perm_b32 v2, v7, v2, s2
.LBB86_7:
	s_or_b64 exec, exec, s[0:1]
	v_or_b32_e32 v7, 0x200, v0
	v_cmp_gt_u32_e32 vcc, s24, v7
	s_and_saveexec_b64 s[0:1], vcc
	s_cbranch_execz .LBB86_9
; %bb.8:
	global_load_ushort v7, v[10:11], off offset:1024
	s_mov_b32 s2, 0xffff
	s_waitcnt vmcnt(0)
	v_bfi_b32 v3, s2, v7, v3
.LBB86_9:
	s_or_b64 exec, exec, s[0:1]
	v_or_b32_e32 v7, 0x300, v0
	v_cmp_gt_u32_e32 vcc, s24, v7
	s_and_saveexec_b64 s[0:1], vcc
	s_cbranch_execz .LBB86_11
; %bb.10:
	global_load_ushort v7, v[10:11], off offset:1536
	s_mov_b32 s2, 0x5040100
	s_waitcnt vmcnt(0)
	v_perm_b32 v3, v7, v3, s2
.LBB86_11:
	s_or_b64 exec, exec, s[0:1]
	v_or_b32_e32 v7, 0x400, v0
	v_cmp_gt_u32_e32 vcc, s24, v7
	s_and_saveexec_b64 s[0:1], vcc
	s_cbranch_execz .LBB86_13
; %bb.12:
	global_load_ushort v7, v[10:11], off offset:2048
	s_mov_b32 s2, 0xffff
	s_waitcnt vmcnt(0)
	v_bfi_b32 v4, s2, v7, v4
.LBB86_13:
	;; [unrolled: 22-line block ×3, first 2 shown]
	s_or_b64 exec, exec, s[0:1]
	v_or_b32_e32 v7, 0x700, v0
	v_cmp_gt_u32_e32 vcc, s24, v7
	s_and_saveexec_b64 s[0:1], vcc
	s_cbranch_execz .LBB86_19
; %bb.18:
	global_load_ushort v7, v[10:11], off offset:3584
	s_mov_b32 s2, 0x5040100
	s_waitcnt vmcnt(0)
	v_perm_b32 v5, v7, v5, s2
.LBB86_19:
	s_or_b64 exec, exec, s[0:1]
	v_or_b32_e32 v7, 0x800, v0
	v_cmp_gt_u32_e32 vcc, s24, v7
	s_and_saveexec_b64 s[0:1], vcc
	s_cbranch_execz .LBB86_21
; %bb.20:
	v_add_co_u32_e32 v8, vcc, 0x1000, v10
	v_addc_co_u32_e32 v9, vcc, 0, v11, vcc
	global_load_ushort v7, v[8:9], off
	s_mov_b32 s2, 0xffff
	s_waitcnt vmcnt(0)
	v_bfi_b32 v6, s2, v7, v6
.LBB86_21:
	s_or_b64 exec, exec, s[0:1]
	v_or_b32_e32 v7, 0x900, v0
	v_cmp_gt_u32_e32 vcc, s24, v7
	s_and_saveexec_b64 s[0:1], vcc
	s_cbranch_execz .LBB86_23
; %bb.22:
	v_add_co_u32_e32 v8, vcc, 0x1000, v10
	v_addc_co_u32_e32 v9, vcc, 0, v11, vcc
	global_load_ushort v7, v[8:9], off offset:512
	s_mov_b32 s2, 0x5040100
	s_waitcnt vmcnt(0)
	v_perm_b32 v6, v7, v6, s2
.LBB86_23:
	s_or_b64 exec, exec, s[0:1]
	ds_write_b16 v1, v12
	ds_write_b16_d16_hi v1, v2 offset:512
	ds_write_b16 v1, v3 offset:1024
	ds_write_b16_d16_hi v1, v3 offset:1536
	ds_write_b16 v1, v4 offset:2048
	;; [unrolled: 2-line block ×4, first 2 shown]
	ds_write_b16_d16_hi v1, v6 offset:4608
	s_waitcnt lgkmcnt(0)
	s_barrier
.LBB86_24:
	v_mul_u32_u24_e32 v12, 10, v0
	v_lshlrev_b32_e32 v13, 1, v12
	ds_read2_b32 v[4:5], v13 offset1:1
	ds_read2_b32 v[2:3], v13 offset0:2 offset1:3
	ds_read_b32 v14, v13 offset:16
	s_load_dwordx2 s[18:19], s[4:5], 0x28
	s_cmp_lg_u32 s6, 0
	s_waitcnt lgkmcnt(0)
	v_lshrrev_b32_e32 v17, 16, v5
	v_max_i16_sdwa v6, v4, v4 dst_sel:DWORD dst_unused:UNUSED_PAD src0_sel:DWORD src1_sel:WORD_1
	v_lshrrev_b32_e32 v16, 16, v2
	v_lshrrev_b32_e32 v15, 16, v3
	;; [unrolled: 1-line block ×3, first 2 shown]
	v_max3_i16 v20, v6, v5, v17
	v_lshrrev_b32_e32 v19, 5, v0
	v_cmp_gt_u32_e32 vcc, 64, v0
	s_barrier
	s_cbranch_scc0 .LBB86_49
; %bb.25:
	v_max3_i16 v6, v20, v2, v16
	v_max3_i16 v6, v6, v3, v15
	;; [unrolled: 1-line block ×3, first 2 shown]
	v_add_lshl_u32 v6, v19, v0, 1
	ds_write_b16 v6, v21
	s_waitcnt lgkmcnt(0)
	s_barrier
	s_and_saveexec_b64 s[2:3], vcc
	s_cbranch_execz .LBB86_27
; %bb.26:
	v_lshlrev_b32_e32 v6, 2, v0
	v_lshrrev_b32_e32 v7, 3, v0
	v_add_lshl_u32 v8, v7, v6, 1
	ds_read_b64 v[6:7], v8
	v_mbcnt_lo_u32_b32 v9, -1, 0
	v_mbcnt_hi_u32_b32 v9, -1, v9
	v_and_b32_e32 v22, 15, v9
	v_cmp_eq_u32_e64 s[0:1], 0, v22
	s_waitcnt lgkmcnt(0)
	v_lshrrev_b32_e32 v10, 16, v7
	v_max_i16_sdwa v11, v6, v6 dst_sel:DWORD dst_unused:UNUSED_PAD src0_sel:DWORD src1_sel:WORD_1
	v_max3_i16 v11, v11, v7, v10
	v_and_b32_e32 v23, 0xffff, v11
	s_nop 1
	v_mov_b32_dpp v23, v23 row_shr:1 row_mask:0xf bank_mask:0xf
	v_max_i16_e32 v23, v23, v11
	v_cndmask_b32_e64 v11, v23, v11, s[0:1]
	v_and_b32_e32 v23, 0xffff, v11
	v_cmp_lt_u32_e64 s[0:1], 1, v22
	s_nop 0
	v_mov_b32_dpp v23, v23 row_shr:2 row_mask:0xf bank_mask:0xf
	v_max_i16_e32 v23, v23, v11
	v_cndmask_b32_e64 v11, v11, v23, s[0:1]
	v_and_b32_e32 v23, 0xffff, v11
	v_cmp_lt_u32_e64 s[0:1], 3, v22
	;; [unrolled: 6-line block ×3, first 2 shown]
	s_nop 0
	v_mov_b32_dpp v23, v23 row_shr:8 row_mask:0xf bank_mask:0xf
	v_max_i16_e32 v23, v23, v11
	v_cndmask_b32_e64 v11, v11, v23, s[0:1]
	v_and_b32_e32 v22, 0xffff, v11
	v_and_b32_e32 v23, 16, v9
	v_cmp_eq_u32_e64 s[0:1], 0, v23
	v_mov_b32_dpp v22, v22 row_bcast:15 row_mask:0xf bank_mask:0xf
	v_max_i16_e32 v22, v22, v11
	v_cndmask_b32_e64 v11, v22, v11, s[0:1]
	v_and_b32_e32 v22, 0xffff, v11
	v_cmp_lt_u32_e64 s[0:1], 31, v9
	v_and_b32_e32 v23, 64, v9
	v_mov_b32_dpp v22, v22 row_bcast:31 row_mask:0xf bank_mask:0xf
	v_max_i16_e32 v22, v22, v11
	v_cndmask_b32_e64 v11, v11, v22, s[0:1]
	v_add_u32_e32 v22, -1, v9
	v_cmp_lt_i32_e64 s[0:1], v22, v23
	v_cndmask_b32_e64 v9, v22, v9, s[0:1]
	v_and_b32_e32 v11, 0xffff, v11
	v_lshlrev_b32_e32 v9, 2, v9
	ds_bpermute_b32 v9, v9, v11
	v_cmp_eq_u32_e64 s[0:1], 0, v0
	s_waitcnt lgkmcnt(0)
	v_max_i16_e32 v9, v9, v6
	v_cndmask_b32_e64 v9, v9, v21, s[0:1]
	v_max_i16_sdwa v6, v9, v6 dst_sel:DWORD dst_unused:UNUSED_PAD src0_sel:DWORD src1_sel:WORD_1
	v_max_i16_e32 v7, v6, v7
	v_max_i16_e32 v10, v7, v10
	s_mov_b32 s0, 0x5040100
	v_perm_b32 v6, v6, v9, s0
	v_perm_b32 v7, v10, v7, s0
	ds_write_b64 v8, v[6:7]
.LBB86_27:
	s_or_b64 exec, exec, s[2:3]
	v_cmp_eq_u32_e64 s[0:1], 0, v0
	v_cmp_ne_u32_e64 s[2:3], 0, v0
	s_waitcnt lgkmcnt(0)
	s_barrier
	s_and_saveexec_b64 s[8:9], s[2:3]
	s_cbranch_execz .LBB86_29
; %bb.28:
	v_add_u32_e32 v6, -1, v0
	v_lshrrev_b32_e32 v7, 5, v6
	v_add_lshl_u32 v6, v7, v6, 1
	ds_read_u16 v21, v6
.LBB86_29:
	s_or_b64 exec, exec, s[8:9]
	s_and_saveexec_b64 s[20:21], vcc
	s_cbranch_execz .LBB86_48
; %bb.30:
	v_mov_b32_e32 v9, 0
	ds_read_u16 v22, v9 offset:524
	v_mbcnt_lo_u32_b32 v6, -1, 0
	v_mbcnt_hi_u32_b32 v7, -1, v6
	s_mov_b32 s23, 0
	v_cmp_eq_u32_e64 s[2:3], 0, v7
	s_and_saveexec_b64 s[8:9], s[2:3]
	s_cbranch_execz .LBB86_32
; %bb.31:
	s_add_i32 s22, s6, 64
	s_lshl_b64 s[22:23], s[22:23], 2
	s_add_u32 s22, s18, s22
	s_addc_u32 s23, s19, s23
	s_waitcnt lgkmcnt(0)
	v_or_b32_e32 v6, 0x10000, v22
	global_store_dword v9, v6, s[22:23]
.LBB86_32:
	s_or_b64 exec, exec, s[8:9]
	v_xad_u32 v6, v7, -1, s6
	v_add_u32_e32 v8, 64, v6
	v_lshlrev_b64 v[10:11], 2, v[8:9]
	v_mov_b32_e32 v8, s19
	v_add_co_u32_e32 v10, vcc, s18, v10
	v_addc_co_u32_e32 v11, vcc, v8, v11, vcc
	global_load_dword v28, v[10:11], off glc
	s_waitcnt vmcnt(0)
	v_lshrrev_b32_e32 v24, 16, v28
	v_cmp_eq_u16_sdwa s[22:23], v24, v9 src0_sel:BYTE_0 src1_sel:DWORD
	s_and_saveexec_b64 s[8:9], s[22:23]
	s_cbranch_execz .LBB86_36
; %bb.33:
	s_mov_b64 s[22:23], 0
	v_mov_b32_e32 v8, 0
.LBB86_34:                              ; =>This Inner Loop Header: Depth=1
	global_load_dword v28, v[10:11], off glc
	s_waitcnt vmcnt(0)
	v_lshrrev_b32_e32 v24, 16, v28
	v_cmp_ne_u16_sdwa s[26:27], v24, v8 src0_sel:BYTE_0 src1_sel:DWORD
	s_or_b64 s[22:23], s[26:27], s[22:23]
	s_andn2_b64 exec, exec, s[22:23]
	s_cbranch_execnz .LBB86_34
; %bb.35:
	s_or_b64 exec, exec, s[22:23]
.LBB86_36:
	s_or_b64 exec, exec, s[8:9]
	v_and_b32_e32 v35, 63, v7
	v_cmp_ne_u32_e32 vcc, 63, v35
	v_mov_b32_e32 v23, 2
	v_addc_co_u32_e32 v25, vcc, 0, v7, vcc
	v_cmp_eq_u16_sdwa s[8:9], v24, v23 src0_sel:BYTE_0 src1_sel:DWORD
	v_lshlrev_b64 v[8:9], v7, -1
	v_and_b32_e32 v27, 0xffff, v28
	v_lshlrev_b32_e32 v25, 2, v25
	v_and_b32_e32 v10, s9, v9
	ds_bpermute_b32 v29, v25, v27
	v_or_b32_e32 v10, 0x80000000, v10
	v_and_b32_e32 v11, s8, v8
	v_ffbl_b32_e32 v10, v10
	v_add_u32_e32 v10, 32, v10
	v_ffbl_b32_e32 v11, v11
	v_min_u32_e32 v10, v11, v10
	v_add_u32_e32 v26, 1, v7
	s_waitcnt lgkmcnt(0)
	v_max_i16_e32 v11, v29, v28
	v_cmp_gt_u32_e32 vcc, v26, v10
	v_cmp_gt_u32_e64 s[8:9], 62, v35
	v_cndmask_b32_e32 v29, v11, v27, vcc
	v_cndmask_b32_e64 v27, 0, 1, s[8:9]
	v_lshlrev_b32_e32 v27, 1, v27
	v_add_lshl_u32 v27, v27, v7, 2
	ds_bpermute_b32 v30, v27, v29
	v_cndmask_b32_e32 v11, v11, v28, vcc
	v_add_u32_e32 v28, 2, v7
	v_cmp_gt_u32_e32 vcc, v28, v10
	v_cmp_gt_u32_e64 s[8:9], 60, v35
	s_waitcnt lgkmcnt(0)
	v_max_i16_e32 v30, v30, v11
	v_cndmask_b32_e32 v31, v30, v29, vcc
	v_cndmask_b32_e64 v29, 0, 1, s[8:9]
	v_lshlrev_b32_e32 v29, 2, v29
	v_add_lshl_u32 v29, v29, v7, 2
	ds_bpermute_b32 v32, v29, v31
	v_cndmask_b32_e32 v11, v30, v11, vcc
	v_add_u32_e32 v30, 4, v7
	v_cmp_gt_u32_e32 vcc, v30, v10
	v_cmp_gt_u32_e64 s[8:9], 56, v35
	s_waitcnt lgkmcnt(0)
	v_max_i16_e32 v32, v32, v11
	;; [unrolled: 11-line block ×3, first 2 shown]
	v_cndmask_b32_e32 v36, v34, v33, vcc
	v_cndmask_b32_e64 v33, 0, 1, s[8:9]
	v_lshlrev_b32_e32 v33, 4, v33
	v_add_lshl_u32 v33, v33, v7, 2
	ds_bpermute_b32 v37, v33, v36
	v_cmp_gt_u32_e64 s[8:9], 32, v35
	v_cndmask_b32_e32 v11, v34, v11, vcc
	v_add_u32_e32 v34, 16, v7
	v_cndmask_b32_e64 v35, 0, 1, s[8:9]
	s_waitcnt lgkmcnt(0)
	v_max_i16_e32 v38, v37, v11
	v_cmp_gt_u32_e32 vcc, v34, v10
	v_lshlrev_b32_e32 v35, 5, v35
	v_cndmask_b32_e32 v37, v38, v36, vcc
	v_add_lshl_u32 v36, v35, v7, 2
	ds_bpermute_b32 v35, v36, v37
	v_add_u32_e32 v37, 32, v7
	v_cndmask_b32_e32 v7, v38, v11, vcc
	v_cmp_gt_u32_e32 vcc, v37, v10
	s_waitcnt lgkmcnt(0)
	v_max_i16_e32 v11, v35, v7
	v_cndmask_b32_e32 v10, v11, v7, vcc
	v_mov_b32_e32 v7, 0
	s_branch .LBB86_38
.LBB86_37:                              ;   in Loop: Header=BB86_38 Depth=1
	s_or_b64 exec, exec, s[8:9]
	v_cmp_eq_u16_sdwa s[8:9], v24, v23 src0_sel:BYTE_0 src1_sel:DWORD
	v_and_b32_e32 v39, 0xffff, v38
	v_and_b32_e32 v10, s9, v9
	ds_bpermute_b32 v40, v25, v39
	v_or_b32_e32 v10, 0x80000000, v10
	v_and_b32_e32 v11, s8, v8
	v_ffbl_b32_e32 v10, v10
	v_add_u32_e32 v10, 32, v10
	v_ffbl_b32_e32 v11, v11
	v_min_u32_e32 v10, v11, v10
	s_waitcnt lgkmcnt(0)
	v_max_i16_e32 v11, v40, v38
	v_cmp_gt_u32_e32 vcc, v26, v10
	v_cndmask_b32_e32 v39, v11, v39, vcc
	ds_bpermute_b32 v40, v27, v39
	v_cndmask_b32_e32 v11, v11, v38, vcc
	v_cmp_gt_u32_e32 vcc, v28, v10
	v_subrev_u32_e32 v6, 64, v6
	s_waitcnt lgkmcnt(0)
	v_max_i16_e32 v38, v40, v11
	v_cndmask_b32_e32 v39, v38, v39, vcc
	ds_bpermute_b32 v40, v29, v39
	v_cndmask_b32_e32 v11, v38, v11, vcc
	v_cmp_gt_u32_e32 vcc, v30, v10
	s_waitcnt lgkmcnt(0)
	v_max_i16_e32 v38, v40, v11
	v_cndmask_b32_e32 v39, v38, v39, vcc
	ds_bpermute_b32 v40, v31, v39
	v_cndmask_b32_e32 v11, v38, v11, vcc
	v_cmp_gt_u32_e32 vcc, v32, v10
	;; [unrolled: 6-line block ×4, first 2 shown]
	s_waitcnt lgkmcnt(0)
	v_max_i16_e32 v38, v39, v11
	v_cndmask_b32_e32 v10, v38, v11, vcc
	v_max_i16_e32 v10, v10, v35
.LBB86_38:                              ; =>This Loop Header: Depth=1
                                        ;     Child Loop BB86_41 Depth 2
	v_cmp_ne_u16_sdwa s[8:9], v24, v23 src0_sel:BYTE_0 src1_sel:DWORD
	v_cndmask_b32_e64 v11, 0, 1, s[8:9]
	;;#ASMSTART
	;;#ASMEND
	v_cmp_ne_u32_e32 vcc, 0, v11
	s_cmp_lg_u64 vcc, exec
	v_mov_b32_e32 v35, v10
	s_cbranch_scc1 .LBB86_43
; %bb.39:                               ;   in Loop: Header=BB86_38 Depth=1
	v_lshlrev_b64 v[10:11], 2, v[6:7]
	v_mov_b32_e32 v24, s19
	v_add_co_u32_e32 v10, vcc, s18, v10
	v_addc_co_u32_e32 v11, vcc, v24, v11, vcc
	global_load_dword v38, v[10:11], off glc
	s_waitcnt vmcnt(0)
	v_lshrrev_b32_e32 v24, 16, v38
	v_cmp_eq_u16_sdwa s[22:23], v24, v7 src0_sel:BYTE_0 src1_sel:DWORD
	s_and_saveexec_b64 s[8:9], s[22:23]
	s_cbranch_execz .LBB86_37
; %bb.40:                               ;   in Loop: Header=BB86_38 Depth=1
	s_mov_b64 s[22:23], 0
.LBB86_41:                              ;   Parent Loop BB86_38 Depth=1
                                        ; =>  This Inner Loop Header: Depth=2
	global_load_dword v38, v[10:11], off glc
	s_waitcnt vmcnt(0)
	v_lshrrev_b32_e32 v24, 16, v38
	v_cmp_ne_u16_sdwa s[26:27], v24, v7 src0_sel:BYTE_0 src1_sel:DWORD
	s_or_b64 s[22:23], s[26:27], s[22:23]
	s_andn2_b64 exec, exec, s[22:23]
	s_cbranch_execnz .LBB86_41
; %bb.42:                               ;   in Loop: Header=BB86_38 Depth=1
	s_or_b64 exec, exec, s[22:23]
	s_branch .LBB86_37
.LBB86_43:                              ;   in Loop: Header=BB86_38 Depth=1
                                        ; implicit-def: $vgpr10
                                        ; implicit-def: $vgpr24
	s_cbranch_execz .LBB86_38
; %bb.44:
	s_and_saveexec_b64 s[8:9], s[2:3]
	s_cbranch_execz .LBB86_46
; %bb.45:
	s_add_i32 s2, s6, 64
	s_mov_b32 s3, 0
	s_lshl_b64 s[2:3], s[2:3], 2
	s_add_u32 s2, s18, s2
	v_max_i16_e32 v7, v35, v22
	s_addc_u32 s3, s19, s3
	v_mov_b32_e32 v6, 0
	v_or_b32_e32 v7, 0x20000, v7
	global_store_dword v6, v7, s[2:3]
.LBB86_46:
	s_or_b64 exec, exec, s[8:9]
	s_and_b64 exec, exec, s[0:1]
	s_cbranch_execz .LBB86_48
; %bb.47:
	v_mov_b32_e32 v6, 0
	ds_write_b16 v6, v35
.LBB86_48:
	s_or_b64 exec, exec, s[20:21]
	v_mov_b32_e32 v6, 0
	s_waitcnt lgkmcnt(0)
	s_barrier
	ds_read_u16 v6, v6
	s_mov_b32 s2, 0x5040100
	s_waitcnt lgkmcnt(0)
	v_max_i16_e32 v7, v6, v21
	v_cndmask_b32_e64 v6, v7, v6, s[0:1]
	v_max_i16_e32 v7, v6, v4
	v_max_i16_sdwa v8, v7, v4 dst_sel:DWORD dst_unused:UNUSED_PAD src0_sel:DWORD src1_sel:WORD_1
	v_max_i16_e32 v9, v8, v5
	v_max_i16_e32 v10, v9, v17
	;; [unrolled: 1-line block ×7, first 2 shown]
	v_perm_b32 v6, v7, v6, s2
	v_perm_b32 v8, v9, v8, s2
	;; [unrolled: 1-line block ×5, first 2 shown]
	s_load_dwordx4 s[0:3], s[4:5], 0x38
	s_branch .LBB86_59
.LBB86_49:
                                        ; implicit-def: $vgpr9
                                        ; implicit-def: $vgpr10
                                        ; implicit-def: $vgpr7
                                        ; implicit-def: $vgpr8
                                        ; implicit-def: $vgpr6
	s_load_dwordx4 s[0:3], s[4:5], 0x38
	s_cbranch_execz .LBB86_59
; %bb.50:
	s_load_dword s6, s[4:5], 0x48
	s_load_dword s7, s[4:5], 0x20
	s_waitcnt lgkmcnt(0)
	s_bitcmp0_b32 s6, 0
	v_mov_b32_e32 v6, s7
	s_cbranch_scc1 .LBB86_52
; %bb.51:
	v_mov_b32_e32 v6, 0
	global_load_ushort v7, v6, s[16:17] offset:-2
	global_load_ushort v8, v6, s[0:1]
	s_waitcnt vmcnt(0)
	v_max_i16_e32 v6, v8, v7
.LBB86_52:
	v_max3_i16 v7, v20, v2, v16
	v_max3_i16 v7, v7, v3, v15
	;; [unrolled: 1-line block ×3, first 2 shown]
	v_add_lshl_u32 v8, v19, v0, 1
	v_cmp_gt_u32_e32 vcc, 64, v0
	ds_write_b16 v8, v7
	s_waitcnt lgkmcnt(0)
	s_barrier
	s_and_saveexec_b64 s[0:1], vcc
	s_cbranch_execz .LBB86_54
; %bb.53:
	v_lshlrev_b32_e32 v8, 2, v0
	v_lshrrev_b32_e32 v9, 3, v0
	v_add_lshl_u32 v10, v9, v8, 1
	ds_read_b64 v[8:9], v10
	v_mbcnt_lo_u32_b32 v11, -1, 0
	v_mbcnt_hi_u32_b32 v11, -1, v11
	v_and_b32_e32 v20, 15, v11
	v_cmp_eq_u32_e32 vcc, 0, v20
	s_waitcnt lgkmcnt(0)
	v_lshrrev_b32_e32 v18, 16, v9
	v_max_i16_sdwa v19, v8, v8 dst_sel:DWORD dst_unused:UNUSED_PAD src0_sel:DWORD src1_sel:WORD_1
	v_max3_i16 v19, v19, v9, v18
	v_and_b32_e32 v21, 0xffff, v19
	s_mov_b32 s6, 0x5040100
	s_nop 0
	v_mov_b32_dpp v21, v21 row_shr:1 row_mask:0xf bank_mask:0xf
	v_max_i16_e32 v21, v21, v19
	v_cndmask_b32_e32 v19, v21, v19, vcc
	v_and_b32_e32 v21, 0xffff, v19
	v_cmp_lt_u32_e32 vcc, 1, v20
	s_nop 0
	v_mov_b32_dpp v21, v21 row_shr:2 row_mask:0xf bank_mask:0xf
	v_max_i16_e32 v21, v21, v19
	v_cndmask_b32_e32 v19, v19, v21, vcc
	v_and_b32_e32 v21, 0xffff, v19
	v_cmp_lt_u32_e32 vcc, 3, v20
	s_nop 0
	v_mov_b32_dpp v21, v21 row_shr:4 row_mask:0xf bank_mask:0xf
	v_max_i16_e32 v21, v21, v19
	v_cndmask_b32_e32 v19, v19, v21, vcc
	v_and_b32_e32 v21, 0xffff, v19
	v_cmp_lt_u32_e32 vcc, 7, v20
	s_nop 0
	v_mov_b32_dpp v21, v21 row_shr:8 row_mask:0xf bank_mask:0xf
	v_max_i16_e32 v21, v21, v19
	v_cndmask_b32_e32 v19, v19, v21, vcc
	v_and_b32_e32 v20, 0xffff, v19
	v_and_b32_e32 v21, 16, v11
	v_cmp_eq_u32_e32 vcc, 0, v21
	v_mov_b32_dpp v20, v20 row_bcast:15 row_mask:0xf bank_mask:0xf
	v_max_i16_e32 v20, v20, v19
	v_cndmask_b32_e32 v19, v20, v19, vcc
	v_and_b32_e32 v20, 0xffff, v19
	v_cmp_lt_u32_e32 vcc, 31, v11
	v_and_b32_e32 v21, 64, v11
	v_mov_b32_dpp v20, v20 row_bcast:31 row_mask:0xf bank_mask:0xf
	v_max_i16_e32 v20, v20, v19
	v_cndmask_b32_e32 v19, v19, v20, vcc
	v_add_u32_e32 v20, -1, v11
	v_cmp_lt_i32_e32 vcc, v20, v21
	v_cndmask_b32_e32 v11, v20, v11, vcc
	v_and_b32_e32 v19, 0xffff, v19
	v_lshlrev_b32_e32 v11, 2, v11
	ds_bpermute_b32 v11, v11, v19
	v_cmp_eq_u32_e32 vcc, 0, v0
	s_waitcnt lgkmcnt(0)
	v_max_i16_e32 v11, v11, v8
	v_cndmask_b32_e32 v7, v11, v7, vcc
	v_max_i16_sdwa v8, v7, v8 dst_sel:DWORD dst_unused:UNUSED_PAD src0_sel:DWORD src1_sel:WORD_1
	v_max_i16_e32 v9, v8, v9
	v_max_i16_e32 v11, v9, v18
	v_perm_b32 v8, v8, v7, s6
	v_perm_b32 v9, v11, v9, s6
	ds_write_b64 v10, v[8:9]
.LBB86_54:
	s_or_b64 exec, exec, s[0:1]
	v_cmp_eq_u32_e32 vcc, 0, v0
	v_cmp_ne_u32_e64 s[0:1], 0, v0
	v_mov_b32_e32 v7, v6
	s_waitcnt lgkmcnt(0)
	s_barrier
	s_and_saveexec_b64 s[6:7], s[0:1]
	s_cbranch_execz .LBB86_56
; %bb.55:
	v_add_u32_e32 v7, -1, v0
	v_lshrrev_b32_e32 v8, 5, v7
	v_add_lshl_u32 v7, v8, v7, 1
	ds_read_u16 v7, v7
	s_waitcnt lgkmcnt(0)
	v_max_i16_e32 v7, v6, v7
.LBB86_56:
	s_or_b64 exec, exec, s[6:7]
	v_max_i16_e32 v8, v7, v4
	v_max_i16_sdwa v4, v8, v4 dst_sel:DWORD dst_unused:UNUSED_PAD src0_sel:DWORD src1_sel:WORD_1
	v_max_i16_e32 v5, v4, v5
	v_max_i16_e32 v9, v5, v17
	;; [unrolled: 1-line block ×7, first 2 shown]
	s_mov_b32 s6, 0x5040100
	s_and_saveexec_b64 s[0:1], vcc
	s_cbranch_execz .LBB86_58
; %bb.57:
	v_mov_b32_e32 v15, 0
	ds_read_u16 v16, v15 offset:524
	s_waitcnt lgkmcnt(0)
	v_max_i16_e32 v6, v6, v16
	v_or_b32_e32 v6, 0x20000, v6
	global_store_dword v15, v6, s[18:19] offset:256
.LBB86_58:
	s_or_b64 exec, exec, s[0:1]
	v_perm_b32 v6, v8, v7, s6
	v_perm_b32 v8, v5, v4, s6
	;; [unrolled: 1-line block ×5, first 2 shown]
.LBB86_59:
	s_waitcnt lgkmcnt(0)
	s_lshl_b64 s[0:1], s[10:11], 2
	s_add_u32 s0, s12, s0
	s_addc_u32 s1, s13, s1
	s_mov_b64 s[6:7], -1
	s_and_b64 vcc, exec, s[14:15]
	v_lshlrev_b32_e32 v2, 2, v0
	s_barrier
	s_cbranch_vccz .LBB86_61
; %bb.60:
	ds_write2_b32 v13, v6, v8 offset1:1
	ds_write2_b32 v13, v7, v10 offset0:2 offset1:3
	ds_write_b32 v13, v9 offset:16
	s_waitcnt lgkmcnt(0)
	s_barrier
	ds_read_i16 v3, v1
	ds_read_i16 v4, v1 offset:512
	ds_read_i16 v5, v1 offset:1024
	;; [unrolled: 1-line block ×9, first 2 shown]
	s_waitcnt lgkmcnt(9)
	v_cvt_f32_i32_e32 v3, v3
	s_waitcnt lgkmcnt(8)
	v_cvt_f32_i32_e32 v4, v4
	;; [unrolled: 2-line block ×4, first 2 shown]
	v_mov_b32_e32 v19, s1
	v_add_co_u32_e32 v20, vcc, s0, v2
	global_store_dword v2, v3, s[0:1]
	global_store_dword v2, v4, s[0:1] offset:1024
	global_store_dword v2, v5, s[0:1] offset:2048
	;; [unrolled: 1-line block ×3, first 2 shown]
	s_waitcnt lgkmcnt(5)
	v_cvt_f32_i32_e32 v3, v14
	v_addc_co_u32_e32 v19, vcc, 0, v19, vcc
	s_movk_i32 s6, 0x1000
	s_waitcnt lgkmcnt(4)
	v_cvt_f32_i32_e32 v11, v15
	v_add_co_u32_e32 v4, vcc, s6, v20
	s_waitcnt lgkmcnt(3)
	v_cvt_f32_i32_e32 v14, v16
	v_addc_co_u32_e32 v5, vcc, 0, v19, vcc
	s_waitcnt lgkmcnt(2)
	v_cvt_f32_i32_e32 v15, v17
	global_store_dword v[4:5], v3, off
	global_store_dword v[4:5], v11, off offset:1024
	global_store_dword v[4:5], v14, off offset:2048
	global_store_dword v[4:5], v15, off offset:3072
	s_waitcnt lgkmcnt(1)
	v_cvt_f32_i32_e32 v3, v18
	s_waitcnt lgkmcnt(0)
	v_cvt_f32_i32_e32 v1, v1
	v_add_co_u32_e32 v4, vcc, 0x2000, v20
	v_addc_co_u32_e32 v5, vcc, 0, v19, vcc
	global_store_dword v[4:5], v3, off
	global_store_dword v[4:5], v1, off offset:1024
	s_mov_b64 s[6:7], 0
.LBB86_61:
	s_andn2_b64 vcc, exec, s[6:7]
	s_cbranch_vccnz .LBB86_117
; %bb.62:
	s_movk_i32 s6, 0xffee
	v_mad_i32_i24 v3, v0, s6, v13
	ds_write2_b32 v13, v6, v8 offset1:1
	ds_write2_b32 v13, v7, v10 offset0:2 offset1:3
	ds_write_b32 v13, v9 offset:16
	s_waitcnt lgkmcnt(0)
	s_barrier
	ds_read_u16 v5, v3
	ds_read_u16 v4, v3 offset:512
	ds_read_u16 v6, v3 offset:1024
	ds_read_u16 v7, v3 offset:1536
	ds_read_u16 v9, v3 offset:2048
	ds_read_u16 v8, v3 offset:2560
	ds_read_u16 v11, v3 offset:3072
	ds_read_u16 v13, v3 offset:3584
	ds_read_u16 v10, v3 offset:4096
	ds_read_u16 v14, v3 offset:4608
	v_mov_b32_e32 v3, s1
	v_add_co_u32_e32 v2, vcc, s0, v2
	v_addc_co_u32_e32 v3, vcc, 0, v3, vcc
	v_mov_b32_e32 v1, 0
	v_cmp_gt_u32_e32 vcc, s24, v0
	s_and_saveexec_b64 s[0:1], vcc
	s_cbranch_execz .LBB86_64
; %bb.63:
	s_waitcnt lgkmcnt(9)
	v_cvt_f32_i32_sdwa v15, sext(v5) dst_sel:DWORD dst_unused:UNUSED_PAD src0_sel:WORD_0
	global_store_dword v[2:3], v15, off
.LBB86_64:
	s_or_b64 exec, exec, s[0:1]
	v_or_b32_e32 v15, 0x100, v0
	v_cmp_gt_u32_e32 vcc, s24, v15
	s_and_saveexec_b64 s[0:1], vcc
	s_cbranch_execz .LBB86_66
; %bb.65:
	s_waitcnt lgkmcnt(8)
	v_cvt_f32_i32_sdwa v15, sext(v4) dst_sel:DWORD dst_unused:UNUSED_PAD src0_sel:WORD_0
	global_store_dword v[2:3], v15, off offset:1024
.LBB86_66:
	s_or_b64 exec, exec, s[0:1]
	v_or_b32_e32 v15, 0x200, v0
	v_cmp_gt_u32_e32 vcc, s24, v15
	s_and_saveexec_b64 s[0:1], vcc
	s_cbranch_execz .LBB86_68
; %bb.67:
	s_waitcnt lgkmcnt(7)
	v_cvt_f32_i32_sdwa v15, sext(v6) dst_sel:DWORD dst_unused:UNUSED_PAD src0_sel:WORD_0
	global_store_dword v[2:3], v15, off offset:2048
.LBB86_68:
	;; [unrolled: 10-line block ×3, first 2 shown]
	s_or_b64 exec, exec, s[0:1]
	v_or_b32_e32 v15, 0x400, v0
	v_cmp_gt_u32_e32 vcc, s24, v15
	s_and_saveexec_b64 s[0:1], vcc
	s_cbranch_execz .LBB86_72
; %bb.71:
	s_waitcnt lgkmcnt(5)
	v_cvt_f32_i32_sdwa v15, sext(v9) dst_sel:DWORD dst_unused:UNUSED_PAD src0_sel:WORD_0
	v_add_co_u32_e32 v16, vcc, 0x1000, v2
	v_addc_co_u32_e32 v17, vcc, 0, v3, vcc
	global_store_dword v[16:17], v15, off
.LBB86_72:
	s_or_b64 exec, exec, s[0:1]
	v_or_b32_e32 v15, 0x500, v0
	v_cmp_gt_u32_e32 vcc, s24, v15
	s_and_saveexec_b64 s[0:1], vcc
	s_cbranch_execz .LBB86_74
; %bb.73:
	s_waitcnt lgkmcnt(4)
	v_cvt_f32_i32_sdwa v15, sext(v8) dst_sel:DWORD dst_unused:UNUSED_PAD src0_sel:WORD_0
	v_add_co_u32_e32 v16, vcc, 0x1000, v2
	v_addc_co_u32_e32 v17, vcc, 0, v3, vcc
	global_store_dword v[16:17], v15, off offset:1024
.LBB86_74:
	s_or_b64 exec, exec, s[0:1]
	v_or_b32_e32 v15, 0x600, v0
	v_cmp_gt_u32_e32 vcc, s24, v15
	s_and_saveexec_b64 s[0:1], vcc
	s_cbranch_execz .LBB86_76
; %bb.75:
	s_waitcnt lgkmcnt(3)
	v_cvt_f32_i32_sdwa v15, sext(v11) dst_sel:DWORD dst_unused:UNUSED_PAD src0_sel:WORD_0
	v_add_co_u32_e32 v16, vcc, 0x1000, v2
	v_addc_co_u32_e32 v17, vcc, 0, v3, vcc
	global_store_dword v[16:17], v15, off offset:2048
.LBB86_76:
	;; [unrolled: 12-line block ×3, first 2 shown]
	s_or_b64 exec, exec, s[0:1]
	v_or_b32_e32 v15, 0x800, v0
	v_cmp_gt_u32_e32 vcc, s24, v15
	s_and_saveexec_b64 s[0:1], vcc
	s_cbranch_execz .LBB86_80
; %bb.79:
	s_waitcnt lgkmcnt(1)
	v_cvt_f32_i32_sdwa v15, sext(v10) dst_sel:DWORD dst_unused:UNUSED_PAD src0_sel:WORD_0
	v_add_co_u32_e32 v16, vcc, 0x2000, v2
	v_addc_co_u32_e32 v17, vcc, 0, v3, vcc
	global_store_dword v[16:17], v15, off
.LBB86_80:
	s_or_b64 exec, exec, s[0:1]
	v_or_b32_e32 v15, 0x900, v0
	v_cmp_gt_u32_e32 vcc, s24, v15
	s_and_saveexec_b64 s[0:1], vcc
	s_cbranch_execz .LBB86_82
; %bb.81:
	s_waitcnt lgkmcnt(0)
	v_cvt_f32_i32_sdwa v15, sext(v14) dst_sel:DWORD dst_unused:UNUSED_PAD src0_sel:WORD_0
	v_add_co_u32_e32 v2, vcc, 0x2000, v2
	v_addc_co_u32_e32 v3, vcc, 0, v3, vcc
	global_store_dword v[2:3], v15, off offset:1024
.LBB86_82:
	s_or_b64 exec, exec, s[0:1]
	s_load_dword s0, s[4:5], 0x48
	s_waitcnt lgkmcnt(0)
	s_bfe_u32 s0, s0, 0x10008
	s_cmp_eq_u32 s0, 0
	s_cbranch_scc1 .LBB86_117
; %bb.83:
	s_add_u32 s0, s24, -1
	s_addc_u32 s1, s25, -1
	s_add_u32 s4, 0, 0x99986000
	s_addc_u32 s5, 0, 0x59
	s_add_i32 s5, s5, 0x19999940
	s_mul_hi_u32 s9, s4, -10
	s_sub_i32 s9, s9, s4
	s_mul_i32 s10, s5, -10
	s_mul_i32 s6, s4, -10
	s_add_i32 s9, s9, s10
	s_mul_hi_u32 s7, s5, s6
	s_mul_i32 s8, s5, s6
	s_mul_i32 s11, s4, s9
	s_mul_hi_u32 s6, s4, s6
	s_mul_hi_u32 s10, s4, s9
	s_add_u32 s6, s6, s11
	s_addc_u32 s10, 0, s10
	s_add_u32 s6, s6, s8
	s_mul_hi_u32 s11, s5, s9
	s_addc_u32 s6, s10, s7
	s_addc_u32 s7, s11, 0
	s_mul_i32 s8, s5, s9
	s_add_u32 s6, s6, s8
	v_mov_b32_e32 v2, s6
	s_addc_u32 s7, 0, s7
	v_add_co_u32_e32 v2, vcc, s4, v2
	s_cmp_lg_u64 vcc, 0
	s_addc_u32 s4, s5, s7
	v_readfirstlane_b32 s7, v2
	s_mul_i32 s6, s0, s4
	s_mul_hi_u32 s8, s0, s7
	s_mul_hi_u32 s5, s0, s4
	s_add_u32 s6, s8, s6
	s_addc_u32 s5, 0, s5
	s_mul_hi_u32 s9, s1, s7
	s_mul_i32 s7, s1, s7
	s_add_u32 s6, s6, s7
	s_mul_hi_u32 s8, s1, s4
	s_addc_u32 s5, s5, s9
	s_addc_u32 s6, s8, 0
	s_mul_i32 s4, s1, s4
	s_add_u32 s4, s5, s4
	s_addc_u32 s5, 0, s6
	s_add_u32 s6, s4, 1
	s_addc_u32 s7, s5, 0
	s_add_u32 s8, s4, 2
	s_mul_i32 s10, s5, 10
	s_mul_hi_u32 s11, s4, 10
	s_addc_u32 s9, s5, 0
	s_add_i32 s11, s11, s10
	s_mul_i32 s10, s4, 10
	v_mov_b32_e32 v2, s10
	v_sub_co_u32_e32 v2, vcc, s0, v2
	s_cmp_lg_u64 vcc, 0
	s_subb_u32 s10, s1, s11
	v_subrev_co_u32_e32 v3, vcc, 10, v2
	s_cmp_lg_u64 vcc, 0
	s_subb_u32 s11, s10, 0
	v_readfirstlane_b32 s12, v3
	s_cmp_gt_u32 s12, 9
	s_cselect_b32 s12, -1, 0
	s_cmp_eq_u32 s11, 0
	s_cselect_b32 s11, s12, -1
	s_cmp_lg_u32 s11, 0
	s_cselect_b32 s6, s8, s6
	v_readfirstlane_b32 s8, v2
	s_cselect_b32 s7, s9, s7
	s_cmp_gt_u32 s8, 9
	s_cselect_b32 s8, -1, 0
	s_cmp_eq_u32 s10, 0
	s_cselect_b32 s8, s8, -1
	s_cmp_lg_u32 s8, 0
	s_cselect_b32 s5, s7, s5
	s_cselect_b32 s4, s6, s4
	v_cmp_eq_u64_e32 vcc, s[4:5], v[0:1]
	s_and_saveexec_b64 s[4:5], vcc
	s_cbranch_execz .LBB86_117
; %bb.84:
	v_mul_hi_u32_u24_e32 v1, 10, v0
	v_mov_b32_e32 v2, s1
	v_sub_co_u32_e32 v0, vcc, s0, v12
	v_subb_co_u32_e32 v1, vcc, v2, v1, vcc
	v_cmp_lt_i64_e32 vcc, 4, v[0:1]
	s_and_saveexec_b64 s[0:1], vcc
	s_xor_b64 s[0:1], exec, s[0:1]
	s_cbranch_execz .LBB86_102
; %bb.85:
	v_cmp_lt_i64_e32 vcc, 6, v[0:1]
	s_and_saveexec_b64 s[4:5], vcc
	s_xor_b64 s[4:5], exec, s[4:5]
	s_cbranch_execz .LBB86_95
; %bb.86:
	;; [unrolled: 5-line block ×4, first 2 shown]
	v_mov_b32_e32 v0, 0
	global_store_short v0, v14, s[2:3]
                                        ; implicit-def: $vgpr10
.LBB86_89:
	s_andn2_saveexec_b64 s[8:9], s[8:9]
	s_cbranch_execz .LBB86_91
; %bb.90:
	v_mov_b32_e32 v0, 0
	global_store_short v0, v10, s[2:3]
.LBB86_91:
	s_or_b64 exec, exec, s[8:9]
                                        ; implicit-def: $vgpr13
.LBB86_92:
	s_andn2_saveexec_b64 s[6:7], s[6:7]
	s_cbranch_execz .LBB86_94
; %bb.93:
	v_mov_b32_e32 v0, 0
	global_store_short v0, v13, s[2:3]
.LBB86_94:
	s_or_b64 exec, exec, s[6:7]
                                        ; implicit-def: $vgpr8
                                        ; implicit-def: $vgpr0_vgpr1
                                        ; implicit-def: $vgpr11
.LBB86_95:
	s_andn2_saveexec_b64 s[4:5], s[4:5]
	s_cbranch_execz .LBB86_101
; %bb.96:
	v_cmp_lt_i64_e32 vcc, 5, v[0:1]
	s_and_saveexec_b64 s[6:7], vcc
	s_xor_b64 s[6:7], exec, s[6:7]
	s_cbranch_execz .LBB86_98
; %bb.97:
	v_mov_b32_e32 v0, 0
	global_store_short v0, v11, s[2:3]
                                        ; implicit-def: $vgpr8
.LBB86_98:
	s_andn2_saveexec_b64 s[6:7], s[6:7]
	s_cbranch_execz .LBB86_100
; %bb.99:
	v_mov_b32_e32 v0, 0
	global_store_short v0, v8, s[2:3]
.LBB86_100:
	s_or_b64 exec, exec, s[6:7]
.LBB86_101:
	s_or_b64 exec, exec, s[4:5]
                                        ; implicit-def: $vgpr0_vgpr1
                                        ; implicit-def: $vgpr7
                                        ; implicit-def: $vgpr6
                                        ; implicit-def: $vgpr4
                                        ; implicit-def: $vgpr9
                                        ; implicit-def: $vgpr5
.LBB86_102:
	s_andn2_saveexec_b64 s[0:1], s[0:1]
	s_cbranch_execz .LBB86_117
; %bb.103:
	v_cmp_lt_i64_e32 vcc, 2, v[0:1]
	s_and_saveexec_b64 s[0:1], vcc
	s_xor_b64 s[0:1], exec, s[0:1]
	s_cbranch_execz .LBB86_109
; %bb.104:
	v_cmp_lt_i64_e32 vcc, 3, v[0:1]
	s_and_saveexec_b64 s[4:5], vcc
	s_xor_b64 s[4:5], exec, s[4:5]
	s_cbranch_execz .LBB86_106
; %bb.105:
	v_mov_b32_e32 v0, 0
	global_store_short v0, v9, s[2:3]
                                        ; implicit-def: $vgpr7
.LBB86_106:
	s_andn2_saveexec_b64 s[4:5], s[4:5]
	s_cbranch_execz .LBB86_108
; %bb.107:
	v_mov_b32_e32 v0, 0
	global_store_short v0, v7, s[2:3]
.LBB86_108:
	s_or_b64 exec, exec, s[4:5]
                                        ; implicit-def: $vgpr0_vgpr1
                                        ; implicit-def: $vgpr6
                                        ; implicit-def: $vgpr4
                                        ; implicit-def: $vgpr5
.LBB86_109:
	s_andn2_saveexec_b64 s[0:1], s[0:1]
	s_cbranch_execz .LBB86_117
; %bb.110:
	v_cmp_lt_i64_e32 vcc, 1, v[0:1]
	s_and_saveexec_b64 s[0:1], vcc
	s_xor_b64 s[0:1], exec, s[0:1]
	s_cbranch_execz .LBB86_112
; %bb.111:
	v_mov_b32_e32 v0, 0
	global_store_short v0, v6, s[2:3]
                                        ; implicit-def: $vgpr4
                                        ; implicit-def: $vgpr0_vgpr1
                                        ; implicit-def: $vgpr5
.LBB86_112:
	s_andn2_saveexec_b64 s[0:1], s[0:1]
	s_cbranch_execz .LBB86_117
; %bb.113:
	v_cmp_ne_u64_e32 vcc, 1, v[0:1]
	s_and_saveexec_b64 s[0:1], vcc
	s_xor_b64 s[0:1], exec, s[0:1]
	s_cbranch_execz .LBB86_115
; %bb.114:
	v_mov_b32_e32 v0, 0
	global_store_short v0, v5, s[2:3]
                                        ; implicit-def: $vgpr4
.LBB86_115:
	s_andn2_saveexec_b64 s[0:1], s[0:1]
	s_cbranch_execz .LBB86_117
; %bb.116:
	v_mov_b32_e32 v0, 0
	global_store_short v0, v4, s[2:3]
.LBB86_117:
	s_endpgm
	.section	.rodata,"a",@progbits
	.p2align	6, 0x0
	.amdhsa_kernel _ZN7rocprim6detail20lookback_scan_kernelILNS0_25lookback_scan_determinismE0ELb1ENS0_19wrapped_scan_configINS_14default_configEsEEN6hipcub22TransformInputIteratorIsNS6_6CastOpIsEEPslEEPfNS6_3MaxEssNS0_19lookback_scan_stateIsLb0ELb1EEEEEvT2_T3_mT5_T4_T7_jPT6_SM_bb
		.amdhsa_group_segment_fixed_size 5120
		.amdhsa_private_segment_fixed_size 0
		.amdhsa_kernarg_size 76
		.amdhsa_user_sgpr_count 6
		.amdhsa_user_sgpr_private_segment_buffer 1
		.amdhsa_user_sgpr_dispatch_ptr 0
		.amdhsa_user_sgpr_queue_ptr 0
		.amdhsa_user_sgpr_kernarg_segment_ptr 1
		.amdhsa_user_sgpr_dispatch_id 0
		.amdhsa_user_sgpr_flat_scratch_init 0
		.amdhsa_user_sgpr_kernarg_preload_length 0
		.amdhsa_user_sgpr_kernarg_preload_offset 0
		.amdhsa_user_sgpr_private_segment_size 0
		.amdhsa_uses_dynamic_stack 0
		.amdhsa_system_sgpr_private_segment_wavefront_offset 0
		.amdhsa_system_sgpr_workgroup_id_x 1
		.amdhsa_system_sgpr_workgroup_id_y 0
		.amdhsa_system_sgpr_workgroup_id_z 0
		.amdhsa_system_sgpr_workgroup_info 0
		.amdhsa_system_vgpr_workitem_id 0
		.amdhsa_next_free_vgpr 41
		.amdhsa_next_free_sgpr 28
		.amdhsa_accum_offset 44
		.amdhsa_reserve_vcc 1
		.amdhsa_reserve_flat_scratch 0
		.amdhsa_float_round_mode_32 0
		.amdhsa_float_round_mode_16_64 0
		.amdhsa_float_denorm_mode_32 3
		.amdhsa_float_denorm_mode_16_64 3
		.amdhsa_dx10_clamp 1
		.amdhsa_ieee_mode 1
		.amdhsa_fp16_overflow 0
		.amdhsa_tg_split 0
		.amdhsa_exception_fp_ieee_invalid_op 0
		.amdhsa_exception_fp_denorm_src 0
		.amdhsa_exception_fp_ieee_div_zero 0
		.amdhsa_exception_fp_ieee_overflow 0
		.amdhsa_exception_fp_ieee_underflow 0
		.amdhsa_exception_fp_ieee_inexact 0
		.amdhsa_exception_int_div_zero 0
	.end_amdhsa_kernel
	.section	.text._ZN7rocprim6detail20lookback_scan_kernelILNS0_25lookback_scan_determinismE0ELb1ENS0_19wrapped_scan_configINS_14default_configEsEEN6hipcub22TransformInputIteratorIsNS6_6CastOpIsEEPslEEPfNS6_3MaxEssNS0_19lookback_scan_stateIsLb0ELb1EEEEEvT2_T3_mT5_T4_T7_jPT6_SM_bb,"axG",@progbits,_ZN7rocprim6detail20lookback_scan_kernelILNS0_25lookback_scan_determinismE0ELb1ENS0_19wrapped_scan_configINS_14default_configEsEEN6hipcub22TransformInputIteratorIsNS6_6CastOpIsEEPslEEPfNS6_3MaxEssNS0_19lookback_scan_stateIsLb0ELb1EEEEEvT2_T3_mT5_T4_T7_jPT6_SM_bb,comdat
.Lfunc_end86:
	.size	_ZN7rocprim6detail20lookback_scan_kernelILNS0_25lookback_scan_determinismE0ELb1ENS0_19wrapped_scan_configINS_14default_configEsEEN6hipcub22TransformInputIteratorIsNS6_6CastOpIsEEPslEEPfNS6_3MaxEssNS0_19lookback_scan_stateIsLb0ELb1EEEEEvT2_T3_mT5_T4_T7_jPT6_SM_bb, .Lfunc_end86-_ZN7rocprim6detail20lookback_scan_kernelILNS0_25lookback_scan_determinismE0ELb1ENS0_19wrapped_scan_configINS_14default_configEsEEN6hipcub22TransformInputIteratorIsNS6_6CastOpIsEEPslEEPfNS6_3MaxEssNS0_19lookback_scan_stateIsLb0ELb1EEEEEvT2_T3_mT5_T4_T7_jPT6_SM_bb
                                        ; -- End function
	.section	.AMDGPU.csdata,"",@progbits
; Kernel info:
; codeLenInByte = 5332
; NumSgprs: 32
; NumVgprs: 41
; NumAgprs: 0
; TotalNumVgprs: 41
; ScratchSize: 0
; MemoryBound: 0
; FloatMode: 240
; IeeeMode: 1
; LDSByteSize: 5120 bytes/workgroup (compile time only)
; SGPRBlocks: 3
; VGPRBlocks: 5
; NumSGPRsForWavesPerEU: 32
; NumVGPRsForWavesPerEU: 41
; AccumOffset: 44
; Occupancy: 8
; WaveLimiterHint : 1
; COMPUTE_PGM_RSRC2:SCRATCH_EN: 0
; COMPUTE_PGM_RSRC2:USER_SGPR: 6
; COMPUTE_PGM_RSRC2:TRAP_HANDLER: 0
; COMPUTE_PGM_RSRC2:TGID_X_EN: 1
; COMPUTE_PGM_RSRC2:TGID_Y_EN: 0
; COMPUTE_PGM_RSRC2:TGID_Z_EN: 0
; COMPUTE_PGM_RSRC2:TIDIG_COMP_CNT: 0
; COMPUTE_PGM_RSRC3_GFX90A:ACCUM_OFFSET: 10
; COMPUTE_PGM_RSRC3_GFX90A:TG_SPLIT: 0
	.section	.text._ZN7rocprim6detail18single_scan_kernelILb1ENS0_19wrapped_scan_configINS_14default_configEsEEN6hipcub22TransformInputIteratorIsNS5_6CastOpIsEEPslEEPfNS5_3MaxEssEEvT1_mT4_T2_T3_,"axG",@progbits,_ZN7rocprim6detail18single_scan_kernelILb1ENS0_19wrapped_scan_configINS_14default_configEsEEN6hipcub22TransformInputIteratorIsNS5_6CastOpIsEEPslEEPfNS5_3MaxEssEEvT1_mT4_T2_T3_,comdat
	.protected	_ZN7rocprim6detail18single_scan_kernelILb1ENS0_19wrapped_scan_configINS_14default_configEsEEN6hipcub22TransformInputIteratorIsNS5_6CastOpIsEEPslEEPfNS5_3MaxEssEEvT1_mT4_T2_T3_ ; -- Begin function _ZN7rocprim6detail18single_scan_kernelILb1ENS0_19wrapped_scan_configINS_14default_configEsEEN6hipcub22TransformInputIteratorIsNS5_6CastOpIsEEPslEEPfNS5_3MaxEssEEvT1_mT4_T2_T3_
	.globl	_ZN7rocprim6detail18single_scan_kernelILb1ENS0_19wrapped_scan_configINS_14default_configEsEEN6hipcub22TransformInputIteratorIsNS5_6CastOpIsEEPslEEPfNS5_3MaxEssEEvT1_mT4_T2_T3_
	.p2align	8
	.type	_ZN7rocprim6detail18single_scan_kernelILb1ENS0_19wrapped_scan_configINS_14default_configEsEEN6hipcub22TransformInputIteratorIsNS5_6CastOpIsEEPslEEPfNS5_3MaxEssEEvT1_mT4_T2_T3_,@function
_ZN7rocprim6detail18single_scan_kernelILb1ENS0_19wrapped_scan_configINS_14default_configEsEEN6hipcub22TransformInputIteratorIsNS5_6CastOpIsEEPslEEPfNS5_3MaxEssEEvT1_mT4_T2_T3_: ; @_ZN7rocprim6detail18single_scan_kernelILb1ENS0_19wrapped_scan_configINS_14default_configEsEEN6hipcub22TransformInputIteratorIsNS5_6CastOpIsEEPslEEPfNS5_3MaxEssEEvT1_mT4_T2_T3_
; %bb.0:
	s_load_dwordx2 s[0:1], s[4:5], 0x0
	s_load_dword s22, s[4:5], 0x10
	v_mov_b32_e32 v1, 0
	v_lshlrev_b32_e32 v12, 1, v0
	s_waitcnt lgkmcnt(0)
	global_load_ushort v1, v1, s[0:1]
	v_mov_b32_e32 v2, s1
	v_add_co_u32_e32 v10, vcc, s0, v12
	v_addc_co_u32_e32 v11, vcc, 0, v2, vcc
	v_cmp_gt_u32_e64 s[0:1], s22, v0
	s_waitcnt vmcnt(0)
	v_and_b32_e32 v2, 0xffff, v1
	v_lshl_or_b32 v2, v1, 16, v2
	v_mov_b32_e32 v3, v2
	v_mov_b32_e32 v4, v2
	v_mov_b32_e32 v5, v2
	v_mov_b32_e32 v6, v2
	s_and_saveexec_b64 s[2:3], s[0:1]
	s_cbranch_execz .LBB87_2
; %bb.1:
	global_load_ushort v1, v[10:11], off
	s_mov_b32 s6, 0xffff
	v_mov_b32_e32 v5, v2
	v_mov_b32_e32 v6, v2
	;; [unrolled: 1-line block ×4, first 2 shown]
	s_waitcnt vmcnt(0)
	v_bfi_b32 v4, s6, v1, v2
	v_pk_mov_b32 v[2:3], v[4:5], v[4:5] op_sel:[0,1]
	v_pk_mov_b32 v[4:5], v[6:7], v[6:7] op_sel:[0,1]
	;; [unrolled: 1-line block ×4, first 2 shown]
.LBB87_2:
	s_or_b64 exec, exec, s[2:3]
	v_or_b32_e32 v7, 0x100, v0
	v_cmp_gt_u32_e64 s[2:3], s22, v7
	s_and_saveexec_b64 s[6:7], s[2:3]
	s_cbranch_execz .LBB87_4
; %bb.3:
	global_load_ushort v7, v[10:11], off offset:512
	s_mov_b32 s8, 0x5040100
	s_waitcnt vmcnt(0)
	v_perm_b32 v2, v7, v2, s8
.LBB87_4:
	s_or_b64 exec, exec, s[6:7]
	v_or_b32_e32 v7, 0x200, v0
	v_cmp_gt_u32_e64 s[6:7], s22, v7
	s_and_saveexec_b64 s[8:9], s[6:7]
	s_cbranch_execz .LBB87_6
; %bb.5:
	global_load_ushort v7, v[10:11], off offset:1024
	s_mov_b32 s10, 0xffff
	s_waitcnt vmcnt(0)
	v_bfi_b32 v3, s10, v7, v3
.LBB87_6:
	s_or_b64 exec, exec, s[8:9]
	v_or_b32_e32 v7, 0x300, v0
	v_cmp_gt_u32_e64 s[8:9], s22, v7
	s_and_saveexec_b64 s[10:11], s[8:9]
	s_cbranch_execz .LBB87_8
; %bb.7:
	global_load_ushort v7, v[10:11], off offset:1536
	s_mov_b32 s12, 0x5040100
	s_waitcnt vmcnt(0)
	v_perm_b32 v3, v7, v3, s12
.LBB87_8:
	s_or_b64 exec, exec, s[10:11]
	v_or_b32_e32 v7, 0x400, v0
	v_cmp_gt_u32_e64 s[10:11], s22, v7
	s_and_saveexec_b64 s[12:13], s[10:11]
	s_cbranch_execz .LBB87_10
; %bb.9:
	global_load_ushort v7, v[10:11], off offset:2048
	s_mov_b32 s14, 0xffff
	s_waitcnt vmcnt(0)
	v_bfi_b32 v4, s14, v7, v4
.LBB87_10:
	;; [unrolled: 22-line block ×3, first 2 shown]
	s_or_b64 exec, exec, s[16:17]
	v_or_b32_e32 v7, 0x700, v0
	v_cmp_gt_u32_e64 s[16:17], s22, v7
	s_and_saveexec_b64 s[18:19], s[16:17]
	s_cbranch_execz .LBB87_16
; %bb.15:
	global_load_ushort v7, v[10:11], off offset:3584
	s_mov_b32 s20, 0x5040100
	s_waitcnt vmcnt(0)
	v_perm_b32 v5, v7, v5, s20
.LBB87_16:
	s_or_b64 exec, exec, s[18:19]
	v_or_b32_e32 v7, 0x800, v0
	v_cmp_gt_u32_e64 s[18:19], s22, v7
	s_and_saveexec_b64 s[20:21], s[18:19]
	s_cbranch_execz .LBB87_18
; %bb.17:
	v_add_co_u32_e32 v8, vcc, 0x1000, v10
	v_addc_co_u32_e32 v9, vcc, 0, v11, vcc
	global_load_ushort v7, v[8:9], off
	s_mov_b32 s23, 0xffff
	s_waitcnt vmcnt(0)
	v_bfi_b32 v6, s23, v7, v6
.LBB87_18:
	s_or_b64 exec, exec, s[20:21]
	v_or_b32_e32 v7, 0x900, v0
	v_cmp_gt_u32_e64 s[20:21], s22, v7
	s_and_saveexec_b64 s[22:23], s[20:21]
	s_cbranch_execz .LBB87_20
; %bb.19:
	v_add_co_u32_e32 v8, vcc, 0x1000, v10
	v_addc_co_u32_e32 v9, vcc, 0, v11, vcc
	global_load_ushort v7, v[8:9], off offset:512
	s_mov_b32 s24, 0x5040100
	s_waitcnt vmcnt(0)
	v_perm_b32 v6, v7, v6, s24
.LBB87_20:
	s_or_b64 exec, exec, s[22:23]
	ds_write_b16 v12, v1
	ds_write_b16_d16_hi v12, v2 offset:512
	ds_write_b16 v12, v3 offset:1024
	ds_write_b16_d16_hi v12, v3 offset:1536
	ds_write_b16 v12, v4 offset:2048
	;; [unrolled: 2-line block ×4, first 2 shown]
	ds_write_b16_d16_hi v12, v6 offset:4608
	v_mad_u32_u24 v1, v0, 18, v12
	s_waitcnt lgkmcnt(0)
	s_barrier
	ds_read2_b32 v[4:5], v1 offset1:1
	ds_read2_b32 v[2:3], v1 offset0:2 offset1:3
	ds_read_b32 v7, v1 offset:16
	s_waitcnt lgkmcnt(0)
	s_barrier
	v_lshrrev_b32_e32 v10, 16, v5
	v_max_i16_sdwa v11, v4, v4 dst_sel:DWORD dst_unused:UNUSED_PAD src0_sel:DWORD src1_sel:WORD_1
	v_lshrrev_b32_e32 v9, 16, v2
	v_max3_i16 v11, v11, v5, v10
	v_lshrrev_b32_e32 v8, 16, v3
	v_max3_i16 v11, v11, v2, v9
	;; [unrolled: 2-line block ×3, first 2 shown]
	v_max3_i16 v11, v11, v7, v6
	v_lshrrev_b32_e32 v6, 4, v0
	v_and_b32_e32 v6, 14, v6
	v_add_u32_e32 v6, v12, v6
	ds_write_b16 v6, v11
	v_cmp_gt_u32_e32 vcc, 64, v0
	v_lshlrev_b32_e32 v6, 2, v0
	s_waitcnt lgkmcnt(0)
	s_barrier
	s_and_saveexec_b64 s[22:23], vcc
	s_cbranch_execz .LBB87_22
; %bb.21:
	v_lshrrev_b32_e32 v13, 3, v0
	v_add_lshl_u32 v13, v13, v6, 1
	ds_read_b64 v[14:15], v13
	v_mbcnt_lo_u32_b32 v16, -1, 0
	v_mbcnt_hi_u32_b32 v16, -1, v16
	v_and_b32_e32 v17, 15, v16
	v_cmp_eq_u32_e32 vcc, 0, v17
	s_waitcnt lgkmcnt(0)
	v_lshrrev_b32_e32 v18, 16, v15
	v_max_i16_sdwa v19, v14, v14 dst_sel:DWORD dst_unused:UNUSED_PAD src0_sel:DWORD src1_sel:WORD_1
	v_max3_i16 v19, v19, v15, v18
	v_and_b32_e32 v20, 0xffff, v19
	s_mov_b32 s24, 0x5040100
	s_nop 0
	v_mov_b32_dpp v20, v20 row_shr:1 row_mask:0xf bank_mask:0xf
	v_max_i16_e32 v20, v20, v19
	v_cndmask_b32_e32 v19, v20, v19, vcc
	v_and_b32_e32 v20, 0xffff, v19
	v_cmp_lt_u32_e32 vcc, 1, v17
	s_nop 0
	v_mov_b32_dpp v20, v20 row_shr:2 row_mask:0xf bank_mask:0xf
	v_max_i16_e32 v20, v20, v19
	v_cndmask_b32_e32 v19, v19, v20, vcc
	v_and_b32_e32 v20, 0xffff, v19
	v_cmp_lt_u32_e32 vcc, 3, v17
	;; [unrolled: 6-line block ×3, first 2 shown]
	s_nop 0
	v_mov_b32_dpp v20, v20 row_shr:8 row_mask:0xf bank_mask:0xf
	v_max_i16_e32 v20, v20, v19
	v_cndmask_b32_e32 v17, v19, v20, vcc
	v_and_b32_e32 v19, 0xffff, v17
	v_and_b32_e32 v20, 16, v16
	v_cmp_eq_u32_e32 vcc, 0, v20
	v_mov_b32_dpp v19, v19 row_bcast:15 row_mask:0xf bank_mask:0xf
	v_max_i16_e32 v19, v19, v17
	v_cndmask_b32_e32 v17, v19, v17, vcc
	v_and_b32_e32 v19, 0xffff, v17
	v_cmp_lt_u32_e32 vcc, 31, v16
	v_and_b32_e32 v20, 64, v16
	v_mov_b32_dpp v19, v19 row_bcast:31 row_mask:0xf bank_mask:0xf
	v_max_i16_e32 v19, v19, v17
	v_cndmask_b32_e32 v17, v17, v19, vcc
	v_add_u32_e32 v19, -1, v16
	v_cmp_lt_i32_e32 vcc, v19, v20
	v_cndmask_b32_e32 v16, v19, v16, vcc
	v_and_b32_e32 v17, 0xffff, v17
	v_lshlrev_b32_e32 v16, 2, v16
	ds_bpermute_b32 v16, v16, v17
	v_cmp_eq_u32_e32 vcc, 0, v0
	s_waitcnt lgkmcnt(0)
	v_max_i16_e32 v16, v16, v14
	v_cndmask_b32_e32 v11, v16, v11, vcc
	v_max_i16_sdwa v14, v11, v14 dst_sel:DWORD dst_unused:UNUSED_PAD src0_sel:DWORD src1_sel:WORD_1
	v_max_i16_e32 v15, v14, v15
	v_max_i16_e32 v16, v15, v18
	v_perm_b32 v14, v14, v11, s24
	v_perm_b32 v15, v16, v15, s24
	ds_write_b64 v13, v[14:15]
.LBB87_22:
	s_or_b64 exec, exec, s[22:23]
	s_load_dword s24, s[4:5], 0x18
	v_cmp_ne_u32_e32 vcc, 0, v0
	s_waitcnt lgkmcnt(0)
	s_barrier
	v_mov_b32_e32 v11, s24
	s_and_saveexec_b64 s[22:23], vcc
	s_cbranch_execz .LBB87_24
; %bb.23:
	v_add_u32_e32 v11, -1, v0
	v_lshrrev_b32_e32 v13, 5, v11
	v_add_lshl_u32 v11, v13, v11, 1
	ds_read_u16 v11, v11
	s_waitcnt lgkmcnt(0)
	v_max_i16_e32 v11, s24, v11
.LBB87_24:
	s_or_b64 exec, exec, s[22:23]
	v_max_i16_e32 v13, v11, v4
	v_max_i16_sdwa v4, v13, v4 dst_sel:DWORD dst_unused:UNUSED_PAD src0_sel:DWORD src1_sel:WORD_1
	v_max_i16_e32 v5, v4, v5
	v_max_i16_e32 v10, v5, v10
	;; [unrolled: 1-line block ×6, first 2 shown]
	s_mov_b32 s22, 0x5040100
	v_max_i16_e32 v7, v8, v7
	v_perm_b32 v2, v2, v10, s22
	v_perm_b32 v3, v3, v9, s22
	s_barrier
	v_perm_b32 v4, v5, v4, s22
	v_perm_b32 v5, v13, v11, s22
	ds_write2_b32 v1, v2, v3 offset0:2 offset1:3
	v_perm_b32 v2, v7, v8, s22
	s_movk_i32 s22, 0xffee
	ds_write2_b32 v1, v5, v4 offset1:1
	ds_write_b32 v1, v2 offset:16
	s_waitcnt lgkmcnt(0)
	s_barrier
	v_mad_i32_i24 v0, v0, s22, v1
	ds_read_u16 v8, v12 offset:2048
	ds_read_u16 v10, v0 offset:1024
	;; [unrolled: 1-line block ×9, first 2 shown]
	s_load_dwordx2 s[4:5], s[4:5], 0x20
	s_waitcnt lgkmcnt(0)
	v_mov_b32_e32 v1, s5
	v_add_co_u32_e32 v0, vcc, s4, v6
	v_addc_co_u32_e32 v1, vcc, 0, v1, vcc
	s_and_saveexec_b64 s[4:5], s[0:1]
	s_cbranch_execnz .LBB87_35
; %bb.25:
	s_or_b64 exec, exec, s[4:5]
	s_and_saveexec_b64 s[0:1], s[2:3]
	s_cbranch_execnz .LBB87_36
.LBB87_26:
	s_or_b64 exec, exec, s[0:1]
	s_and_saveexec_b64 s[0:1], s[6:7]
	s_cbranch_execnz .LBB87_37
.LBB87_27:
	s_or_b64 exec, exec, s[0:1]
	s_and_saveexec_b64 s[0:1], s[8:9]
	s_cbranch_execnz .LBB87_38
.LBB87_28:
	s_or_b64 exec, exec, s[0:1]
	s_and_saveexec_b64 s[0:1], s[10:11]
	s_cbranch_execnz .LBB87_39
.LBB87_29:
	s_or_b64 exec, exec, s[0:1]
	s_and_saveexec_b64 s[0:1], s[12:13]
	s_cbranch_execnz .LBB87_40
.LBB87_30:
	s_or_b64 exec, exec, s[0:1]
	s_and_saveexec_b64 s[0:1], s[14:15]
	s_cbranch_execnz .LBB87_41
.LBB87_31:
	s_or_b64 exec, exec, s[0:1]
	s_and_saveexec_b64 s[0:1], s[16:17]
	s_cbranch_execnz .LBB87_42
.LBB87_32:
	s_or_b64 exec, exec, s[0:1]
	s_and_saveexec_b64 s[0:1], s[18:19]
	s_cbranch_execnz .LBB87_43
.LBB87_33:
	s_or_b64 exec, exec, s[0:1]
	s_and_saveexec_b64 s[0:1], s[20:21]
	s_cbranch_execnz .LBB87_44
.LBB87_34:
	s_endpgm
.LBB87_35:
	ds_read_i16 v6, v12
	s_waitcnt lgkmcnt(0)
	v_cvt_f32_i32_e32 v6, v6
	global_store_dword v[0:1], v6, off
	s_or_b64 exec, exec, s[4:5]
	s_and_saveexec_b64 s[0:1], s[2:3]
	s_cbranch_execz .LBB87_26
.LBB87_36:
	v_cvt_f32_i32_sdwa v6, sext(v11) dst_sel:DWORD dst_unused:UNUSED_PAD src0_sel:WORD_0
	global_store_dword v[0:1], v6, off offset:1024
	s_or_b64 exec, exec, s[0:1]
	s_and_saveexec_b64 s[0:1], s[6:7]
	s_cbranch_execz .LBB87_27
.LBB87_37:
	v_cvt_f32_i32_sdwa v6, sext(v10) dst_sel:DWORD dst_unused:UNUSED_PAD src0_sel:WORD_0
	global_store_dword v[0:1], v6, off offset:2048
	s_or_b64 exec, exec, s[0:1]
	s_and_saveexec_b64 s[0:1], s[8:9]
	s_cbranch_execz .LBB87_28
.LBB87_38:
	v_cvt_f32_i32_sdwa v6, sext(v9) dst_sel:DWORD dst_unused:UNUSED_PAD src0_sel:WORD_0
	global_store_dword v[0:1], v6, off offset:3072
	s_or_b64 exec, exec, s[0:1]
	s_and_saveexec_b64 s[0:1], s[10:11]
	s_cbranch_execz .LBB87_29
.LBB87_39:
	v_cvt_f32_i32_sdwa v6, sext(v8) dst_sel:DWORD dst_unused:UNUSED_PAD src0_sel:WORD_0
	v_add_co_u32_e32 v8, vcc, 0x1000, v0
	v_addc_co_u32_e32 v9, vcc, 0, v1, vcc
	global_store_dword v[8:9], v6, off
	s_or_b64 exec, exec, s[0:1]
	s_and_saveexec_b64 s[0:1], s[12:13]
	s_cbranch_execz .LBB87_30
.LBB87_40:
	v_cvt_f32_i32_sdwa v8, sext(v7) dst_sel:DWORD dst_unused:UNUSED_PAD src0_sel:WORD_0
	v_add_co_u32_e32 v6, vcc, 0x1000, v0
	v_addc_co_u32_e32 v7, vcc, 0, v1, vcc
	global_store_dword v[6:7], v8, off offset:1024
	s_or_b64 exec, exec, s[0:1]
	s_and_saveexec_b64 s[0:1], s[14:15]
	s_cbranch_execz .LBB87_31
.LBB87_41:
	v_cvt_f32_i32_sdwa v5, sext(v5) dst_sel:DWORD dst_unused:UNUSED_PAD src0_sel:WORD_0
	v_add_co_u32_e32 v6, vcc, 0x1000, v0
	v_addc_co_u32_e32 v7, vcc, 0, v1, vcc
	global_store_dword v[6:7], v5, off offset:2048
	s_or_b64 exec, exec, s[0:1]
	s_and_saveexec_b64 s[0:1], s[16:17]
	s_cbranch_execz .LBB87_32
.LBB87_42:
	v_cvt_f32_i32_sdwa v6, sext(v4) dst_sel:DWORD dst_unused:UNUSED_PAD src0_sel:WORD_0
	v_add_co_u32_e32 v4, vcc, 0x1000, v0
	v_addc_co_u32_e32 v5, vcc, 0, v1, vcc
	global_store_dword v[4:5], v6, off offset:3072
	s_or_b64 exec, exec, s[0:1]
	s_and_saveexec_b64 s[0:1], s[18:19]
	s_cbranch_execz .LBB87_33
.LBB87_43:
	v_cvt_f32_i32_sdwa v3, sext(v3) dst_sel:DWORD dst_unused:UNUSED_PAD src0_sel:WORD_0
	v_add_co_u32_e32 v4, vcc, 0x2000, v0
	v_addc_co_u32_e32 v5, vcc, 0, v1, vcc
	global_store_dword v[4:5], v3, off
	s_or_b64 exec, exec, s[0:1]
	s_and_saveexec_b64 s[0:1], s[20:21]
	s_cbranch_execz .LBB87_34
.LBB87_44:
	v_cvt_f32_i32_sdwa v2, sext(v2) dst_sel:DWORD dst_unused:UNUSED_PAD src0_sel:WORD_0
	v_add_co_u32_e32 v0, vcc, 0x2000, v0
	v_addc_co_u32_e32 v1, vcc, 0, v1, vcc
	global_store_dword v[0:1], v2, off offset:1024
	s_endpgm
	.section	.rodata,"a",@progbits
	.p2align	6, 0x0
	.amdhsa_kernel _ZN7rocprim6detail18single_scan_kernelILb1ENS0_19wrapped_scan_configINS_14default_configEsEEN6hipcub22TransformInputIteratorIsNS5_6CastOpIsEEPslEEPfNS5_3MaxEssEEvT1_mT4_T2_T3_
		.amdhsa_group_segment_fixed_size 5120
		.amdhsa_private_segment_fixed_size 0
		.amdhsa_kernarg_size 44
		.amdhsa_user_sgpr_count 6
		.amdhsa_user_sgpr_private_segment_buffer 1
		.amdhsa_user_sgpr_dispatch_ptr 0
		.amdhsa_user_sgpr_queue_ptr 0
		.amdhsa_user_sgpr_kernarg_segment_ptr 1
		.amdhsa_user_sgpr_dispatch_id 0
		.amdhsa_user_sgpr_flat_scratch_init 0
		.amdhsa_user_sgpr_kernarg_preload_length 0
		.amdhsa_user_sgpr_kernarg_preload_offset 0
		.amdhsa_user_sgpr_private_segment_size 0
		.amdhsa_uses_dynamic_stack 0
		.amdhsa_system_sgpr_private_segment_wavefront_offset 0
		.amdhsa_system_sgpr_workgroup_id_x 1
		.amdhsa_system_sgpr_workgroup_id_y 0
		.amdhsa_system_sgpr_workgroup_id_z 0
		.amdhsa_system_sgpr_workgroup_info 0
		.amdhsa_system_vgpr_workitem_id 0
		.amdhsa_next_free_vgpr 21
		.amdhsa_next_free_sgpr 25
		.amdhsa_accum_offset 24
		.amdhsa_reserve_vcc 1
		.amdhsa_reserve_flat_scratch 0
		.amdhsa_float_round_mode_32 0
		.amdhsa_float_round_mode_16_64 0
		.amdhsa_float_denorm_mode_32 3
		.amdhsa_float_denorm_mode_16_64 3
		.amdhsa_dx10_clamp 1
		.amdhsa_ieee_mode 1
		.amdhsa_fp16_overflow 0
		.amdhsa_tg_split 0
		.amdhsa_exception_fp_ieee_invalid_op 0
		.amdhsa_exception_fp_denorm_src 0
		.amdhsa_exception_fp_ieee_div_zero 0
		.amdhsa_exception_fp_ieee_overflow 0
		.amdhsa_exception_fp_ieee_underflow 0
		.amdhsa_exception_fp_ieee_inexact 0
		.amdhsa_exception_int_div_zero 0
	.end_amdhsa_kernel
	.section	.text._ZN7rocprim6detail18single_scan_kernelILb1ENS0_19wrapped_scan_configINS_14default_configEsEEN6hipcub22TransformInputIteratorIsNS5_6CastOpIsEEPslEEPfNS5_3MaxEssEEvT1_mT4_T2_T3_,"axG",@progbits,_ZN7rocprim6detail18single_scan_kernelILb1ENS0_19wrapped_scan_configINS_14default_configEsEEN6hipcub22TransformInputIteratorIsNS5_6CastOpIsEEPslEEPfNS5_3MaxEssEEvT1_mT4_T2_T3_,comdat
.Lfunc_end87:
	.size	_ZN7rocprim6detail18single_scan_kernelILb1ENS0_19wrapped_scan_configINS_14default_configEsEEN6hipcub22TransformInputIteratorIsNS5_6CastOpIsEEPslEEPfNS5_3MaxEssEEvT1_mT4_T2_T3_, .Lfunc_end87-_ZN7rocprim6detail18single_scan_kernelILb1ENS0_19wrapped_scan_configINS_14default_configEsEEN6hipcub22TransformInputIteratorIsNS5_6CastOpIsEEPslEEPfNS5_3MaxEssEEvT1_mT4_T2_T3_
                                        ; -- End function
	.section	.AMDGPU.csdata,"",@progbits
; Kernel info:
; codeLenInByte = 2064
; NumSgprs: 29
; NumVgprs: 21
; NumAgprs: 0
; TotalNumVgprs: 21
; ScratchSize: 0
; MemoryBound: 0
; FloatMode: 240
; IeeeMode: 1
; LDSByteSize: 5120 bytes/workgroup (compile time only)
; SGPRBlocks: 3
; VGPRBlocks: 2
; NumSGPRsForWavesPerEU: 29
; NumVGPRsForWavesPerEU: 21
; AccumOffset: 24
; Occupancy: 8
; WaveLimiterHint : 0
; COMPUTE_PGM_RSRC2:SCRATCH_EN: 0
; COMPUTE_PGM_RSRC2:USER_SGPR: 6
; COMPUTE_PGM_RSRC2:TRAP_HANDLER: 0
; COMPUTE_PGM_RSRC2:TGID_X_EN: 1
; COMPUTE_PGM_RSRC2:TGID_Y_EN: 0
; COMPUTE_PGM_RSRC2:TGID_Z_EN: 0
; COMPUTE_PGM_RSRC2:TIDIG_COMP_CNT: 0
; COMPUTE_PGM_RSRC3_GFX90A:ACCUM_OFFSET: 5
; COMPUTE_PGM_RSRC3_GFX90A:TG_SPLIT: 0
	.section	.text._ZN7rocprim6detail20lookback_scan_kernelILNS0_25lookback_scan_determinismE0ELb1ENS0_19wrapped_scan_configINS_14default_configEmEEPmS6_N6hipcub3SumEmmNS0_19lookback_scan_stateImLb1ELb1EEEEEvT2_T3_mT5_T4_T7_jPT6_SH_bb,"axG",@progbits,_ZN7rocprim6detail20lookback_scan_kernelILNS0_25lookback_scan_determinismE0ELb1ENS0_19wrapped_scan_configINS_14default_configEmEEPmS6_N6hipcub3SumEmmNS0_19lookback_scan_stateImLb1ELb1EEEEEvT2_T3_mT5_T4_T7_jPT6_SH_bb,comdat
	.protected	_ZN7rocprim6detail20lookback_scan_kernelILNS0_25lookback_scan_determinismE0ELb1ENS0_19wrapped_scan_configINS_14default_configEmEEPmS6_N6hipcub3SumEmmNS0_19lookback_scan_stateImLb1ELb1EEEEEvT2_T3_mT5_T4_T7_jPT6_SH_bb ; -- Begin function _ZN7rocprim6detail20lookback_scan_kernelILNS0_25lookback_scan_determinismE0ELb1ENS0_19wrapped_scan_configINS_14default_configEmEEPmS6_N6hipcub3SumEmmNS0_19lookback_scan_stateImLb1ELb1EEEEEvT2_T3_mT5_T4_T7_jPT6_SH_bb
	.globl	_ZN7rocprim6detail20lookback_scan_kernelILNS0_25lookback_scan_determinismE0ELb1ENS0_19wrapped_scan_configINS_14default_configEmEEPmS6_N6hipcub3SumEmmNS0_19lookback_scan_stateImLb1ELb1EEEEEvT2_T3_mT5_T4_T7_jPT6_SH_bb
	.p2align	8
	.type	_ZN7rocprim6detail20lookback_scan_kernelILNS0_25lookback_scan_determinismE0ELb1ENS0_19wrapped_scan_configINS_14default_configEmEEPmS6_N6hipcub3SumEmmNS0_19lookback_scan_stateImLb1ELb1EEEEEvT2_T3_mT5_T4_T7_jPT6_SH_bb,@function
_ZN7rocprim6detail20lookback_scan_kernelILNS0_25lookback_scan_determinismE0ELb1ENS0_19wrapped_scan_configINS_14default_configEmEEPmS6_N6hipcub3SumEmmNS0_19lookback_scan_stateImLb1ELb1EEEEEvT2_T3_mT5_T4_T7_jPT6_SH_bb: ; @_ZN7rocprim6detail20lookback_scan_kernelILNS0_25lookback_scan_determinismE0ELb1ENS0_19wrapped_scan_configINS_14default_configEmEEPmS6_N6hipcub3SumEmmNS0_19lookback_scan_stateImLb1ELb1EEEEEvT2_T3_mT5_T4_T7_jPT6_SH_bb
; %bb.0:
	s_endpgm
	.section	.rodata,"a",@progbits
	.p2align	6, 0x0
	.amdhsa_kernel _ZN7rocprim6detail20lookback_scan_kernelILNS0_25lookback_scan_determinismE0ELb1ENS0_19wrapped_scan_configINS_14default_configEmEEPmS6_N6hipcub3SumEmmNS0_19lookback_scan_stateImLb1ELb1EEEEEvT2_T3_mT5_T4_T7_jPT6_SH_bb
		.amdhsa_group_segment_fixed_size 0
		.amdhsa_private_segment_fixed_size 0
		.amdhsa_kernarg_size 76
		.amdhsa_user_sgpr_count 6
		.amdhsa_user_sgpr_private_segment_buffer 1
		.amdhsa_user_sgpr_dispatch_ptr 0
		.amdhsa_user_sgpr_queue_ptr 0
		.amdhsa_user_sgpr_kernarg_segment_ptr 1
		.amdhsa_user_sgpr_dispatch_id 0
		.amdhsa_user_sgpr_flat_scratch_init 0
		.amdhsa_user_sgpr_kernarg_preload_length 0
		.amdhsa_user_sgpr_kernarg_preload_offset 0
		.amdhsa_user_sgpr_private_segment_size 0
		.amdhsa_uses_dynamic_stack 0
		.amdhsa_system_sgpr_private_segment_wavefront_offset 0
		.amdhsa_system_sgpr_workgroup_id_x 1
		.amdhsa_system_sgpr_workgroup_id_y 0
		.amdhsa_system_sgpr_workgroup_id_z 0
		.amdhsa_system_sgpr_workgroup_info 0
		.amdhsa_system_vgpr_workitem_id 0
		.amdhsa_next_free_vgpr 1
		.amdhsa_next_free_sgpr 0
		.amdhsa_accum_offset 4
		.amdhsa_reserve_vcc 0
		.amdhsa_reserve_flat_scratch 0
		.amdhsa_float_round_mode_32 0
		.amdhsa_float_round_mode_16_64 0
		.amdhsa_float_denorm_mode_32 3
		.amdhsa_float_denorm_mode_16_64 3
		.amdhsa_dx10_clamp 1
		.amdhsa_ieee_mode 1
		.amdhsa_fp16_overflow 0
		.amdhsa_tg_split 0
		.amdhsa_exception_fp_ieee_invalid_op 0
		.amdhsa_exception_fp_denorm_src 0
		.amdhsa_exception_fp_ieee_div_zero 0
		.amdhsa_exception_fp_ieee_overflow 0
		.amdhsa_exception_fp_ieee_underflow 0
		.amdhsa_exception_fp_ieee_inexact 0
		.amdhsa_exception_int_div_zero 0
	.end_amdhsa_kernel
	.section	.text._ZN7rocprim6detail20lookback_scan_kernelILNS0_25lookback_scan_determinismE0ELb1ENS0_19wrapped_scan_configINS_14default_configEmEEPmS6_N6hipcub3SumEmmNS0_19lookback_scan_stateImLb1ELb1EEEEEvT2_T3_mT5_T4_T7_jPT6_SH_bb,"axG",@progbits,_ZN7rocprim6detail20lookback_scan_kernelILNS0_25lookback_scan_determinismE0ELb1ENS0_19wrapped_scan_configINS_14default_configEmEEPmS6_N6hipcub3SumEmmNS0_19lookback_scan_stateImLb1ELb1EEEEEvT2_T3_mT5_T4_T7_jPT6_SH_bb,comdat
.Lfunc_end88:
	.size	_ZN7rocprim6detail20lookback_scan_kernelILNS0_25lookback_scan_determinismE0ELb1ENS0_19wrapped_scan_configINS_14default_configEmEEPmS6_N6hipcub3SumEmmNS0_19lookback_scan_stateImLb1ELb1EEEEEvT2_T3_mT5_T4_T7_jPT6_SH_bb, .Lfunc_end88-_ZN7rocprim6detail20lookback_scan_kernelILNS0_25lookback_scan_determinismE0ELb1ENS0_19wrapped_scan_configINS_14default_configEmEEPmS6_N6hipcub3SumEmmNS0_19lookback_scan_stateImLb1ELb1EEEEEvT2_T3_mT5_T4_T7_jPT6_SH_bb
                                        ; -- End function
	.section	.AMDGPU.csdata,"",@progbits
; Kernel info:
; codeLenInByte = 4
; NumSgprs: 4
; NumVgprs: 0
; NumAgprs: 0
; TotalNumVgprs: 0
; ScratchSize: 0
; MemoryBound: 0
; FloatMode: 240
; IeeeMode: 1
; LDSByteSize: 0 bytes/workgroup (compile time only)
; SGPRBlocks: 0
; VGPRBlocks: 0
; NumSGPRsForWavesPerEU: 4
; NumVGPRsForWavesPerEU: 1
; AccumOffset: 4
; Occupancy: 8
; WaveLimiterHint : 0
; COMPUTE_PGM_RSRC2:SCRATCH_EN: 0
; COMPUTE_PGM_RSRC2:USER_SGPR: 6
; COMPUTE_PGM_RSRC2:TRAP_HANDLER: 0
; COMPUTE_PGM_RSRC2:TGID_X_EN: 1
; COMPUTE_PGM_RSRC2:TGID_Y_EN: 0
; COMPUTE_PGM_RSRC2:TGID_Z_EN: 0
; COMPUTE_PGM_RSRC2:TIDIG_COMP_CNT: 0
; COMPUTE_PGM_RSRC3_GFX90A:ACCUM_OFFSET: 0
; COMPUTE_PGM_RSRC3_GFX90A:TG_SPLIT: 0
	.section	.text._ZN7rocprim6detail20lookback_scan_kernelILNS0_25lookback_scan_determinismE0ELb1ENS0_19wrapped_scan_configINS_14default_configEmEEPmS6_N6hipcub3SumEmmNS0_19lookback_scan_stateImLb0ELb1EEEEEvT2_T3_mT5_T4_T7_jPT6_SH_bb,"axG",@progbits,_ZN7rocprim6detail20lookback_scan_kernelILNS0_25lookback_scan_determinismE0ELb1ENS0_19wrapped_scan_configINS_14default_configEmEEPmS6_N6hipcub3SumEmmNS0_19lookback_scan_stateImLb0ELb1EEEEEvT2_T3_mT5_T4_T7_jPT6_SH_bb,comdat
	.protected	_ZN7rocprim6detail20lookback_scan_kernelILNS0_25lookback_scan_determinismE0ELb1ENS0_19wrapped_scan_configINS_14default_configEmEEPmS6_N6hipcub3SumEmmNS0_19lookback_scan_stateImLb0ELb1EEEEEvT2_T3_mT5_T4_T7_jPT6_SH_bb ; -- Begin function _ZN7rocprim6detail20lookback_scan_kernelILNS0_25lookback_scan_determinismE0ELb1ENS0_19wrapped_scan_configINS_14default_configEmEEPmS6_N6hipcub3SumEmmNS0_19lookback_scan_stateImLb0ELb1EEEEEvT2_T3_mT5_T4_T7_jPT6_SH_bb
	.globl	_ZN7rocprim6detail20lookback_scan_kernelILNS0_25lookback_scan_determinismE0ELb1ENS0_19wrapped_scan_configINS_14default_configEmEEPmS6_N6hipcub3SumEmmNS0_19lookback_scan_stateImLb0ELb1EEEEEvT2_T3_mT5_T4_T7_jPT6_SH_bb
	.p2align	8
	.type	_ZN7rocprim6detail20lookback_scan_kernelILNS0_25lookback_scan_determinismE0ELb1ENS0_19wrapped_scan_configINS_14default_configEmEEPmS6_N6hipcub3SumEmmNS0_19lookback_scan_stateImLb0ELb1EEEEEvT2_T3_mT5_T4_T7_jPT6_SH_bb,@function
_ZN7rocprim6detail20lookback_scan_kernelILNS0_25lookback_scan_determinismE0ELb1ENS0_19wrapped_scan_configINS_14default_configEmEEPmS6_N6hipcub3SumEmmNS0_19lookback_scan_stateImLb0ELb1EEEEEvT2_T3_mT5_T4_T7_jPT6_SH_bb: ; @_ZN7rocprim6detail20lookback_scan_kernelILNS0_25lookback_scan_determinismE0ELb1ENS0_19wrapped_scan_configINS_14default_configEmEEPmS6_N6hipcub3SumEmmNS0_19lookback_scan_stateImLb0ELb1EEEEEvT2_T3_mT5_T4_T7_jPT6_SH_bb
; %bb.0:
	s_load_dword s1, s[4:5], 0x30
	s_load_dwordx8 s[12:19], s[4:5], 0x0
	s_mul_i32 s0, s6, 0x540
	v_lshlrev_b32_e32 v58, 3, v0
	s_waitcnt lgkmcnt(0)
	s_add_i32 s2, s1, -1
	s_mul_i32 s3, s2, 0x540
	s_sub_u32 s24, s16, s3
	s_subb_u32 s25, s17, 0
	s_mov_b32 s1, 0
	s_cmp_lg_u32 s6, s2
	s_cselect_b64 s[16:17], -1, 0
	s_lshl_b64 s[20:21], s[0:1], 3
	s_add_u32 s8, s12, s20
	s_addc_u32 s9, s13, s21
	s_mov_b64 s[0:1], -1
	s_and_b64 vcc, exec, s[16:17]
	s_cbranch_vccz .LBB89_2
; %bb.1:
	v_mov_b32_e32 v1, s9
	v_add_co_u32_e32 v36, vcc, s8, v58
	v_addc_co_u32_e32 v1, vcc, 0, v1, vcc
	v_add_co_u32_e32 v18, vcc, 0x1000, v36
	v_addc_co_u32_e32 v19, vcc, 0, v1, vcc
	global_load_dwordx2 v[2:3], v58, s[8:9]
	global_load_dwordx2 v[4:5], v58, s[8:9] offset:512
	global_load_dwordx2 v[6:7], v58, s[8:9] offset:1024
	;; [unrolled: 1-line block ×7, first 2 shown]
	global_load_dwordx2 v[20:21], v[18:19], off
	global_load_dwordx2 v[22:23], v[18:19], off offset:512
	global_load_dwordx2 v[24:25], v[18:19], off offset:1024
	;; [unrolled: 1-line block ×7, first 2 shown]
	v_add_co_u32_e32 v18, vcc, 0x2000, v36
	v_addc_co_u32_e32 v19, vcc, 0, v1, vcc
	global_load_dwordx2 v[36:37], v[18:19], off
	global_load_dwordx2 v[38:39], v[18:19], off offset:512
	global_load_dwordx2 v[40:41], v[18:19], off offset:1024
	;; [unrolled: 1-line block ×4, first 2 shown]
	s_mov_b64 s[0:1], 0
	s_waitcnt vmcnt(19)
	ds_write2st64_b64 v58, v[2:3], v[4:5] offset1:1
	s_waitcnt vmcnt(17)
	ds_write2st64_b64 v58, v[6:7], v[8:9] offset0:2 offset1:3
	s_waitcnt vmcnt(15)
	ds_write2st64_b64 v58, v[10:11], v[12:13] offset0:4 offset1:5
	;; [unrolled: 2-line block ×9, first 2 shown]
	s_waitcnt vmcnt(0)
	ds_write_b64 v58, v[44:45] offset:10240
	s_waitcnt lgkmcnt(0)
	; wave barrier
.LBB89_2:
	s_andn2_b64 vcc, exec, s[0:1]
	v_cmp_gt_u32_e64 s[0:1], s24, v0
	s_cbranch_vccnz .LBB89_46
; %bb.3:
	s_load_dwordx2 s[2:3], s[8:9], 0x0
	v_mov_b32_e32 v1, s9
	v_add_co_u32_e32 v4, vcc, s8, v58
	v_addc_co_u32_e32 v5, vcc, 0, v1, vcc
	s_waitcnt lgkmcnt(0)
	v_pk_mov_b32 v[2:3], s[2:3], s[2:3] op_sel:[0,1]
	s_and_saveexec_b64 s[8:9], s[0:1]
	s_cbranch_execz .LBB89_5
; %bb.4:
	global_load_dwordx2 v[2:3], v[4:5], off
.LBB89_5:
	s_or_b64 exec, exec, s[8:9]
	v_or_b32_e32 v1, 64, v0
	v_cmp_gt_u32_e32 vcc, s24, v1
	v_pk_mov_b32 v[6:7], s[2:3], s[2:3] op_sel:[0,1]
	s_and_saveexec_b64 s[0:1], vcc
	s_cbranch_execz .LBB89_7
; %bb.6:
	global_load_dwordx2 v[6:7], v[4:5], off offset:512
.LBB89_7:
	s_or_b64 exec, exec, s[0:1]
	v_or_b32_e32 v1, 0x80, v0
	v_cmp_gt_u32_e32 vcc, s24, v1
	v_pk_mov_b32 v[8:9], s[2:3], s[2:3] op_sel:[0,1]
	s_and_saveexec_b64 s[0:1], vcc
	s_cbranch_execz .LBB89_9
; %bb.8:
	global_load_dwordx2 v[8:9], v[4:5], off offset:1024
.LBB89_9:
	;; [unrolled: 9-line block ×7, first 2 shown]
	s_or_b64 exec, exec, s[0:1]
	v_or_b32_e32 v1, 0x200, v0
	v_cmp_gt_u32_e32 vcc, s24, v1
	v_pk_mov_b32 v[20:21], s[2:3], s[2:3] op_sel:[0,1]
	s_and_saveexec_b64 s[0:1], vcc
	s_cbranch_execz .LBB89_21
; %bb.20:
	v_add_co_u32_e32 v20, vcc, 0x1000, v4
	v_addc_co_u32_e32 v21, vcc, 0, v5, vcc
	global_load_dwordx2 v[20:21], v[20:21], off
.LBB89_21:
	s_or_b64 exec, exec, s[0:1]
	v_or_b32_e32 v1, 0x240, v0
	v_cmp_gt_u32_e32 vcc, s24, v1
	v_pk_mov_b32 v[22:23], s[2:3], s[2:3] op_sel:[0,1]
	s_and_saveexec_b64 s[0:1], vcc
	s_cbranch_execz .LBB89_23
; %bb.22:
	v_add_co_u32_e32 v22, vcc, 0x1000, v4
	v_addc_co_u32_e32 v23, vcc, 0, v5, vcc
	global_load_dwordx2 v[22:23], v[22:23], off offset:512
.LBB89_23:
	s_or_b64 exec, exec, s[0:1]
	v_or_b32_e32 v1, 0x280, v0
	v_cmp_gt_u32_e32 vcc, s24, v1
	v_pk_mov_b32 v[24:25], s[2:3], s[2:3] op_sel:[0,1]
	s_and_saveexec_b64 s[0:1], vcc
	s_cbranch_execz .LBB89_25
; %bb.24:
	v_add_co_u32_e32 v24, vcc, 0x1000, v4
	v_addc_co_u32_e32 v25, vcc, 0, v5, vcc
	global_load_dwordx2 v[24:25], v[24:25], off offset:1024
.LBB89_25:
	;; [unrolled: 11-line block ×7, first 2 shown]
	s_or_b64 exec, exec, s[0:1]
	v_or_b32_e32 v1, 0x400, v0
	v_cmp_gt_u32_e32 vcc, s24, v1
	v_pk_mov_b32 v[36:37], s[2:3], s[2:3] op_sel:[0,1]
	s_and_saveexec_b64 s[0:1], vcc
	s_cbranch_execz .LBB89_37
; %bb.36:
	v_add_co_u32_e32 v36, vcc, 0x2000, v4
	v_addc_co_u32_e32 v37, vcc, 0, v5, vcc
	global_load_dwordx2 v[36:37], v[36:37], off
.LBB89_37:
	s_or_b64 exec, exec, s[0:1]
	v_or_b32_e32 v1, 0x440, v0
	v_cmp_gt_u32_e32 vcc, s24, v1
	v_pk_mov_b32 v[38:39], s[2:3], s[2:3] op_sel:[0,1]
	s_and_saveexec_b64 s[0:1], vcc
	s_cbranch_execz .LBB89_39
; %bb.38:
	v_add_co_u32_e32 v38, vcc, 0x2000, v4
	v_addc_co_u32_e32 v39, vcc, 0, v5, vcc
	global_load_dwordx2 v[38:39], v[38:39], off offset:512
.LBB89_39:
	s_or_b64 exec, exec, s[0:1]
	v_or_b32_e32 v1, 0x480, v0
	v_cmp_gt_u32_e32 vcc, s24, v1
	v_pk_mov_b32 v[40:41], s[2:3], s[2:3] op_sel:[0,1]
	s_and_saveexec_b64 s[0:1], vcc
	s_cbranch_execz .LBB89_41
; %bb.40:
	v_add_co_u32_e32 v40, vcc, 0x2000, v4
	v_addc_co_u32_e32 v41, vcc, 0, v5, vcc
	global_load_dwordx2 v[40:41], v[40:41], off offset:1024
.LBB89_41:
	;; [unrolled: 11-line block ×4, first 2 shown]
	s_or_b64 exec, exec, s[0:1]
	s_waitcnt vmcnt(0)
	ds_write2st64_b64 v58, v[2:3], v[6:7] offset1:1
	ds_write2st64_b64 v58, v[8:9], v[10:11] offset0:2 offset1:3
	ds_write2st64_b64 v58, v[12:13], v[14:15] offset0:4 offset1:5
	;; [unrolled: 1-line block ×9, first 2 shown]
	ds_write_b64 v58, v[44:45] offset:10240
	s_waitcnt lgkmcnt(0)
	; wave barrier
.LBB89_46:
	v_mul_u32_u24_e32 v59, 21, v0
	v_lshlrev_b32_e32 v1, 3, v59
	s_waitcnt lgkmcnt(0)
	ds_read2_b64 v[38:41], v1 offset1:1
	ds_read2_b64 v[34:37], v1 offset0:2 offset1:3
	ds_read2_b64 v[30:33], v1 offset0:4 offset1:5
	;; [unrolled: 1-line block ×9, first 2 shown]
	ds_read_b64 v[50:51], v1 offset:160
	s_load_dwordx2 s[22:23], s[4:5], 0x28
	s_cmp_lg_u32 s6, 0
	v_mbcnt_lo_u32_b32 v60, -1, 0
	s_waitcnt lgkmcnt(0)
	; wave barrier
	s_waitcnt lgkmcnt(0)
	s_cbranch_scc0 .LBB89_71
; %bb.47:
	v_add_co_u32_e32 v1, vcc, v40, v38
	v_addc_co_u32_e32 v42, vcc, v41, v39, vcc
	v_add_co_u32_e32 v1, vcc, v1, v34
	v_addc_co_u32_e32 v42, vcc, v42, v35, vcc
	;; [unrolled: 2-line block ×20, first 2 shown]
	s_nop 0
	v_mov_b32_dpp v44, v42 row_shr:1 row_mask:0xf bank_mask:0xf
	v_add_co_u32_e32 v44, vcc, v42, v44
	v_addc_co_u32_e32 v46, vcc, 0, v43, vcc
	v_mbcnt_hi_u32_b32 v56, -1, v60
	v_mov_b32_dpp v45, v43 row_shr:1 row_mask:0xf bank_mask:0xf
	v_add_co_u32_e32 v47, vcc, 0, v44
	v_and_b32_e32 v1, 15, v56
	v_addc_co_u32_e32 v45, vcc, v45, v46, vcc
	v_cmp_eq_u32_e32 vcc, 0, v1
	v_cndmask_b32_e32 v44, v44, v42, vcc
	v_cndmask_b32_e32 v45, v45, v43, vcc
	v_cndmask_b32_e32 v46, v47, v42, vcc
	v_mov_b32_dpp v47, v44 row_shr:2 row_mask:0xf bank_mask:0xf
	v_mov_b32_dpp v48, v45 row_shr:2 row_mask:0xf bank_mask:0xf
	v_add_co_u32_e32 v47, vcc, v47, v46
	v_addc_co_u32_e32 v48, vcc, v48, v45, vcc
	v_cmp_lt_u32_e32 vcc, 1, v1
	v_cndmask_b32_e32 v44, v44, v47, vcc
	v_cndmask_b32_e32 v45, v45, v48, vcc
	v_cndmask_b32_e32 v46, v46, v47, vcc
	v_mov_b32_dpp v47, v44 row_shr:4 row_mask:0xf bank_mask:0xf
	v_mov_b32_dpp v48, v45 row_shr:4 row_mask:0xf bank_mask:0xf
	v_add_co_u32_e32 v47, vcc, v47, v46
	v_addc_co_u32_e32 v48, vcc, v48, v45, vcc
	v_cmp_lt_u32_e32 vcc, 3, v1
	;; [unrolled: 8-line block ×3, first 2 shown]
	v_cndmask_b32_e32 v49, v44, v47, vcc
	v_cndmask_b32_e32 v1, v45, v48, vcc
	;; [unrolled: 1-line block ×3, first 2 shown]
	v_mov_b32_dpp v45, v49 row_bcast:15 row_mask:0xf bank_mask:0xf
	v_mov_b32_dpp v46, v1 row_bcast:15 row_mask:0xf bank_mask:0xf
	v_add_co_u32_e32 v45, vcc, v45, v44
	v_and_b32_e32 v48, 16, v56
	v_addc_co_u32_e32 v47, vcc, v46, v1, vcc
	v_cmp_eq_u32_e32 vcc, 0, v48
	v_cndmask_b32_e32 v48, v47, v1, vcc
	v_cndmask_b32_e32 v46, v45, v49, vcc
	v_cmp_eq_u32_e64 s[0:1], 0, v56
	v_mov_b32_dpp v48, v48 row_bcast:31 row_mask:0xf bank_mask:0xf
	v_mov_b32_dpp v46, v46 row_bcast:31 row_mask:0xf bank_mask:0xf
	v_cmp_ne_u32_e64 s[2:3], 0, v56
	s_and_saveexec_b64 s[8:9], s[2:3]
; %bb.48:
	v_cndmask_b32_e32 v1, v47, v1, vcc
	v_cndmask_b32_e32 v42, v45, v44, vcc
	v_cmp_lt_u32_e32 vcc, 31, v56
	v_cndmask_b32_e32 v44, 0, v46, vcc
	v_cndmask_b32_e32 v43, 0, v48, vcc
	v_add_co_u32_e32 v42, vcc, v44, v42
	v_addc_co_u32_e32 v43, vcc, v43, v1, vcc
; %bb.49:
	s_or_b64 exec, exec, s[8:9]
	v_cmp_eq_u32_e32 vcc, 63, v0
	s_and_saveexec_b64 s[2:3], vcc
	s_cbranch_execz .LBB89_51
; %bb.50:
	v_mov_b32_e32 v1, 0
	ds_write_b64 v1, v[42:43]
.LBB89_51:
	s_or_b64 exec, exec, s[2:3]
	v_add_u32_e32 v1, -1, v56
	v_and_b32_e32 v44, 64, v56
	v_cmp_lt_i32_e32 vcc, v1, v44
	v_cndmask_b32_e32 v1, v1, v56, vcc
	v_lshlrev_b32_e32 v44, 2, v1
	ds_bpermute_b32 v1, v44, v42
	ds_bpermute_b32 v61, v44, v43
	v_cmp_gt_u32_e32 vcc, 64, v0
	s_waitcnt lgkmcnt(0)
	; wave barrier
	s_waitcnt lgkmcnt(0)
	s_and_saveexec_b64 s[10:11], vcc
	s_cbranch_execz .LBB89_70
; %bb.52:
	v_mov_b32_e32 v45, 0
	ds_read_b64 v[42:43], v45
	s_and_saveexec_b64 s[2:3], s[0:1]
	s_cbranch_execz .LBB89_54
; %bb.53:
	s_add_i32 s8, s6, 64
	s_mov_b32 s9, 0
	s_lshl_b64 s[8:9], s[8:9], 4
	s_add_u32 s8, s22, s8
	s_addc_u32 s9, s23, s9
	v_mov_b32_e32 v44, 1
	v_pk_mov_b32 v[46:47], s[8:9], s[8:9] op_sel:[0,1]
	s_waitcnt lgkmcnt(0)
	;;#ASMSTART
	global_store_dwordx4 v[46:47], v[42:45] off	
s_waitcnt vmcnt(0)
	;;#ASMEND
.LBB89_54:
	s_or_b64 exec, exec, s[2:3]
	v_xad_u32 v52, v56, -1, s6
	v_add_u32_e32 v44, 64, v52
	v_lshlrev_b64 v[46:47], 4, v[44:45]
	v_mov_b32_e32 v44, s23
	v_add_co_u32_e32 v54, vcc, s22, v46
	v_addc_co_u32_e32 v55, vcc, v44, v47, vcc
	;;#ASMSTART
	global_load_dwordx4 v[46:49], v[54:55] off glc	
s_waitcnt vmcnt(0)
	;;#ASMEND
	v_cmp_eq_u16_sdwa s[8:9], v48, v45 src0_sel:BYTE_0 src1_sel:DWORD
	s_and_saveexec_b64 s[2:3], s[8:9]
	s_cbranch_execz .LBB89_58
; %bb.55:
	s_mov_b64 s[8:9], 0
	v_mov_b32_e32 v44, 0
.LBB89_56:                              ; =>This Inner Loop Header: Depth=1
	;;#ASMSTART
	global_load_dwordx4 v[46:49], v[54:55] off glc	
s_waitcnt vmcnt(0)
	;;#ASMEND
	v_cmp_ne_u16_sdwa s[26:27], v48, v44 src0_sel:BYTE_0 src1_sel:DWORD
	s_or_b64 s[8:9], s[26:27], s[8:9]
	s_andn2_b64 exec, exec, s[8:9]
	s_cbranch_execnz .LBB89_56
; %bb.57:
	s_or_b64 exec, exec, s[8:9]
.LBB89_58:
	s_or_b64 exec, exec, s[2:3]
	v_mov_b32_e32 v62, 2
	v_cmp_eq_u16_sdwa s[2:3], v48, v62 src0_sel:BYTE_0 src1_sel:DWORD
	v_lshlrev_b64 v[44:45], v56, -1
	v_and_b32_e32 v49, s3, v45
	v_or_b32_e32 v49, 0x80000000, v49
	v_and_b32_e32 v53, s2, v44
	v_ffbl_b32_e32 v49, v49
	v_and_b32_e32 v54, 63, v56
	v_add_u32_e32 v49, 32, v49
	v_ffbl_b32_e32 v53, v53
	v_cmp_ne_u32_e32 vcc, 63, v54
	v_min_u32_e32 v49, v53, v49
	v_addc_co_u32_e32 v53, vcc, 0, v56, vcc
	v_lshlrev_b32_e32 v63, 2, v53
	ds_bpermute_b32 v55, v63, v46
	ds_bpermute_b32 v57, v63, v47
	v_cmp_gt_u32_e64 s[2:3], 62, v54
	v_add_u32_e32 v64, 1, v56
	v_cmp_gt_u32_e64 s[8:9], 60, v54
	s_waitcnt lgkmcnt(1)
	v_add_co_u32_e32 v55, vcc, v46, v55
	v_addc_co_u32_e32 v65, vcc, 0, v47, vcc
	v_add_co_u32_e32 v66, vcc, 0, v55
	s_waitcnt lgkmcnt(0)
	v_addc_co_u32_e32 v57, vcc, v57, v65, vcc
	v_cndmask_b32_e64 v65, 0, 1, s[2:3]
	v_cmp_le_u32_e32 vcc, v64, v49
	v_lshlrev_b32_e32 v65, 1, v65
	v_cndmask_b32_e32 v55, v46, v55, vcc
	v_add_lshl_u32 v65, v65, v56, 2
	v_cndmask_b32_e32 v57, v47, v57, vcc
	ds_bpermute_b32 v67, v65, v55
	ds_bpermute_b32 v69, v65, v57
	v_cndmask_b32_e32 v68, v46, v66, vcc
	v_add_u32_e32 v66, 2, v56
	v_mov_b32_e32 v53, 0
	s_waitcnt lgkmcnt(1)
	v_add_co_u32_e64 v67, s[2:3], v67, v68
	s_waitcnt lgkmcnt(0)
	v_addc_co_u32_e64 v69, s[2:3], v69, v57, s[2:3]
	v_cmp_le_u32_e64 s[2:3], v66, v49
	v_cndmask_b32_e64 v55, v55, v67, s[2:3]
	v_cndmask_b32_e64 v57, v57, v69, s[2:3]
	;; [unrolled: 1-line block ×4, first 2 shown]
	v_lshlrev_b32_e32 v67, 2, v67
	v_add_lshl_u32 v67, v67, v56, 2
	ds_bpermute_b32 v70, v67, v55
	ds_bpermute_b32 v71, v67, v57
	s_or_b64 s[8:9], vcc, s[2:3]
	v_add_u32_e32 v68, 4, v56
	v_cmp_gt_u32_e64 s[2:3], 56, v54
	s_waitcnt lgkmcnt(1)
	v_add_co_u32_e32 v70, vcc, v70, v69
	s_waitcnt lgkmcnt(0)
	v_addc_co_u32_e32 v71, vcc, v71, v57, vcc
	v_cmp_le_u32_e32 vcc, v68, v49
	v_cndmask_b32_e32 v57, v57, v71, vcc
	v_cndmask_b32_e32 v71, v69, v70, vcc
	v_cndmask_b32_e64 v69, 0, 1, s[2:3]
	v_lshlrev_b32_e32 v69, 3, v69
	v_cndmask_b32_e32 v55, v55, v70, vcc
	v_add_lshl_u32 v69, v69, v56, 2
	ds_bpermute_b32 v72, v69, v55
	ds_bpermute_b32 v73, v69, v57
	s_or_b64 s[8:9], vcc, s[8:9]
	v_add_u32_e32 v70, 8, v56
	v_cmp_gt_u32_e64 s[2:3], 48, v54
	s_waitcnt lgkmcnt(1)
	v_add_co_u32_e32 v72, vcc, v72, v71
	s_waitcnt lgkmcnt(0)
	v_addc_co_u32_e32 v73, vcc, v73, v57, vcc
	v_cmp_le_u32_e32 vcc, v70, v49
	v_cndmask_b32_e32 v75, v71, v72, vcc
	v_cndmask_b32_e64 v71, 0, 1, s[2:3]
	v_lshlrev_b32_e32 v71, 4, v71
	v_cndmask_b32_e32 v55, v55, v72, vcc
	v_add_lshl_u32 v71, v71, v56, 2
	v_cndmask_b32_e32 v57, v57, v73, vcc
	ds_bpermute_b32 v73, v71, v55
	ds_bpermute_b32 v74, v71, v57
	s_or_b64 s[2:3], vcc, s[8:9]
	v_add_u32_e32 v72, 16, v56
	s_waitcnt lgkmcnt(1)
	v_add_co_u32_e32 v76, vcc, v73, v75
	s_waitcnt lgkmcnt(0)
	v_addc_co_u32_e32 v74, vcc, v74, v57, vcc
	v_cmp_le_u32_e32 vcc, v72, v49
	s_or_b64 s[8:9], vcc, s[2:3]
	v_cmp_gt_u32_e64 s[2:3], 32, v54
	v_cndmask_b32_e64 v54, 0, 1, s[2:3]
	v_lshlrev_b32_e32 v54, 5, v54
	v_cndmask_b32_e32 v55, v55, v76, vcc
	v_add_lshl_u32 v73, v54, v56, 2
	v_cndmask_b32_e32 v54, v57, v74, vcc
	ds_bpermute_b32 v55, v73, v55
	ds_bpermute_b32 v57, v73, v54
	v_add_u32_e32 v74, 32, v56
	v_cndmask_b32_e32 v56, v75, v76, vcc
	v_cmp_le_u32_e32 vcc, v74, v49
	s_waitcnt lgkmcnt(1)
	v_cndmask_b32_e32 v55, 0, v55, vcc
	s_waitcnt lgkmcnt(0)
	v_cndmask_b32_e32 v49, 0, v57, vcc
	v_add_co_u32_e64 v55, s[2:3], v55, v56
	v_addc_co_u32_e64 v49, s[2:3], v49, v54, s[2:3]
	s_or_b64 vcc, vcc, s[8:9]
	v_cndmask_b32_e32 v47, v47, v49, vcc
	v_cndmask_b32_e32 v46, v46, v55, vcc
	s_branch .LBB89_60
.LBB89_59:                              ;   in Loop: Header=BB89_60 Depth=1
	s_or_b64 exec, exec, s[2:3]
	v_cmp_eq_u16_sdwa s[2:3], v48, v62 src0_sel:BYTE_0 src1_sel:DWORD
	v_and_b32_e32 v49, s3, v45
	v_or_b32_e32 v49, 0x80000000, v49
	ds_bpermute_b32 v57, v63, v46
	v_and_b32_e32 v56, s2, v44
	v_ffbl_b32_e32 v49, v49
	v_add_u32_e32 v49, 32, v49
	v_ffbl_b32_e32 v56, v56
	v_min_u32_e32 v49, v56, v49
	ds_bpermute_b32 v56, v63, v47
	s_waitcnt lgkmcnt(1)
	v_add_co_u32_e32 v57, vcc, v46, v57
	v_addc_co_u32_e32 v75, vcc, 0, v47, vcc
	v_add_co_u32_e32 v76, vcc, 0, v57
	s_waitcnt lgkmcnt(0)
	v_addc_co_u32_e32 v56, vcc, v56, v75, vcc
	v_cmp_le_u32_e32 vcc, v64, v49
	v_cndmask_b32_e32 v57, v46, v57, vcc
	ds_bpermute_b32 v75, v65, v57
	v_cndmask_b32_e32 v56, v47, v56, vcc
	ds_bpermute_b32 v77, v65, v56
	v_cndmask_b32_e32 v76, v46, v76, vcc
	v_subrev_u32_e32 v52, 64, v52
	s_waitcnt lgkmcnt(1)
	v_add_co_u32_e64 v75, s[2:3], v75, v76
	s_waitcnt lgkmcnt(0)
	v_addc_co_u32_e64 v77, s[2:3], v77, v56, s[2:3]
	v_cmp_le_u32_e64 s[2:3], v66, v49
	v_cndmask_b32_e64 v57, v57, v75, s[2:3]
	v_cndmask_b32_e64 v56, v56, v77, s[2:3]
	ds_bpermute_b32 v77, v67, v57
	v_cndmask_b32_e64 v75, v76, v75, s[2:3]
	ds_bpermute_b32 v76, v67, v56
	s_or_b64 s[2:3], vcc, s[2:3]
	s_waitcnt lgkmcnt(1)
	v_add_co_u32_e32 v77, vcc, v77, v75
	s_waitcnt lgkmcnt(0)
	v_addc_co_u32_e32 v76, vcc, v76, v56, vcc
	v_cmp_le_u32_e32 vcc, v68, v49
	v_cndmask_b32_e32 v57, v57, v77, vcc
	v_cndmask_b32_e32 v56, v56, v76, vcc
	ds_bpermute_b32 v76, v69, v57
	v_cndmask_b32_e32 v75, v75, v77, vcc
	ds_bpermute_b32 v77, v69, v56
	s_or_b64 s[2:3], vcc, s[2:3]
	s_waitcnt lgkmcnt(1)
	v_add_co_u32_e32 v76, vcc, v76, v75
	s_waitcnt lgkmcnt(0)
	v_addc_co_u32_e32 v77, vcc, v77, v56, vcc
	v_cmp_le_u32_e32 vcc, v70, v49
	v_cndmask_b32_e32 v57, v57, v76, vcc
	v_cndmask_b32_e32 v56, v56, v77, vcc
	ds_bpermute_b32 v77, v71, v57
	v_cndmask_b32_e32 v75, v75, v76, vcc
	ds_bpermute_b32 v76, v71, v56
	s_or_b64 s[2:3], vcc, s[2:3]
	s_waitcnt lgkmcnt(1)
	v_add_co_u32_e32 v77, vcc, v77, v75
	s_waitcnt lgkmcnt(0)
	v_addc_co_u32_e32 v76, vcc, v76, v56, vcc
	v_cmp_le_u32_e32 vcc, v72, v49
	v_cndmask_b32_e32 v57, v57, v77, vcc
	v_cndmask_b32_e32 v56, v56, v76, vcc
	ds_bpermute_b32 v57, v73, v57
	ds_bpermute_b32 v76, v73, v56
	s_or_b64 s[8:9], vcc, s[2:3]
	v_cndmask_b32_e32 v75, v75, v77, vcc
	v_cmp_le_u32_e32 vcc, v74, v49
	s_waitcnt lgkmcnt(1)
	v_cndmask_b32_e32 v57, 0, v57, vcc
	s_waitcnt lgkmcnt(0)
	v_cndmask_b32_e32 v49, 0, v76, vcc
	v_add_co_u32_e64 v57, s[2:3], v57, v75
	s_or_b64 vcc, vcc, s[8:9]
	v_addc_co_u32_e64 v49, s[2:3], v49, v56, s[2:3]
	v_cndmask_b32_e32 v46, v46, v57, vcc
	v_cndmask_b32_e32 v47, v47, v49, vcc
	v_add_co_u32_e32 v46, vcc, v46, v54
	v_addc_co_u32_e32 v47, vcc, v47, v55, vcc
.LBB89_60:                              ; =>This Loop Header: Depth=1
                                        ;     Child Loop BB89_63 Depth 2
	v_cmp_ne_u16_sdwa s[2:3], v48, v62 src0_sel:BYTE_0 src1_sel:DWORD
	v_cndmask_b32_e64 v48, 0, 1, s[2:3]
	;;#ASMSTART
	;;#ASMEND
	v_cmp_ne_u32_e32 vcc, 0, v48
	s_cmp_lg_u64 vcc, exec
	v_pk_mov_b32 v[54:55], v[46:47], v[46:47] op_sel:[0,1]
	s_cbranch_scc1 .LBB89_65
; %bb.61:                               ;   in Loop: Header=BB89_60 Depth=1
	v_lshlrev_b64 v[46:47], 4, v[52:53]
	v_mov_b32_e32 v48, s23
	v_add_co_u32_e32 v56, vcc, s22, v46
	v_addc_co_u32_e32 v57, vcc, v48, v47, vcc
	;;#ASMSTART
	global_load_dwordx4 v[46:49], v[56:57] off glc	
s_waitcnt vmcnt(0)
	;;#ASMEND
	v_cmp_eq_u16_sdwa s[8:9], v48, v53 src0_sel:BYTE_0 src1_sel:DWORD
	s_and_saveexec_b64 s[2:3], s[8:9]
	s_cbranch_execz .LBB89_59
; %bb.62:                               ;   in Loop: Header=BB89_60 Depth=1
	s_mov_b64 s[8:9], 0
.LBB89_63:                              ;   Parent Loop BB89_60 Depth=1
                                        ; =>  This Inner Loop Header: Depth=2
	;;#ASMSTART
	global_load_dwordx4 v[46:49], v[56:57] off glc	
s_waitcnt vmcnt(0)
	;;#ASMEND
	v_cmp_ne_u16_sdwa s[26:27], v48, v53 src0_sel:BYTE_0 src1_sel:DWORD
	s_or_b64 s[8:9], s[26:27], s[8:9]
	s_andn2_b64 exec, exec, s[8:9]
	s_cbranch_execnz .LBB89_63
; %bb.64:                               ;   in Loop: Header=BB89_60 Depth=1
	s_or_b64 exec, exec, s[8:9]
	s_branch .LBB89_59
.LBB89_65:                              ;   in Loop: Header=BB89_60 Depth=1
                                        ; implicit-def: $vgpr46_vgpr47
                                        ; implicit-def: $vgpr48
	s_cbranch_execz .LBB89_60
; %bb.66:
	s_and_saveexec_b64 s[2:3], s[0:1]
	s_cbranch_execz .LBB89_68
; %bb.67:
	s_add_i32 s0, s6, 64
	s_mov_b32 s1, 0
	s_lshl_b64 s[0:1], s[0:1], 4
	s_add_u32 s0, s22, s0
	v_add_co_u32_e32 v42, vcc, v54, v42
	s_addc_u32 s1, s23, s1
	v_addc_co_u32_e32 v43, vcc, v55, v43, vcc
	v_mov_b32_e32 v44, 2
	v_mov_b32_e32 v45, 0
	v_pk_mov_b32 v[46:47], s[0:1], s[0:1] op_sel:[0,1]
	;;#ASMSTART
	global_store_dwordx4 v[46:47], v[42:45] off	
s_waitcnt vmcnt(0)
	;;#ASMEND
.LBB89_68:
	s_or_b64 exec, exec, s[2:3]
	v_cmp_eq_u32_e32 vcc, 0, v0
	s_and_b64 exec, exec, vcc
	s_cbranch_execz .LBB89_70
; %bb.69:
	v_mov_b32_e32 v42, 0
	ds_write_b64 v42, v[54:55]
.LBB89_70:
	s_or_b64 exec, exec, s[10:11]
	v_mov_b32_e32 v42, 0
	s_waitcnt lgkmcnt(0)
	; wave barrier
	s_waitcnt lgkmcnt(0)
	ds_read_b64 v[42:43], v42
	v_cmp_ne_u32_e32 vcc, 0, v0
	v_cndmask_b32_e32 v1, 0, v1, vcc
	v_cndmask_b32_e32 v44, 0, v61, vcc
	s_waitcnt lgkmcnt(0)
	v_add_co_u32_e32 v42, vcc, v42, v1
	v_addc_co_u32_e32 v43, vcc, v43, v44, vcc
	s_load_dwordx4 s[8:11], s[4:5], 0x38
	s_branch .LBB89_81
.LBB89_71:
                                        ; implicit-def: $vgpr42_vgpr43
	s_load_dwordx4 s[8:11], s[4:5], 0x38
	s_cbranch_execz .LBB89_81
; %bb.72:
	s_load_dword s0, s[4:5], 0x48
	s_waitcnt lgkmcnt(0)
	s_bitcmp0_b32 s0, 0
	s_cbranch_scc1 .LBB89_74
; %bb.73:
	s_add_u32 s0, s12, -8
	s_addc_u32 s1, s13, -1
	s_load_dwordx2 s[2:3], s[0:1], 0x0
	s_load_dwordx2 s[6:7], s[8:9], 0x0
	s_waitcnt lgkmcnt(0)
	s_add_u32 s18, s6, s2
	s_addc_u32 s19, s7, s3
.LBB89_74:
	v_add_co_u32_e32 v1, vcc, v40, v38
	v_addc_co_u32_e32 v42, vcc, v41, v39, vcc
	v_add_co_u32_e32 v1, vcc, v1, v34
	v_addc_co_u32_e32 v42, vcc, v42, v35, vcc
	v_add_co_u32_e32 v1, vcc, v1, v36
	v_addc_co_u32_e32 v42, vcc, v42, v37, vcc
	v_add_co_u32_e32 v1, vcc, v1, v30
	v_addc_co_u32_e32 v42, vcc, v42, v31, vcc
	v_add_co_u32_e32 v1, vcc, v1, v32
	v_addc_co_u32_e32 v42, vcc, v42, v33, vcc
	v_add_co_u32_e32 v1, vcc, v1, v26
	v_addc_co_u32_e32 v42, vcc, v42, v27, vcc
	v_add_co_u32_e32 v1, vcc, v1, v28
	v_addc_co_u32_e32 v42, vcc, v42, v29, vcc
	v_add_co_u32_e32 v1, vcc, v1, v22
	v_addc_co_u32_e32 v42, vcc, v42, v23, vcc
	v_add_co_u32_e32 v1, vcc, v1, v24
	v_addc_co_u32_e32 v42, vcc, v42, v25, vcc
	v_add_co_u32_e32 v1, vcc, v1, v18
	v_addc_co_u32_e32 v42, vcc, v42, v19, vcc
	v_add_co_u32_e32 v1, vcc, v1, v20
	v_addc_co_u32_e32 v42, vcc, v42, v21, vcc
	v_add_co_u32_e32 v1, vcc, v1, v14
	v_addc_co_u32_e32 v42, vcc, v42, v15, vcc
	v_add_co_u32_e32 v1, vcc, v1, v16
	v_addc_co_u32_e32 v42, vcc, v42, v17, vcc
	v_add_co_u32_e32 v1, vcc, v1, v10
	v_addc_co_u32_e32 v42, vcc, v42, v11, vcc
	v_add_co_u32_e32 v1, vcc, v1, v12
	v_addc_co_u32_e32 v42, vcc, v42, v13, vcc
	v_add_co_u32_e32 v1, vcc, v1, v6
	v_addc_co_u32_e32 v42, vcc, v42, v7, vcc
	v_add_co_u32_e32 v1, vcc, v1, v8
	v_addc_co_u32_e32 v42, vcc, v42, v9, vcc
	v_add_co_u32_e32 v1, vcc, v1, v2
	v_addc_co_u32_e32 v42, vcc, v42, v3, vcc
	v_add_co_u32_e32 v1, vcc, v1, v4
	v_addc_co_u32_e32 v43, vcc, v42, v5, vcc
	v_add_co_u32_e32 v42, vcc, v1, v50
	v_addc_co_u32_e32 v43, vcc, v43, v51, vcc
	s_nop 0
	v_mov_b32_dpp v44, v42 row_shr:1 row_mask:0xf bank_mask:0xf
	v_add_co_u32_e32 v44, vcc, v42, v44
	v_addc_co_u32_e32 v47, vcc, 0, v43, vcc
	v_mbcnt_hi_u32_b32 v45, -1, v60
	v_mov_b32_dpp v46, v43 row_shr:1 row_mask:0xf bank_mask:0xf
	v_add_co_u32_e32 v48, vcc, 0, v44
	v_and_b32_e32 v1, 15, v45
	v_addc_co_u32_e32 v46, vcc, v46, v47, vcc
	v_cmp_eq_u32_e32 vcc, 0, v1
	v_cndmask_b32_e32 v44, v44, v42, vcc
	v_cndmask_b32_e32 v46, v46, v43, vcc
	v_cndmask_b32_e32 v47, v48, v42, vcc
	v_mov_b32_dpp v48, v44 row_shr:2 row_mask:0xf bank_mask:0xf
	v_mov_b32_dpp v49, v46 row_shr:2 row_mask:0xf bank_mask:0xf
	v_add_co_u32_e32 v48, vcc, v48, v47
	v_addc_co_u32_e32 v49, vcc, v49, v46, vcc
	v_cmp_lt_u32_e32 vcc, 1, v1
	v_cndmask_b32_e32 v44, v44, v48, vcc
	v_cndmask_b32_e32 v46, v46, v49, vcc
	v_cndmask_b32_e32 v47, v47, v48, vcc
	v_mov_b32_dpp v48, v44 row_shr:4 row_mask:0xf bank_mask:0xf
	v_mov_b32_dpp v49, v46 row_shr:4 row_mask:0xf bank_mask:0xf
	v_add_co_u32_e32 v48, vcc, v48, v47
	v_addc_co_u32_e32 v49, vcc, v49, v46, vcc
	v_cmp_lt_u32_e32 vcc, 3, v1
	;; [unrolled: 8-line block ×3, first 2 shown]
	v_cndmask_b32_e32 v50, v44, v48, vcc
	v_cndmask_b32_e32 v1, v46, v49, vcc
	;; [unrolled: 1-line block ×3, first 2 shown]
	v_mov_b32_dpp v46, v50 row_bcast:15 row_mask:0xf bank_mask:0xf
	v_mov_b32_dpp v47, v1 row_bcast:15 row_mask:0xf bank_mask:0xf
	v_and_b32_e32 v49, 16, v45
	v_add_co_u32_e32 v46, vcc, v46, v44
	v_addc_co_u32_e32 v48, vcc, v47, v1, vcc
	v_cmp_eq_u32_e64 s[0:1], 0, v49
	v_cndmask_b32_e64 v49, v48, v1, s[0:1]
	v_cndmask_b32_e64 v47, v46, v50, s[0:1]
	v_cmp_eq_u32_e32 vcc, 0, v45
	v_mov_b32_dpp v49, v49 row_bcast:31 row_mask:0xf bank_mask:0xf
	v_mov_b32_dpp v47, v47 row_bcast:31 row_mask:0xf bank_mask:0xf
	v_cmp_ne_u32_e64 s[2:3], 0, v45
	s_and_saveexec_b64 s[6:7], s[2:3]
; %bb.75:
	v_cndmask_b32_e64 v1, v48, v1, s[0:1]
	v_cndmask_b32_e64 v42, v46, v44, s[0:1]
	v_cmp_lt_u32_e64 s[0:1], 31, v45
	v_cndmask_b32_e64 v44, 0, v47, s[0:1]
	v_cndmask_b32_e64 v43, 0, v49, s[0:1]
	v_add_co_u32_e64 v42, s[0:1], v44, v42
	v_addc_co_u32_e64 v43, s[0:1], v43, v1, s[0:1]
; %bb.76:
	s_or_b64 exec, exec, s[6:7]
	v_cmp_eq_u32_e64 s[0:1], 63, v0
	s_and_saveexec_b64 s[2:3], s[0:1]
	s_cbranch_execz .LBB89_78
; %bb.77:
	v_mov_b32_e32 v1, 0
	ds_write_b64 v1, v[42:43]
.LBB89_78:
	s_or_b64 exec, exec, s[2:3]
	v_mov_b32_e32 v1, s19
	v_add_co_u32_e64 v42, s[0:1], s18, v42
	v_addc_co_u32_e64 v1, s[0:1], v43, v1, s[0:1]
	v_add_u32_e32 v43, -1, v45
	v_and_b32_e32 v44, 64, v45
	v_cmp_lt_i32_e64 s[0:1], v43, v44
	v_cndmask_b32_e64 v43, v43, v45, s[0:1]
	v_lshlrev_b32_e32 v43, 2, v43
	ds_bpermute_b32 v1, v43, v1
	ds_bpermute_b32 v42, v43, v42
	v_cmp_eq_u32_e64 s[0:1], 0, v0
	v_mov_b32_e32 v43, s19
	s_or_b64 vcc, s[0:1], vcc
	s_waitcnt lgkmcnt(1)
	v_cndmask_b32_e32 v43, v1, v43, vcc
	v_mov_b32_e32 v1, s18
	s_waitcnt lgkmcnt(0)
	v_cndmask_b32_e32 v42, v42, v1, vcc
	s_waitcnt lgkmcnt(0)
	; wave barrier
	s_and_saveexec_b64 s[2:3], s[0:1]
	s_cbranch_execz .LBB89_80
; %bb.79:
	v_mov_b32_e32 v45, 0
	ds_read_b64 v[42:43], v45
	s_add_u32 s0, s22, 0x400
	v_mov_b32_e32 v1, s19
	s_addc_u32 s1, s23, 0
	v_mov_b32_e32 v44, 2
	s_waitcnt lgkmcnt(0)
	v_add_co_u32_e32 v42, vcc, s18, v42
	v_addc_co_u32_e32 v43, vcc, v43, v1, vcc
	v_pk_mov_b32 v[46:47], s[0:1], s[0:1] op_sel:[0,1]
	;;#ASMSTART
	global_store_dwordx4 v[46:47], v[42:45] off	
s_waitcnt vmcnt(0)
	;;#ASMEND
	v_pk_mov_b32 v[42:43], s[18:19], s[18:19] op_sel:[0,1]
.LBB89_80:
	s_or_b64 exec, exec, s[2:3]
.LBB89_81:
	v_add_co_u32_e32 v44, vcc, v42, v38
	v_addc_co_u32_e32 v45, vcc, v43, v39, vcc
	v_add_co_u32_e32 v38, vcc, v44, v40
	v_addc_co_u32_e32 v39, vcc, v45, v41, vcc
	;; [unrolled: 2-line block ×20, first 2 shown]
	s_add_u32 s0, s14, s20
	s_addc_u32 s1, s15, s21
	s_mov_b64 s[2:3], -1
	s_and_b64 vcc, exec, s[16:17]
	s_waitcnt lgkmcnt(0)
	; wave barrier
	s_waitcnt lgkmcnt(0)
	s_cbranch_vccz .LBB89_83
; %bb.82:
	v_mul_u32_u24_e32 v1, 0xa8, v0
	s_movk_i32 s2, 0xa8
	ds_write2_b64 v1, v[42:43], v[44:45] offset1:1
	ds_write2_b64 v1, v[38:39], v[40:41] offset0:2 offset1:3
	ds_write2_b64 v1, v[34:35], v[36:37] offset0:4 offset1:5
	;; [unrolled: 1-line block ×9, first 2 shown]
	ds_write_b64 v1, v[4:5] offset:160
	v_mul_i32_i24_e32 v1, 0xffffff60, v0
	v_mad_u32_u24 v1, v0, s2, v1
	s_waitcnt lgkmcnt(0)
	; wave barrier
	s_waitcnt lgkmcnt(0)
	ds_read2st64_b64 v[46:49], v1 offset1:1
	ds_read2st64_b64 v[50:53], v1 offset0:2 offset1:3
	ds_read2st64_b64 v[54:57], v1 offset0:4 offset1:5
	;; [unrolled: 1-line block ×9, first 2 shown]
	ds_read_b64 v[8:9], v1 offset:10240
	v_mov_b32_e32 v1, s1
	v_add_co_u32_e32 v88, vcc, s0, v58
	v_addc_co_u32_e32 v1, vcc, 0, v1, vcc
	s_movk_i32 s2, 0x1000
	s_waitcnt lgkmcnt(10)
	global_store_dwordx2 v58, v[46:47], s[0:1]
	global_store_dwordx2 v58, v[48:49], s[0:1] offset:512
	s_waitcnt lgkmcnt(9)
	global_store_dwordx2 v58, v[50:51], s[0:1] offset:1024
	global_store_dwordx2 v58, v[52:53], s[0:1] offset:1536
	s_waitcnt lgkmcnt(8)
	global_store_dwordx2 v58, v[54:55], s[0:1] offset:2048
	global_store_dwordx2 v58, v[56:57], s[0:1] offset:2560
	s_waitcnt lgkmcnt(7)
	global_store_dwordx2 v58, v[60:61], s[0:1] offset:3072
	global_store_dwordx2 v58, v[62:63], s[0:1] offset:3584
	v_add_co_u32_e32 v46, vcc, s2, v88
	v_addc_co_u32_e32 v47, vcc, 0, v1, vcc
	s_waitcnt lgkmcnt(6)
	global_store_dwordx2 v[46:47], v[64:65], off
	global_store_dwordx2 v[46:47], v[66:67], off offset:512
	s_waitcnt lgkmcnt(5)
	global_store_dwordx2 v[46:47], v[68:69], off offset:1024
	global_store_dwordx2 v[46:47], v[70:71], off offset:1536
	s_waitcnt lgkmcnt(4)
	global_store_dwordx2 v[46:47], v[72:73], off offset:2048
	;; [unrolled: 3-line block ×3, first 2 shown]
	global_store_dwordx2 v[46:47], v[78:79], off offset:3584
	v_add_co_u32_e32 v46, vcc, 0x2000, v88
	v_addc_co_u32_e32 v47, vcc, 0, v1, vcc
	s_waitcnt lgkmcnt(2)
	global_store_dwordx2 v[46:47], v[80:81], off
	global_store_dwordx2 v[46:47], v[82:83], off offset:512
	s_waitcnt lgkmcnt(1)
	global_store_dwordx2 v[46:47], v[84:85], off offset:1024
	global_store_dwordx2 v[46:47], v[86:87], off offset:1536
	s_waitcnt lgkmcnt(0)
	global_store_dwordx2 v[46:47], v[8:9], off offset:2048
	s_mov_b64 s[2:3], 0
.LBB89_83:
	s_andn2_b64 vcc, exec, s[2:3]
	s_cbranch_vccnz .LBB89_204
; %bb.84:
	v_mul_u32_u24_e32 v1, 0xa8, v0
	s_movk_i32 s2, 0xa8
	ds_write2_b64 v1, v[42:43], v[44:45] offset1:1
	ds_write2_b64 v1, v[38:39], v[40:41] offset0:2 offset1:3
	ds_write2_b64 v1, v[34:35], v[36:37] offset0:4 offset1:5
	;; [unrolled: 1-line block ×9, first 2 shown]
	ds_write_b64 v1, v[4:5] offset:160
	v_mul_i32_i24_e32 v2, 0xffffff60, v0
	v_mad_u32_u24 v42, v0, s2, v2
	s_waitcnt lgkmcnt(0)
	; wave barrier
	s_waitcnt lgkmcnt(0)
	ds_read2st64_b64 v[6:9], v42 offset1:1
	ds_read2st64_b64 v[10:13], v42 offset0:2 offset1:3
	ds_read2st64_b64 v[14:17], v42 offset0:4 offset1:5
	;; [unrolled: 1-line block ×9, first 2 shown]
	ds_read_b64 v[42:43], v42 offset:10240
	v_mov_b32_e32 v45, s1
	v_add_co_u32_e32 v44, vcc, s0, v58
	v_addc_co_u32_e32 v45, vcc, 0, v45, vcc
	v_mov_b32_e32 v1, 0
	v_cmp_gt_u32_e32 vcc, s24, v0
	s_and_saveexec_b64 s[0:1], vcc
	s_cbranch_execz .LBB89_86
; %bb.85:
	s_waitcnt lgkmcnt(10)
	global_store_dwordx2 v[44:45], v[6:7], off
.LBB89_86:
	s_or_b64 exec, exec, s[0:1]
	v_or_b32_e32 v46, 64, v0
	v_cmp_gt_u32_e32 vcc, s24, v46
	s_and_saveexec_b64 s[0:1], vcc
	s_cbranch_execz .LBB89_88
; %bb.87:
	s_waitcnt lgkmcnt(10)
	global_store_dwordx2 v[44:45], v[8:9], off offset:512
.LBB89_88:
	s_or_b64 exec, exec, s[0:1]
	v_or_b32_e32 v46, 0x80, v0
	v_cmp_gt_u32_e32 vcc, s24, v46
	s_and_saveexec_b64 s[0:1], vcc
	s_cbranch_execz .LBB89_90
; %bb.89:
	s_waitcnt lgkmcnt(9)
	global_store_dwordx2 v[44:45], v[10:11], off offset:1024
.LBB89_90:
	;; [unrolled: 9-line block ×7, first 2 shown]
	s_or_b64 exec, exec, s[0:1]
	v_or_b32_e32 v46, 0x200, v0
	v_cmp_gt_u32_e32 vcc, s24, v46
	s_and_saveexec_b64 s[0:1], vcc
	s_cbranch_execz .LBB89_102
; %bb.101:
	v_add_co_u32_e32 v46, vcc, 0x1000, v44
	v_addc_co_u32_e32 v47, vcc, 0, v45, vcc
	s_waitcnt lgkmcnt(6)
	global_store_dwordx2 v[46:47], v[18:19], off
.LBB89_102:
	s_or_b64 exec, exec, s[0:1]
	v_or_b32_e32 v46, 0x240, v0
	v_cmp_gt_u32_e32 vcc, s24, v46
	s_and_saveexec_b64 s[0:1], vcc
	s_cbranch_execz .LBB89_104
; %bb.103:
	v_add_co_u32_e32 v46, vcc, 0x1000, v44
	v_addc_co_u32_e32 v47, vcc, 0, v45, vcc
	s_waitcnt lgkmcnt(6)
	global_store_dwordx2 v[46:47], v[20:21], off offset:512
.LBB89_104:
	s_or_b64 exec, exec, s[0:1]
	v_or_b32_e32 v46, 0x280, v0
	v_cmp_gt_u32_e32 vcc, s24, v46
	s_and_saveexec_b64 s[0:1], vcc
	s_cbranch_execz .LBB89_106
; %bb.105:
	v_add_co_u32_e32 v46, vcc, 0x1000, v44
	v_addc_co_u32_e32 v47, vcc, 0, v45, vcc
	s_waitcnt lgkmcnt(5)
	global_store_dwordx2 v[46:47], v[2:3], off offset:1024
.LBB89_106:
	;; [unrolled: 11-line block ×7, first 2 shown]
	s_or_b64 exec, exec, s[0:1]
	v_or_b32_e32 v46, 0x400, v0
	v_cmp_gt_u32_e32 vcc, s24, v46
	s_and_saveexec_b64 s[0:1], vcc
	s_cbranch_execz .LBB89_118
; %bb.117:
	v_add_co_u32_e32 v46, vcc, 0x2000, v44
	v_addc_co_u32_e32 v47, vcc, 0, v45, vcc
	s_waitcnt lgkmcnt(2)
	global_store_dwordx2 v[46:47], v[38:39], off
.LBB89_118:
	s_or_b64 exec, exec, s[0:1]
	v_or_b32_e32 v46, 0x440, v0
	v_cmp_gt_u32_e32 vcc, s24, v46
	s_and_saveexec_b64 s[0:1], vcc
	s_cbranch_execz .LBB89_120
; %bb.119:
	v_add_co_u32_e32 v46, vcc, 0x2000, v44
	v_addc_co_u32_e32 v47, vcc, 0, v45, vcc
	s_waitcnt lgkmcnt(2)
	global_store_dwordx2 v[46:47], v[40:41], off offset:512
.LBB89_120:
	s_or_b64 exec, exec, s[0:1]
	v_or_b32_e32 v46, 0x480, v0
	v_cmp_gt_u32_e32 vcc, s24, v46
	s_and_saveexec_b64 s[0:1], vcc
	s_cbranch_execz .LBB89_122
; %bb.121:
	v_add_co_u32_e32 v46, vcc, 0x2000, v44
	v_addc_co_u32_e32 v47, vcc, 0, v45, vcc
	s_waitcnt lgkmcnt(1)
	global_store_dwordx2 v[46:47], v[34:35], off offset:1024
.LBB89_122:
	;; [unrolled: 11-line block ×4, first 2 shown]
	s_or_b64 exec, exec, s[0:1]
	s_load_dword s0, s[4:5], 0x48
	s_waitcnt lgkmcnt(0)
	s_bfe_u32 s0, s0, 0x10008
	s_cmp_eq_u32 s0, 0
	s_cbranch_scc1 .LBB89_204
; %bb.127:
	s_add_u32 s0, s24, -1
	s_addc_u32 s1, s25, -1
	s_add_u32 s2, 0, 0x30c26c00
	s_addc_u32 s3, 0, 44
	s_add_i32 s3, s3, 0xc30c2e0
	s_mul_hi_u32 s7, s2, 0xffffffeb
	s_sub_i32 s7, s7, s2
	s_mul_i32 s8, s3, 0xffffffeb
	s_mul_i32 s4, s2, 0xffffffeb
	s_add_i32 s7, s7, s8
	s_mul_hi_u32 s5, s3, s4
	s_mul_i32 s6, s3, s4
	s_mul_i32 s9, s2, s7
	s_mul_hi_u32 s4, s2, s4
	s_mul_hi_u32 s8, s2, s7
	s_add_u32 s4, s4, s9
	s_addc_u32 s8, 0, s8
	s_add_u32 s4, s4, s6
	s_mul_hi_u32 s9, s3, s7
	s_addc_u32 s4, s8, s5
	s_addc_u32 s5, s9, 0
	s_mul_i32 s6, s3, s7
	s_add_u32 s4, s4, s6
	v_mov_b32_e32 v44, s4
	s_addc_u32 s5, 0, s5
	v_add_co_u32_e32 v44, vcc, s2, v44
	s_cmp_lg_u64 vcc, 0
	s_addc_u32 s2, s3, s5
	v_readfirstlane_b32 s5, v44
	s_mul_i32 s4, s0, s2
	s_mul_hi_u32 s6, s0, s5
	s_mul_hi_u32 s3, s0, s2
	s_add_u32 s4, s6, s4
	s_addc_u32 s3, 0, s3
	s_mul_hi_u32 s7, s1, s5
	s_mul_i32 s5, s1, s5
	s_add_u32 s4, s4, s5
	s_mul_hi_u32 s6, s1, s2
	s_addc_u32 s3, s3, s7
	s_addc_u32 s4, s6, 0
	s_mul_i32 s2, s1, s2
	s_add_u32 s2, s3, s2
	s_addc_u32 s3, 0, s4
	s_add_u32 s4, s2, 1
	s_addc_u32 s5, s3, 0
	s_add_u32 s6, s2, 2
	s_mul_i32 s8, s3, 21
	s_mul_hi_u32 s9, s2, 21
	s_addc_u32 s7, s3, 0
	s_add_i32 s9, s9, s8
	s_mul_i32 s8, s2, 21
	v_mov_b32_e32 v44, s8
	v_sub_co_u32_e32 v44, vcc, s0, v44
	s_cmp_lg_u64 vcc, 0
	s_subb_u32 s8, s1, s9
	v_subrev_co_u32_e32 v45, vcc, 21, v44
	s_cmp_lg_u64 vcc, 0
	s_subb_u32 s9, s8, 0
	v_readfirstlane_b32 s12, v45
	s_cmp_gt_u32 s12, 20
	s_cselect_b32 s12, -1, 0
	s_cmp_eq_u32 s9, 0
	s_cselect_b32 s9, s12, -1
	s_cmp_lg_u32 s9, 0
	s_cselect_b32 s4, s6, s4
	v_readfirstlane_b32 s6, v44
	s_cselect_b32 s5, s7, s5
	s_cmp_gt_u32 s6, 20
	s_cselect_b32 s6, -1, 0
	s_cmp_eq_u32 s8, 0
	s_cselect_b32 s6, s6, -1
	s_cmp_lg_u32 s6, 0
	s_cselect_b32 s3, s5, s3
	s_cselect_b32 s2, s4, s2
	v_cmp_eq_u64_e32 vcc, s[2:3], v[0:1]
	s_and_saveexec_b64 s[2:3], vcc
	s_cbranch_execz .LBB89_204
; %bb.128:
	v_mul_hi_u32_u24_e32 v1, 21, v0
	v_mov_b32_e32 v44, s1
	v_sub_co_u32_e32 v0, vcc, s0, v59
	v_subb_co_u32_e32 v1, vcc, v44, v1, vcc
	v_cmp_lt_i64_e32 vcc, 10, v[0:1]
	s_and_saveexec_b64 s[0:1], vcc
	s_xor_b64 s[0:1], exec, s[0:1]
	s_cbranch_execz .LBB89_166
; %bb.129:
	v_cmp_lt_i64_e32 vcc, 15, v[0:1]
	s_and_saveexec_b64 s[2:3], vcc
	s_xor_b64 s[2:3], exec, s[2:3]
	s_cbranch_execz .LBB89_147
; %bb.130:
	;; [unrolled: 5-line block ×5, first 2 shown]
	v_mov_b32_e32 v0, 0
	global_store_dwordx2 v0, v[42:43], s[10:11]
                                        ; implicit-def: $vgpr34_vgpr35_vgpr36_vgpr37
.LBB89_134:
	s_andn2_saveexec_b64 s[8:9], s[8:9]
	s_cbranch_execz .LBB89_136
; %bb.135:
	v_mov_b32_e32 v0, 0
	global_store_dwordx2 v0, v[36:37], s[10:11]
.LBB89_136:
	s_or_b64 exec, exec, s[8:9]
                                        ; implicit-def: $vgpr34_vgpr35_vgpr36_vgpr37
.LBB89_137:
	s_andn2_saveexec_b64 s[6:7], s[6:7]
	s_cbranch_execz .LBB89_139
; %bb.138:
	v_mov_b32_e32 v0, 0
	global_store_dwordx2 v0, v[34:35], s[10:11]
.LBB89_139:
	s_or_b64 exec, exec, s[6:7]
                                        ; implicit-def: $vgpr38_vgpr39_vgpr40_vgpr41
                                        ; implicit-def: $vgpr0_vgpr1
.LBB89_140:
	s_andn2_saveexec_b64 s[4:5], s[4:5]
	s_cbranch_execz .LBB89_146
; %bb.141:
	v_cmp_lt_i64_e32 vcc, 16, v[0:1]
	s_and_saveexec_b64 s[6:7], vcc
	s_xor_b64 s[6:7], exec, s[6:7]
	s_cbranch_execz .LBB89_143
; %bb.142:
	v_mov_b32_e32 v0, 0
	global_store_dwordx2 v0, v[40:41], s[10:11]
                                        ; implicit-def: $vgpr38_vgpr39_vgpr40_vgpr41
.LBB89_143:
	s_andn2_saveexec_b64 s[6:7], s[6:7]
	s_cbranch_execz .LBB89_145
; %bb.144:
	v_mov_b32_e32 v0, 0
	global_store_dwordx2 v0, v[38:39], s[10:11]
.LBB89_145:
	s_or_b64 exec, exec, s[6:7]
.LBB89_146:
	s_or_b64 exec, exec, s[4:5]
                                        ; implicit-def: $vgpr0_vgpr1
                                        ; implicit-def: $vgpr2_vgpr3_vgpr4_vgpr5
                                        ; implicit-def: $vgpr22_vgpr23_vgpr24_vgpr25
                                        ; implicit-def: $vgpr30_vgpr31_vgpr32_vgpr33
.LBB89_147:
	s_andn2_saveexec_b64 s[2:3], s[2:3]
	s_cbranch_execz .LBB89_165
; %bb.148:
	v_cmp_lt_i64_e32 vcc, 12, v[0:1]
	s_and_saveexec_b64 s[4:5], vcc
	s_xor_b64 s[4:5], exec, s[4:5]
	s_cbranch_execz .LBB89_158
; %bb.149:
	v_cmp_lt_i64_e32 vcc, 13, v[0:1]
	s_and_saveexec_b64 s[6:7], vcc
	s_xor_b64 s[6:7], exec, s[6:7]
	;; [unrolled: 5-line block ×3, first 2 shown]
	s_cbranch_execz .LBB89_152
; %bb.151:
	v_mov_b32_e32 v0, 0
	global_store_dwordx2 v0, v[32:33], s[10:11]
                                        ; implicit-def: $vgpr30_vgpr31_vgpr32_vgpr33
.LBB89_152:
	s_andn2_saveexec_b64 s[8:9], s[8:9]
	s_cbranch_execz .LBB89_154
; %bb.153:
	v_mov_b32_e32 v0, 0
	global_store_dwordx2 v0, v[30:31], s[10:11]
.LBB89_154:
	s_or_b64 exec, exec, s[8:9]
                                        ; implicit-def: $vgpr22_vgpr23_vgpr24_vgpr25
.LBB89_155:
	s_andn2_saveexec_b64 s[6:7], s[6:7]
	s_cbranch_execz .LBB89_157
; %bb.156:
	v_mov_b32_e32 v0, 0
	global_store_dwordx2 v0, v[24:25], s[10:11]
.LBB89_157:
	s_or_b64 exec, exec, s[6:7]
                                        ; implicit-def: $vgpr2_vgpr3_vgpr4_vgpr5
                                        ; implicit-def: $vgpr0_vgpr1
                                        ; implicit-def: $vgpr22_vgpr23_vgpr24_vgpr25
.LBB89_158:
	s_andn2_saveexec_b64 s[4:5], s[4:5]
	s_cbranch_execz .LBB89_164
; %bb.159:
	v_cmp_lt_i64_e32 vcc, 11, v[0:1]
	s_and_saveexec_b64 s[6:7], vcc
	s_xor_b64 s[6:7], exec, s[6:7]
	s_cbranch_execz .LBB89_161
; %bb.160:
	v_mov_b32_e32 v0, 0
	global_store_dwordx2 v0, v[22:23], s[10:11]
                                        ; implicit-def: $vgpr2_vgpr3_vgpr4_vgpr5
.LBB89_161:
	s_andn2_saveexec_b64 s[6:7], s[6:7]
	s_cbranch_execz .LBB89_163
; %bb.162:
	v_mov_b32_e32 v0, 0
	global_store_dwordx2 v0, v[4:5], s[10:11]
.LBB89_163:
	s_or_b64 exec, exec, s[6:7]
.LBB89_164:
	s_or_b64 exec, exec, s[4:5]
.LBB89_165:
	s_or_b64 exec, exec, s[2:3]
                                        ; implicit-def: $vgpr0_vgpr1
                                        ; implicit-def: $vgpr26_vgpr27_vgpr28_vgpr29
                                        ; implicit-def: $vgpr10_vgpr11_vgpr12_vgpr13
                                        ; implicit-def: $vgpr6_vgpr7_vgpr8_vgpr9
                                        ; implicit-def: $vgpr18_vgpr19_vgpr20_vgpr21
                                        ; implicit-def: $vgpr14_vgpr15_vgpr16_vgpr17
                                        ; implicit-def: $vgpr2_vgpr3_vgpr4_vgpr5
.LBB89_166:
	s_andn2_saveexec_b64 s[0:1], s[0:1]
	s_cbranch_execz .LBB89_204
; %bb.167:
	v_cmp_lt_i64_e32 vcc, 5, v[0:1]
	s_and_saveexec_b64 s[0:1], vcc
	s_xor_b64 s[0:1], exec, s[0:1]
	s_cbranch_execz .LBB89_185
; %bb.168:
	v_cmp_lt_i64_e32 vcc, 7, v[0:1]
	s_and_saveexec_b64 s[2:3], vcc
	s_xor_b64 s[2:3], exec, s[2:3]
	s_cbranch_execz .LBB89_178
; %bb.169:
	v_cmp_lt_i64_e32 vcc, 8, v[0:1]
	s_and_saveexec_b64 s[4:5], vcc
	s_xor_b64 s[4:5], exec, s[4:5]
	s_cbranch_execz .LBB89_175
; %bb.170:
	v_cmp_lt_i64_e32 vcc, 9, v[0:1]
	s_and_saveexec_b64 s[6:7], vcc
	s_xor_b64 s[6:7], exec, s[6:7]
	s_cbranch_execz .LBB89_172
; %bb.171:
	v_mov_b32_e32 v0, 0
	global_store_dwordx2 v0, v[2:3], s[10:11]
                                        ; implicit-def: $vgpr18_vgpr19_vgpr20_vgpr21
.LBB89_172:
	s_andn2_saveexec_b64 s[6:7], s[6:7]
	s_cbranch_execz .LBB89_174
; %bb.173:
	v_mov_b32_e32 v0, 0
	global_store_dwordx2 v0, v[20:21], s[10:11]
.LBB89_174:
	s_or_b64 exec, exec, s[6:7]
                                        ; implicit-def: $vgpr18_vgpr19_vgpr20_vgpr21
.LBB89_175:
	s_andn2_saveexec_b64 s[4:5], s[4:5]
	s_cbranch_execz .LBB89_177
; %bb.176:
	v_mov_b32_e32 v0, 0
	global_store_dwordx2 v0, v[18:19], s[10:11]
.LBB89_177:
	s_or_b64 exec, exec, s[4:5]
                                        ; implicit-def: $vgpr26_vgpr27_vgpr28_vgpr29
                                        ; implicit-def: $vgpr0_vgpr1
.LBB89_178:
	s_andn2_saveexec_b64 s[2:3], s[2:3]
	s_cbranch_execz .LBB89_184
; %bb.179:
	v_cmp_lt_i64_e32 vcc, 6, v[0:1]
	s_and_saveexec_b64 s[4:5], vcc
	s_xor_b64 s[4:5], exec, s[4:5]
	s_cbranch_execz .LBB89_181
; %bb.180:
	v_mov_b32_e32 v0, 0
	global_store_dwordx2 v0, v[28:29], s[10:11]
                                        ; implicit-def: $vgpr26_vgpr27_vgpr28_vgpr29
.LBB89_181:
	s_andn2_saveexec_b64 s[4:5], s[4:5]
	s_cbranch_execz .LBB89_183
; %bb.182:
	v_mov_b32_e32 v0, 0
	global_store_dwordx2 v0, v[26:27], s[10:11]
.LBB89_183:
	s_or_b64 exec, exec, s[4:5]
.LBB89_184:
	s_or_b64 exec, exec, s[2:3]
                                        ; implicit-def: $vgpr0_vgpr1
                                        ; implicit-def: $vgpr10_vgpr11_vgpr12_vgpr13
                                        ; implicit-def: $vgpr6_vgpr7_vgpr8_vgpr9
                                        ; implicit-def: $vgpr14_vgpr15_vgpr16_vgpr17
.LBB89_185:
	s_andn2_saveexec_b64 s[0:1], s[0:1]
	s_cbranch_execz .LBB89_204
; %bb.186:
	v_cmp_lt_i64_e32 vcc, 2, v[0:1]
	s_and_saveexec_b64 s[0:1], vcc
	s_xor_b64 s[0:1], exec, s[0:1]
	s_cbranch_execz .LBB89_196
; %bb.187:
	v_cmp_lt_i64_e32 vcc, 3, v[0:1]
	s_and_saveexec_b64 s[2:3], vcc
	s_xor_b64 s[2:3], exec, s[2:3]
	s_cbranch_execz .LBB89_193
; %bb.188:
	v_cmp_lt_i64_e32 vcc, 4, v[0:1]
	s_and_saveexec_b64 s[4:5], vcc
	s_xor_b64 s[4:5], exec, s[4:5]
	s_cbranch_execz .LBB89_190
; %bb.189:
	v_mov_b32_e32 v0, 0
	global_store_dwordx2 v0, v[16:17], s[10:11]
                                        ; implicit-def: $vgpr14_vgpr15_vgpr16_vgpr17
.LBB89_190:
	s_andn2_saveexec_b64 s[4:5], s[4:5]
	s_cbranch_execz .LBB89_192
; %bb.191:
	v_mov_b32_e32 v0, 0
	global_store_dwordx2 v0, v[14:15], s[10:11]
.LBB89_192:
	s_or_b64 exec, exec, s[4:5]
                                        ; implicit-def: $vgpr10_vgpr11_vgpr12_vgpr13
.LBB89_193:
	s_andn2_saveexec_b64 s[2:3], s[2:3]
	s_cbranch_execz .LBB89_195
; %bb.194:
	v_mov_b32_e32 v0, 0
	global_store_dwordx2 v0, v[12:13], s[10:11]
.LBB89_195:
	s_or_b64 exec, exec, s[2:3]
                                        ; implicit-def: $vgpr0_vgpr1
                                        ; implicit-def: $vgpr10_vgpr11_vgpr12_vgpr13
                                        ; implicit-def: $vgpr6_vgpr7_vgpr8_vgpr9
.LBB89_196:
	s_andn2_saveexec_b64 s[0:1], s[0:1]
	s_cbranch_execz .LBB89_204
; %bb.197:
	v_cmp_lt_i64_e32 vcc, 1, v[0:1]
	s_and_saveexec_b64 s[0:1], vcc
	s_xor_b64 s[0:1], exec, s[0:1]
	s_cbranch_execz .LBB89_199
; %bb.198:
	v_mov_b32_e32 v0, 0
	global_store_dwordx2 v0, v[10:11], s[10:11]
                                        ; implicit-def: $vgpr6_vgpr7_vgpr8_vgpr9
                                        ; implicit-def: $vgpr0_vgpr1
.LBB89_199:
	s_andn2_saveexec_b64 s[0:1], s[0:1]
	s_cbranch_execz .LBB89_204
; %bb.200:
	v_cmp_ne_u64_e32 vcc, 1, v[0:1]
	s_and_saveexec_b64 s[0:1], vcc
	s_xor_b64 s[0:1], exec, s[0:1]
	s_cbranch_execz .LBB89_202
; %bb.201:
	v_mov_b32_e32 v0, 0
	global_store_dwordx2 v0, v[6:7], s[10:11]
                                        ; implicit-def: $vgpr6_vgpr7_vgpr8_vgpr9
.LBB89_202:
	s_andn2_saveexec_b64 s[0:1], s[0:1]
	s_cbranch_execz .LBB89_204
; %bb.203:
	v_mov_b32_e32 v0, 0
	global_store_dwordx2 v0, v[8:9], s[10:11]
.LBB89_204:
	s_endpgm
	.section	.rodata,"a",@progbits
	.p2align	6, 0x0
	.amdhsa_kernel _ZN7rocprim6detail20lookback_scan_kernelILNS0_25lookback_scan_determinismE0ELb1ENS0_19wrapped_scan_configINS_14default_configEmEEPmS6_N6hipcub3SumEmmNS0_19lookback_scan_stateImLb0ELb1EEEEEvT2_T3_mT5_T4_T7_jPT6_SH_bb
		.amdhsa_group_segment_fixed_size 10752
		.amdhsa_private_segment_fixed_size 0
		.amdhsa_kernarg_size 76
		.amdhsa_user_sgpr_count 6
		.amdhsa_user_sgpr_private_segment_buffer 1
		.amdhsa_user_sgpr_dispatch_ptr 0
		.amdhsa_user_sgpr_queue_ptr 0
		.amdhsa_user_sgpr_kernarg_segment_ptr 1
		.amdhsa_user_sgpr_dispatch_id 0
		.amdhsa_user_sgpr_flat_scratch_init 0
		.amdhsa_user_sgpr_kernarg_preload_length 0
		.amdhsa_user_sgpr_kernarg_preload_offset 0
		.amdhsa_user_sgpr_private_segment_size 0
		.amdhsa_uses_dynamic_stack 0
		.amdhsa_system_sgpr_private_segment_wavefront_offset 0
		.amdhsa_system_sgpr_workgroup_id_x 1
		.amdhsa_system_sgpr_workgroup_id_y 0
		.amdhsa_system_sgpr_workgroup_id_z 0
		.amdhsa_system_sgpr_workgroup_info 0
		.amdhsa_system_vgpr_workitem_id 0
		.amdhsa_next_free_vgpr 89
		.amdhsa_next_free_sgpr 28
		.amdhsa_accum_offset 92
		.amdhsa_reserve_vcc 1
		.amdhsa_reserve_flat_scratch 0
		.amdhsa_float_round_mode_32 0
		.amdhsa_float_round_mode_16_64 0
		.amdhsa_float_denorm_mode_32 3
		.amdhsa_float_denorm_mode_16_64 3
		.amdhsa_dx10_clamp 1
		.amdhsa_ieee_mode 1
		.amdhsa_fp16_overflow 0
		.amdhsa_tg_split 0
		.amdhsa_exception_fp_ieee_invalid_op 0
		.amdhsa_exception_fp_denorm_src 0
		.amdhsa_exception_fp_ieee_div_zero 0
		.amdhsa_exception_fp_ieee_overflow 0
		.amdhsa_exception_fp_ieee_underflow 0
		.amdhsa_exception_fp_ieee_inexact 0
		.amdhsa_exception_int_div_zero 0
	.end_amdhsa_kernel
	.section	.text._ZN7rocprim6detail20lookback_scan_kernelILNS0_25lookback_scan_determinismE0ELb1ENS0_19wrapped_scan_configINS_14default_configEmEEPmS6_N6hipcub3SumEmmNS0_19lookback_scan_stateImLb0ELb1EEEEEvT2_T3_mT5_T4_T7_jPT6_SH_bb,"axG",@progbits,_ZN7rocprim6detail20lookback_scan_kernelILNS0_25lookback_scan_determinismE0ELb1ENS0_19wrapped_scan_configINS_14default_configEmEEPmS6_N6hipcub3SumEmmNS0_19lookback_scan_stateImLb0ELb1EEEEEvT2_T3_mT5_T4_T7_jPT6_SH_bb,comdat
.Lfunc_end89:
	.size	_ZN7rocprim6detail20lookback_scan_kernelILNS0_25lookback_scan_determinismE0ELb1ENS0_19wrapped_scan_configINS_14default_configEmEEPmS6_N6hipcub3SumEmmNS0_19lookback_scan_stateImLb0ELb1EEEEEvT2_T3_mT5_T4_T7_jPT6_SH_bb, .Lfunc_end89-_ZN7rocprim6detail20lookback_scan_kernelILNS0_25lookback_scan_determinismE0ELb1ENS0_19wrapped_scan_configINS_14default_configEmEEPmS6_N6hipcub3SumEmmNS0_19lookback_scan_stateImLb0ELb1EEEEEvT2_T3_mT5_T4_T7_jPT6_SH_bb
                                        ; -- End function
	.section	.AMDGPU.csdata,"",@progbits
; Kernel info:
; codeLenInByte = 7440
; NumSgprs: 32
; NumVgprs: 89
; NumAgprs: 0
; TotalNumVgprs: 89
; ScratchSize: 0
; MemoryBound: 1
; FloatMode: 240
; IeeeMode: 1
; LDSByteSize: 10752 bytes/workgroup (compile time only)
; SGPRBlocks: 3
; VGPRBlocks: 11
; NumSGPRsForWavesPerEU: 32
; NumVGPRsForWavesPerEU: 89
; AccumOffset: 92
; Occupancy: 2
; WaveLimiterHint : 1
; COMPUTE_PGM_RSRC2:SCRATCH_EN: 0
; COMPUTE_PGM_RSRC2:USER_SGPR: 6
; COMPUTE_PGM_RSRC2:TRAP_HANDLER: 0
; COMPUTE_PGM_RSRC2:TGID_X_EN: 1
; COMPUTE_PGM_RSRC2:TGID_Y_EN: 0
; COMPUTE_PGM_RSRC2:TGID_Z_EN: 0
; COMPUTE_PGM_RSRC2:TIDIG_COMP_CNT: 0
; COMPUTE_PGM_RSRC3_GFX90A:ACCUM_OFFSET: 22
; COMPUTE_PGM_RSRC3_GFX90A:TG_SPLIT: 0
	.section	.text._ZN7rocprim6detail18single_scan_kernelILb1ENS0_19wrapped_scan_configINS_14default_configEmEEPmS5_N6hipcub3SumEmmEEvT1_mT4_T2_T3_,"axG",@progbits,_ZN7rocprim6detail18single_scan_kernelILb1ENS0_19wrapped_scan_configINS_14default_configEmEEPmS5_N6hipcub3SumEmmEEvT1_mT4_T2_T3_,comdat
	.protected	_ZN7rocprim6detail18single_scan_kernelILb1ENS0_19wrapped_scan_configINS_14default_configEmEEPmS5_N6hipcub3SumEmmEEvT1_mT4_T2_T3_ ; -- Begin function _ZN7rocprim6detail18single_scan_kernelILb1ENS0_19wrapped_scan_configINS_14default_configEmEEPmS5_N6hipcub3SumEmmEEvT1_mT4_T2_T3_
	.globl	_ZN7rocprim6detail18single_scan_kernelILb1ENS0_19wrapped_scan_configINS_14default_configEmEEPmS5_N6hipcub3SumEmmEEvT1_mT4_T2_T3_
	.p2align	8
	.type	_ZN7rocprim6detail18single_scan_kernelILb1ENS0_19wrapped_scan_configINS_14default_configEmEEPmS5_N6hipcub3SumEmmEEvT1_mT4_T2_T3_,@function
_ZN7rocprim6detail18single_scan_kernelILb1ENS0_19wrapped_scan_configINS_14default_configEmEEPmS5_N6hipcub3SumEmmEEvT1_mT4_T2_T3_: ; @_ZN7rocprim6detail18single_scan_kernelILb1ENS0_19wrapped_scan_configINS_14default_configEmEEPmS5_N6hipcub3SumEmmEEvT1_mT4_T2_T3_
; %bb.0:
	s_load_dwordx8 s[44:51], s[4:5], 0x0
	v_lshlrev_b32_e32 v46, 3, v0
	s_waitcnt lgkmcnt(0)
	s_load_dwordx2 s[52:53], s[44:45], 0x0
	v_mov_b32_e32 v1, s45
	v_add_co_u32_e32 v4, vcc, s44, v46
	v_addc_co_u32_e32 v5, vcc, 0, v1, vcc
	v_cmp_gt_u32_e64 s[0:1], s46, v0
	s_waitcnt lgkmcnt(0)
	v_pk_mov_b32 v[2:3], s[52:53], s[52:53] op_sel:[0,1]
	s_and_saveexec_b64 s[2:3], s[0:1]
	s_cbranch_execz .LBB90_2
; %bb.1:
	global_load_dwordx2 v[2:3], v[4:5], off
.LBB90_2:
	s_or_b64 exec, exec, s[2:3]
	v_or_b32_e32 v1, 64, v0
	v_cmp_gt_u32_e64 s[2:3], s46, v1
	v_pk_mov_b32 v[6:7], s[52:53], s[52:53] op_sel:[0,1]
	s_and_saveexec_b64 s[4:5], s[2:3]
	s_cbranch_execz .LBB90_4
; %bb.3:
	global_load_dwordx2 v[6:7], v[4:5], off offset:512
.LBB90_4:
	s_or_b64 exec, exec, s[4:5]
	v_or_b32_e32 v1, 0x80, v0
	v_cmp_gt_u32_e64 s[4:5], s46, v1
	v_pk_mov_b32 v[8:9], s[52:53], s[52:53] op_sel:[0,1]
	s_and_saveexec_b64 s[6:7], s[4:5]
	s_cbranch_execz .LBB90_6
; %bb.5:
	global_load_dwordx2 v[8:9], v[4:5], off offset:1024
.LBB90_6:
	;; [unrolled: 9-line block ×7, first 2 shown]
	s_or_b64 exec, exec, s[16:17]
	v_or_b32_e32 v1, 0x200, v0
	v_cmp_gt_u32_e64 s[16:17], s46, v1
	v_pk_mov_b32 v[20:21], s[52:53], s[52:53] op_sel:[0,1]
	s_and_saveexec_b64 s[18:19], s[16:17]
	s_cbranch_execz .LBB90_18
; %bb.17:
	v_add_co_u32_e32 v20, vcc, 0x1000, v4
	v_addc_co_u32_e32 v21, vcc, 0, v5, vcc
	global_load_dwordx2 v[20:21], v[20:21], off
.LBB90_18:
	s_or_b64 exec, exec, s[18:19]
	v_or_b32_e32 v1, 0x240, v0
	v_cmp_gt_u32_e64 s[18:19], s46, v1
	v_pk_mov_b32 v[22:23], s[52:53], s[52:53] op_sel:[0,1]
	s_and_saveexec_b64 s[20:21], s[18:19]
	s_cbranch_execz .LBB90_20
; %bb.19:
	v_add_co_u32_e32 v22, vcc, 0x1000, v4
	v_addc_co_u32_e32 v23, vcc, 0, v5, vcc
	global_load_dwordx2 v[22:23], v[22:23], off offset:512
.LBB90_20:
	s_or_b64 exec, exec, s[20:21]
	v_or_b32_e32 v1, 0x280, v0
	v_cmp_gt_u32_e64 s[20:21], s46, v1
	v_pk_mov_b32 v[24:25], s[52:53], s[52:53] op_sel:[0,1]
	s_and_saveexec_b64 s[22:23], s[20:21]
	s_cbranch_execz .LBB90_22
; %bb.21:
	v_add_co_u32_e32 v24, vcc, 0x1000, v4
	v_addc_co_u32_e32 v25, vcc, 0, v5, vcc
	global_load_dwordx2 v[24:25], v[24:25], off offset:1024
.LBB90_22:
	;; [unrolled: 11-line block ×7, first 2 shown]
	s_or_b64 exec, exec, s[34:35]
	v_or_b32_e32 v1, 0x400, v0
	v_cmp_gt_u32_e64 s[34:35], s46, v1
	v_pk_mov_b32 v[36:37], s[52:53], s[52:53] op_sel:[0,1]
	s_and_saveexec_b64 s[36:37], s[34:35]
	s_cbranch_execz .LBB90_34
; %bb.33:
	v_add_co_u32_e32 v36, vcc, 0x2000, v4
	v_addc_co_u32_e32 v37, vcc, 0, v5, vcc
	global_load_dwordx2 v[36:37], v[36:37], off
.LBB90_34:
	s_or_b64 exec, exec, s[36:37]
	v_or_b32_e32 v1, 0x440, v0
	v_cmp_gt_u32_e64 s[36:37], s46, v1
	v_pk_mov_b32 v[38:39], s[52:53], s[52:53] op_sel:[0,1]
	s_and_saveexec_b64 s[38:39], s[36:37]
	s_cbranch_execz .LBB90_36
; %bb.35:
	v_add_co_u32_e32 v38, vcc, 0x2000, v4
	v_addc_co_u32_e32 v39, vcc, 0, v5, vcc
	global_load_dwordx2 v[38:39], v[38:39], off offset:512
.LBB90_36:
	s_or_b64 exec, exec, s[38:39]
	v_or_b32_e32 v1, 0x480, v0
	v_cmp_gt_u32_e64 s[38:39], s46, v1
	v_pk_mov_b32 v[40:41], s[52:53], s[52:53] op_sel:[0,1]
	s_and_saveexec_b64 s[40:41], s[38:39]
	s_cbranch_execz .LBB90_38
; %bb.37:
	v_add_co_u32_e32 v40, vcc, 0x2000, v4
	v_addc_co_u32_e32 v41, vcc, 0, v5, vcc
	global_load_dwordx2 v[40:41], v[40:41], off offset:1024
.LBB90_38:
	;; [unrolled: 11-line block ×4, first 2 shown]
	s_or_b64 exec, exec, s[44:45]
	s_movk_i32 s33, 0xa0
	v_mad_u32_u24 v1, v0, s33, v46
	s_waitcnt vmcnt(0)
	ds_write2st64_b64 v46, v[2:3], v[6:7] offset1:1
	ds_write2st64_b64 v46, v[8:9], v[10:11] offset0:2 offset1:3
	ds_write2st64_b64 v46, v[12:13], v[14:15] offset0:4 offset1:5
	ds_write2st64_b64 v46, v[16:17], v[18:19] offset0:6 offset1:7
	ds_write2st64_b64 v46, v[20:21], v[22:23] offset0:8 offset1:9
	ds_write2st64_b64 v46, v[24:25], v[26:27] offset0:10 offset1:11
	ds_write2st64_b64 v46, v[28:29], v[30:31] offset0:12 offset1:13
	ds_write2st64_b64 v46, v[32:33], v[34:35] offset0:14 offset1:15
	ds_write2st64_b64 v46, v[36:37], v[38:39] offset0:16 offset1:17
	ds_write2st64_b64 v46, v[40:41], v[42:43] offset0:18 offset1:19
	ds_write_b64 v46, v[44:45] offset:10240
	s_waitcnt lgkmcnt(0)
	; wave barrier
	s_waitcnt lgkmcnt(0)
	ds_read2_b64 v[2:5], v1 offset1:1
	ds_read2_b64 v[6:9], v1 offset0:2 offset1:3
	ds_read2_b64 v[10:13], v1 offset0:4 offset1:5
	;; [unrolled: 1-line block ×9, first 2 shown]
	ds_read_b64 v[42:43], v1 offset:160
	s_waitcnt lgkmcnt(10)
	v_add_co_u32_e32 v1, vcc, v4, v2
	v_addc_co_u32_e32 v44, vcc, v5, v3, vcc
	s_waitcnt lgkmcnt(9)
	v_add_co_u32_e32 v1, vcc, v1, v6
	v_addc_co_u32_e32 v44, vcc, v44, v7, vcc
	v_add_co_u32_e32 v1, vcc, v1, v8
	v_addc_co_u32_e32 v44, vcc, v44, v9, vcc
	s_waitcnt lgkmcnt(8)
	v_add_co_u32_e32 v1, vcc, v1, v10
	v_addc_co_u32_e32 v44, vcc, v44, v11, vcc
	;; [unrolled: 5-line block ×10, first 2 shown]
	s_nop 0
	v_mov_b32_dpp v44, v42 row_shr:1 row_mask:0xf bank_mask:0xf
	v_add_co_u32_e32 v44, vcc, v42, v44
	v_mbcnt_lo_u32_b32 v1, -1, 0
	v_addc_co_u32_e32 v48, vcc, 0, v43, vcc
	v_mbcnt_hi_u32_b32 v45, -1, v1
	v_mov_b32_dpp v47, v43 row_shr:1 row_mask:0xf bank_mask:0xf
	v_add_co_u32_e32 v49, vcc, 0, v44
	v_and_b32_e32 v1, 15, v45
	v_addc_co_u32_e32 v47, vcc, v47, v48, vcc
	v_cmp_eq_u32_e32 vcc, 0, v1
	v_cndmask_b32_e32 v44, v44, v42, vcc
	v_cndmask_b32_e32 v47, v47, v43, vcc
	v_cndmask_b32_e32 v48, v49, v42, vcc
	v_mov_b32_dpp v49, v44 row_shr:2 row_mask:0xf bank_mask:0xf
	v_mov_b32_dpp v50, v47 row_shr:2 row_mask:0xf bank_mask:0xf
	v_add_co_u32_e32 v49, vcc, v49, v48
	v_addc_co_u32_e32 v50, vcc, v50, v47, vcc
	v_cmp_lt_u32_e32 vcc, 1, v1
	v_cndmask_b32_e32 v44, v44, v49, vcc
	v_cndmask_b32_e32 v47, v47, v50, vcc
	v_cndmask_b32_e32 v48, v48, v49, vcc
	v_mov_b32_dpp v49, v44 row_shr:4 row_mask:0xf bank_mask:0xf
	v_mov_b32_dpp v50, v47 row_shr:4 row_mask:0xf bank_mask:0xf
	v_add_co_u32_e32 v49, vcc, v49, v48
	v_addc_co_u32_e32 v50, vcc, v50, v47, vcc
	v_cmp_lt_u32_e32 vcc, 3, v1
	;; [unrolled: 8-line block ×3, first 2 shown]
	v_cndmask_b32_e32 v51, v44, v49, vcc
	v_cndmask_b32_e32 v1, v47, v50, vcc
	;; [unrolled: 1-line block ×3, first 2 shown]
	v_mov_b32_dpp v47, v51 row_bcast:15 row_mask:0xf bank_mask:0xf
	v_mov_b32_dpp v48, v1 row_bcast:15 row_mask:0xf bank_mask:0xf
	v_and_b32_e32 v50, 16, v45
	v_add_co_u32_e32 v47, vcc, v47, v44
	v_addc_co_u32_e32 v49, vcc, v48, v1, vcc
	v_cmp_eq_u32_e64 s[44:45], 0, v50
	v_cndmask_b32_e64 v50, v49, v1, s[44:45]
	v_cndmask_b32_e64 v48, v47, v51, s[44:45]
	v_cmp_eq_u32_e32 vcc, 0, v45
	v_mov_b32_dpp v50, v50 row_bcast:31 row_mask:0xf bank_mask:0xf
	v_mov_b32_dpp v48, v48 row_bcast:31 row_mask:0xf bank_mask:0xf
	v_cmp_ne_u32_e64 s[46:47], 0, v45
	s_waitcnt lgkmcnt(0)
	; wave barrier
	s_and_saveexec_b64 s[52:53], s[46:47]
; %bb.43:
	v_cndmask_b32_e64 v1, v49, v1, s[44:45]
	v_cndmask_b32_e64 v42, v47, v44, s[44:45]
	v_cmp_lt_u32_e64 s[44:45], 31, v45
	v_cndmask_b32_e64 v44, 0, v48, s[44:45]
	v_cndmask_b32_e64 v43, 0, v50, s[44:45]
	v_add_co_u32_e64 v42, s[44:45], v44, v42
	v_addc_co_u32_e64 v43, s[44:45], v43, v1, s[44:45]
; %bb.44:
	s_or_b64 exec, exec, s[52:53]
	v_mul_u32_u24_e32 v1, 0xa0, v0
	v_cmp_eq_u32_e64 s[44:45], 63, v0
	s_and_saveexec_b64 s[46:47], s[44:45]
	s_cbranch_execz .LBB90_46
; %bb.45:
	v_mov_b32_e32 v44, 0
	ds_write_b64 v44, v[42:43]
.LBB90_46:
	s_or_b64 exec, exec, s[46:47]
	v_mov_b32_e32 v44, s49
	v_add_co_u32_e64 v42, s[44:45], s48, v42
	v_addc_co_u32_e64 v43, s[44:45], v43, v44, s[44:45]
	v_add_u32_e32 v44, -1, v45
	v_and_b32_e32 v47, 64, v45
	v_cmp_lt_i32_e64 s[44:45], v44, v47
	v_cndmask_b32_e64 v44, v44, v45, s[44:45]
	v_lshlrev_b32_e32 v44, 2, v44
	ds_bpermute_b32 v43, v44, v43
	ds_bpermute_b32 v42, v44, v42
	v_cmp_eq_u32_e64 s[44:45], 0, v0
	v_mov_b32_e32 v0, s49
	s_or_b64 vcc, s[44:45], vcc
	s_waitcnt lgkmcnt(1)
	v_cndmask_b32_e32 v43, v43, v0, vcc
	v_mov_b32_e32 v0, s48
	s_waitcnt lgkmcnt(0)
	v_cndmask_b32_e32 v42, v42, v0, vcc
	v_add_co_u32_e32 v2, vcc, v42, v2
	v_addc_co_u32_e32 v3, vcc, v43, v3, vcc
	v_add_co_u32_e32 v4, vcc, v2, v4
	v_addc_co_u32_e32 v5, vcc, v3, v5, vcc
	;; [unrolled: 2-line block ×19, first 2 shown]
	v_add_co_u32_e32 v40, vcc, v38, v40
	v_add_u32_e32 v0, v46, v1
	s_waitcnt lgkmcnt(0)
	; wave barrier
	v_addc_co_u32_e32 v41, vcc, v39, v41, vcc
	s_waitcnt lgkmcnt(0)
	; wave barrier
	ds_write2_b64 v0, v[42:43], v[2:3] offset1:1
	ds_write2_b64 v0, v[4:5], v[6:7] offset0:2 offset1:3
	ds_write2_b64 v0, v[8:9], v[10:11] offset0:4 offset1:5
	;; [unrolled: 1-line block ×9, first 2 shown]
	ds_write_b64 v0, v[40:41] offset:160
	s_waitcnt lgkmcnt(0)
	; wave barrier
	s_waitcnt lgkmcnt(0)
	ds_read2st64_b64 v[36:39], v46 offset0:1 offset1:2
	ds_read2st64_b64 v[32:35], v46 offset0:3 offset1:4
	ds_read2st64_b64 v[28:31], v46 offset0:5 offset1:6
	ds_read2st64_b64 v[24:27], v46 offset0:7 offset1:8
	ds_read2st64_b64 v[20:23], v46 offset0:9 offset1:10
	ds_read2st64_b64 v[16:19], v46 offset0:11 offset1:12
	ds_read2st64_b64 v[12:15], v46 offset0:13 offset1:14
	ds_read2st64_b64 v[8:11], v46 offset0:15 offset1:16
	ds_read2st64_b64 v[4:7], v46 offset0:17 offset1:18
	ds_read2st64_b64 v[0:3], v46 offset0:19 offset1:20
	v_mov_b32_e32 v41, s51
	v_add_co_u32_e32 v40, vcc, s50, v46
	v_addc_co_u32_e32 v41, vcc, 0, v41, vcc
	s_and_saveexec_b64 s[44:45], s[0:1]
	s_cbranch_execnz .LBB90_68
; %bb.47:
	s_or_b64 exec, exec, s[44:45]
	s_and_saveexec_b64 s[0:1], s[2:3]
	s_cbranch_execnz .LBB90_69
.LBB90_48:
	s_or_b64 exec, exec, s[0:1]
	s_and_saveexec_b64 s[0:1], s[4:5]
	s_cbranch_execnz .LBB90_70
.LBB90_49:
	s_or_b64 exec, exec, s[0:1]
	s_and_saveexec_b64 s[0:1], s[6:7]
	s_cbranch_execnz .LBB90_71
.LBB90_50:
	s_or_b64 exec, exec, s[0:1]
	s_and_saveexec_b64 s[0:1], s[8:9]
	s_cbranch_execnz .LBB90_72
.LBB90_51:
	s_or_b64 exec, exec, s[0:1]
	s_and_saveexec_b64 s[0:1], s[10:11]
	s_cbranch_execnz .LBB90_73
.LBB90_52:
	s_or_b64 exec, exec, s[0:1]
	s_and_saveexec_b64 s[0:1], s[12:13]
	s_cbranch_execnz .LBB90_74
.LBB90_53:
	s_or_b64 exec, exec, s[0:1]
	s_and_saveexec_b64 s[0:1], s[14:15]
	s_cbranch_execnz .LBB90_75
.LBB90_54:
	s_or_b64 exec, exec, s[0:1]
	s_and_saveexec_b64 s[0:1], s[16:17]
	s_cbranch_execnz .LBB90_76
.LBB90_55:
	s_or_b64 exec, exec, s[0:1]
	s_and_saveexec_b64 s[0:1], s[18:19]
	s_cbranch_execnz .LBB90_77
.LBB90_56:
	s_or_b64 exec, exec, s[0:1]
	s_and_saveexec_b64 s[0:1], s[20:21]
	s_cbranch_execnz .LBB90_78
.LBB90_57:
	s_or_b64 exec, exec, s[0:1]
	s_and_saveexec_b64 s[0:1], s[22:23]
	s_cbranch_execnz .LBB90_79
.LBB90_58:
	s_or_b64 exec, exec, s[0:1]
	s_and_saveexec_b64 s[0:1], s[24:25]
	s_cbranch_execnz .LBB90_80
.LBB90_59:
	s_or_b64 exec, exec, s[0:1]
	s_and_saveexec_b64 s[0:1], s[26:27]
	s_cbranch_execnz .LBB90_81
.LBB90_60:
	s_or_b64 exec, exec, s[0:1]
	s_and_saveexec_b64 s[0:1], s[28:29]
	s_cbranch_execnz .LBB90_82
.LBB90_61:
	s_or_b64 exec, exec, s[0:1]
	s_and_saveexec_b64 s[0:1], s[30:31]
	s_cbranch_execnz .LBB90_83
.LBB90_62:
	s_or_b64 exec, exec, s[0:1]
	s_and_saveexec_b64 s[0:1], s[34:35]
	s_cbranch_execnz .LBB90_84
.LBB90_63:
	s_or_b64 exec, exec, s[0:1]
	s_and_saveexec_b64 s[0:1], s[36:37]
	s_cbranch_execnz .LBB90_85
.LBB90_64:
	s_or_b64 exec, exec, s[0:1]
	s_and_saveexec_b64 s[0:1], s[38:39]
	s_cbranch_execnz .LBB90_86
.LBB90_65:
	s_or_b64 exec, exec, s[0:1]
	s_and_saveexec_b64 s[0:1], s[40:41]
	s_cbranch_execnz .LBB90_87
.LBB90_66:
	s_or_b64 exec, exec, s[0:1]
	s_and_saveexec_b64 s[0:1], s[42:43]
	s_cbranch_execnz .LBB90_88
.LBB90_67:
	s_endpgm
.LBB90_68:
	ds_read_b64 v[42:43], v46
	s_waitcnt lgkmcnt(0)
	global_store_dwordx2 v[40:41], v[42:43], off
	s_or_b64 exec, exec, s[44:45]
	s_and_saveexec_b64 s[0:1], s[2:3]
	s_cbranch_execz .LBB90_48
.LBB90_69:
	s_waitcnt lgkmcnt(9)
	global_store_dwordx2 v[40:41], v[36:37], off offset:512
	s_or_b64 exec, exec, s[0:1]
	s_and_saveexec_b64 s[0:1], s[4:5]
	s_cbranch_execz .LBB90_49
.LBB90_70:
	s_waitcnt lgkmcnt(9)
	global_store_dwordx2 v[40:41], v[38:39], off offset:1024
	s_or_b64 exec, exec, s[0:1]
	s_and_saveexec_b64 s[0:1], s[6:7]
	s_cbranch_execz .LBB90_50
.LBB90_71:
	s_waitcnt lgkmcnt(8)
	global_store_dwordx2 v[40:41], v[32:33], off offset:1536
	s_or_b64 exec, exec, s[0:1]
	s_and_saveexec_b64 s[0:1], s[8:9]
	s_cbranch_execz .LBB90_51
.LBB90_72:
	s_waitcnt lgkmcnt(8)
	global_store_dwordx2 v[40:41], v[34:35], off offset:2048
	s_or_b64 exec, exec, s[0:1]
	s_and_saveexec_b64 s[0:1], s[10:11]
	s_cbranch_execz .LBB90_52
.LBB90_73:
	s_waitcnt lgkmcnt(7)
	global_store_dwordx2 v[40:41], v[28:29], off offset:2560
	s_or_b64 exec, exec, s[0:1]
	s_and_saveexec_b64 s[0:1], s[12:13]
	s_cbranch_execz .LBB90_53
.LBB90_74:
	s_waitcnt lgkmcnt(7)
	global_store_dwordx2 v[40:41], v[30:31], off offset:3072
	s_or_b64 exec, exec, s[0:1]
	s_and_saveexec_b64 s[0:1], s[14:15]
	s_cbranch_execz .LBB90_54
.LBB90_75:
	s_waitcnt lgkmcnt(6)
	global_store_dwordx2 v[40:41], v[24:25], off offset:3584
	s_or_b64 exec, exec, s[0:1]
	s_and_saveexec_b64 s[0:1], s[16:17]
	s_cbranch_execz .LBB90_55
.LBB90_76:
	s_waitcnt lgkmcnt(6)
	v_add_co_u32_e32 v24, vcc, 0x1000, v40
	v_addc_co_u32_e32 v25, vcc, 0, v41, vcc
	global_store_dwordx2 v[24:25], v[26:27], off
	s_or_b64 exec, exec, s[0:1]
	s_and_saveexec_b64 s[0:1], s[18:19]
	s_cbranch_execz .LBB90_56
.LBB90_77:
	s_waitcnt lgkmcnt(6)
	v_add_co_u32_e32 v24, vcc, 0x1000, v40
	v_addc_co_u32_e32 v25, vcc, 0, v41, vcc
	s_waitcnt lgkmcnt(5)
	global_store_dwordx2 v[24:25], v[20:21], off offset:512
	s_or_b64 exec, exec, s[0:1]
	s_and_saveexec_b64 s[0:1], s[20:21]
	s_cbranch_execz .LBB90_57
.LBB90_78:
	s_waitcnt lgkmcnt(5)
	v_add_co_u32_e32 v20, vcc, 0x1000, v40
	v_addc_co_u32_e32 v21, vcc, 0, v41, vcc
	global_store_dwordx2 v[20:21], v[22:23], off offset:1024
	s_or_b64 exec, exec, s[0:1]
	s_and_saveexec_b64 s[0:1], s[22:23]
	s_cbranch_execz .LBB90_58
.LBB90_79:
	s_waitcnt lgkmcnt(5)
	v_add_co_u32_e32 v20, vcc, 0x1000, v40
	v_addc_co_u32_e32 v21, vcc, 0, v41, vcc
	s_waitcnt lgkmcnt(4)
	global_store_dwordx2 v[20:21], v[16:17], off offset:1536
	s_or_b64 exec, exec, s[0:1]
	s_and_saveexec_b64 s[0:1], s[24:25]
	s_cbranch_execz .LBB90_59
.LBB90_80:
	s_waitcnt lgkmcnt(4)
	v_add_co_u32_e32 v16, vcc, 0x1000, v40
	v_addc_co_u32_e32 v17, vcc, 0, v41, vcc
	global_store_dwordx2 v[16:17], v[18:19], off offset:2048
	s_or_b64 exec, exec, s[0:1]
	s_and_saveexec_b64 s[0:1], s[26:27]
	s_cbranch_execz .LBB90_60
.LBB90_81:
	s_waitcnt lgkmcnt(4)
	v_add_co_u32_e32 v16, vcc, 0x1000, v40
	v_addc_co_u32_e32 v17, vcc, 0, v41, vcc
	s_waitcnt lgkmcnt(3)
	global_store_dwordx2 v[16:17], v[12:13], off offset:2560
	s_or_b64 exec, exec, s[0:1]
	s_and_saveexec_b64 s[0:1], s[28:29]
	s_cbranch_execz .LBB90_61
.LBB90_82:
	s_waitcnt lgkmcnt(3)
	v_add_co_u32_e32 v12, vcc, 0x1000, v40
	v_addc_co_u32_e32 v13, vcc, 0, v41, vcc
	global_store_dwordx2 v[12:13], v[14:15], off offset:3072
	s_or_b64 exec, exec, s[0:1]
	s_and_saveexec_b64 s[0:1], s[30:31]
	s_cbranch_execz .LBB90_62
.LBB90_83:
	s_waitcnt lgkmcnt(3)
	v_add_co_u32_e32 v12, vcc, 0x1000, v40
	v_addc_co_u32_e32 v13, vcc, 0, v41, vcc
	s_waitcnt lgkmcnt(2)
	global_store_dwordx2 v[12:13], v[8:9], off offset:3584
	s_or_b64 exec, exec, s[0:1]
	s_and_saveexec_b64 s[0:1], s[34:35]
	s_cbranch_execz .LBB90_63
.LBB90_84:
	s_waitcnt lgkmcnt(2)
	v_add_co_u32_e32 v8, vcc, 0x2000, v40
	v_addc_co_u32_e32 v9, vcc, 0, v41, vcc
	global_store_dwordx2 v[8:9], v[10:11], off
	s_or_b64 exec, exec, s[0:1]
	s_and_saveexec_b64 s[0:1], s[36:37]
	s_cbranch_execz .LBB90_64
.LBB90_85:
	s_waitcnt lgkmcnt(2)
	v_add_co_u32_e32 v8, vcc, 0x2000, v40
	v_addc_co_u32_e32 v9, vcc, 0, v41, vcc
	s_waitcnt lgkmcnt(1)
	global_store_dwordx2 v[8:9], v[4:5], off offset:512
	s_or_b64 exec, exec, s[0:1]
	s_and_saveexec_b64 s[0:1], s[38:39]
	s_cbranch_execz .LBB90_65
.LBB90_86:
	s_waitcnt lgkmcnt(1)
	v_add_co_u32_e32 v4, vcc, 0x2000, v40
	v_addc_co_u32_e32 v5, vcc, 0, v41, vcc
	global_store_dwordx2 v[4:5], v[6:7], off offset:1024
	s_or_b64 exec, exec, s[0:1]
	s_and_saveexec_b64 s[0:1], s[40:41]
	s_cbranch_execz .LBB90_66
.LBB90_87:
	s_waitcnt lgkmcnt(1)
	v_add_co_u32_e32 v4, vcc, 0x2000, v40
	v_addc_co_u32_e32 v5, vcc, 0, v41, vcc
	s_waitcnt lgkmcnt(0)
	global_store_dwordx2 v[4:5], v[0:1], off offset:1536
	s_or_b64 exec, exec, s[0:1]
	s_and_saveexec_b64 s[0:1], s[42:43]
	s_cbranch_execz .LBB90_67
.LBB90_88:
	s_waitcnt lgkmcnt(0)
	v_add_co_u32_e32 v0, vcc, 0x2000, v40
	v_addc_co_u32_e32 v1, vcc, 0, v41, vcc
	global_store_dwordx2 v[0:1], v[2:3], off offset:2048
	s_endpgm
	.section	.rodata,"a",@progbits
	.p2align	6, 0x0
	.amdhsa_kernel _ZN7rocprim6detail18single_scan_kernelILb1ENS0_19wrapped_scan_configINS_14default_configEmEEPmS5_N6hipcub3SumEmmEEvT1_mT4_T2_T3_
		.amdhsa_group_segment_fixed_size 10752
		.amdhsa_private_segment_fixed_size 0
		.amdhsa_kernarg_size 36
		.amdhsa_user_sgpr_count 6
		.amdhsa_user_sgpr_private_segment_buffer 1
		.amdhsa_user_sgpr_dispatch_ptr 0
		.amdhsa_user_sgpr_queue_ptr 0
		.amdhsa_user_sgpr_kernarg_segment_ptr 1
		.amdhsa_user_sgpr_dispatch_id 0
		.amdhsa_user_sgpr_flat_scratch_init 0
		.amdhsa_user_sgpr_kernarg_preload_length 0
		.amdhsa_user_sgpr_kernarg_preload_offset 0
		.amdhsa_user_sgpr_private_segment_size 0
		.amdhsa_uses_dynamic_stack 0
		.amdhsa_system_sgpr_private_segment_wavefront_offset 0
		.amdhsa_system_sgpr_workgroup_id_x 1
		.amdhsa_system_sgpr_workgroup_id_y 0
		.amdhsa_system_sgpr_workgroup_id_z 0
		.amdhsa_system_sgpr_workgroup_info 0
		.amdhsa_system_vgpr_workitem_id 0
		.amdhsa_next_free_vgpr 52
		.amdhsa_next_free_sgpr 54
		.amdhsa_accum_offset 52
		.amdhsa_reserve_vcc 1
		.amdhsa_reserve_flat_scratch 0
		.amdhsa_float_round_mode_32 0
		.amdhsa_float_round_mode_16_64 0
		.amdhsa_float_denorm_mode_32 3
		.amdhsa_float_denorm_mode_16_64 3
		.amdhsa_dx10_clamp 1
		.amdhsa_ieee_mode 1
		.amdhsa_fp16_overflow 0
		.amdhsa_tg_split 0
		.amdhsa_exception_fp_ieee_invalid_op 0
		.amdhsa_exception_fp_denorm_src 0
		.amdhsa_exception_fp_ieee_div_zero 0
		.amdhsa_exception_fp_ieee_overflow 0
		.amdhsa_exception_fp_ieee_underflow 0
		.amdhsa_exception_fp_ieee_inexact 0
		.amdhsa_exception_int_div_zero 0
	.end_amdhsa_kernel
	.section	.text._ZN7rocprim6detail18single_scan_kernelILb1ENS0_19wrapped_scan_configINS_14default_configEmEEPmS5_N6hipcub3SumEmmEEvT1_mT4_T2_T3_,"axG",@progbits,_ZN7rocprim6detail18single_scan_kernelILb1ENS0_19wrapped_scan_configINS_14default_configEmEEPmS5_N6hipcub3SumEmmEEvT1_mT4_T2_T3_,comdat
.Lfunc_end90:
	.size	_ZN7rocprim6detail18single_scan_kernelILb1ENS0_19wrapped_scan_configINS_14default_configEmEEPmS5_N6hipcub3SumEmmEEvT1_mT4_T2_T3_, .Lfunc_end90-_ZN7rocprim6detail18single_scan_kernelILb1ENS0_19wrapped_scan_configINS_14default_configEmEEPmS5_N6hipcub3SumEmmEEvT1_mT4_T2_T3_
                                        ; -- End function
	.section	.AMDGPU.csdata,"",@progbits
; Kernel info:
; codeLenInByte = 3288
; NumSgprs: 58
; NumVgprs: 52
; NumAgprs: 0
; TotalNumVgprs: 52
; ScratchSize: 0
; MemoryBound: 0
; FloatMode: 240
; IeeeMode: 1
; LDSByteSize: 10752 bytes/workgroup (compile time only)
; SGPRBlocks: 7
; VGPRBlocks: 6
; NumSGPRsForWavesPerEU: 58
; NumVGPRsForWavesPerEU: 52
; AccumOffset: 52
; Occupancy: 2
; WaveLimiterHint : 0
; COMPUTE_PGM_RSRC2:SCRATCH_EN: 0
; COMPUTE_PGM_RSRC2:USER_SGPR: 6
; COMPUTE_PGM_RSRC2:TRAP_HANDLER: 0
; COMPUTE_PGM_RSRC2:TGID_X_EN: 1
; COMPUTE_PGM_RSRC2:TGID_Y_EN: 0
; COMPUTE_PGM_RSRC2:TGID_Z_EN: 0
; COMPUTE_PGM_RSRC2:TIDIG_COMP_CNT: 0
; COMPUTE_PGM_RSRC3_GFX90A:ACCUM_OFFSET: 12
; COMPUTE_PGM_RSRC3_GFX90A:TG_SPLIT: 0
	.section	.text._ZN7rocprim6detail20lookback_scan_kernelILNS0_25lookback_scan_determinismE0ELb1ENS0_19wrapped_scan_configINS_14default_configEyEEPyS6_N6hipcub3MinEyyNS0_19lookback_scan_stateIyLb1ELb1EEEEEvT2_T3_mT5_T4_T7_jPT6_SH_bb,"axG",@progbits,_ZN7rocprim6detail20lookback_scan_kernelILNS0_25lookback_scan_determinismE0ELb1ENS0_19wrapped_scan_configINS_14default_configEyEEPyS6_N6hipcub3MinEyyNS0_19lookback_scan_stateIyLb1ELb1EEEEEvT2_T3_mT5_T4_T7_jPT6_SH_bb,comdat
	.protected	_ZN7rocprim6detail20lookback_scan_kernelILNS0_25lookback_scan_determinismE0ELb1ENS0_19wrapped_scan_configINS_14default_configEyEEPyS6_N6hipcub3MinEyyNS0_19lookback_scan_stateIyLb1ELb1EEEEEvT2_T3_mT5_T4_T7_jPT6_SH_bb ; -- Begin function _ZN7rocprim6detail20lookback_scan_kernelILNS0_25lookback_scan_determinismE0ELb1ENS0_19wrapped_scan_configINS_14default_configEyEEPyS6_N6hipcub3MinEyyNS0_19lookback_scan_stateIyLb1ELb1EEEEEvT2_T3_mT5_T4_T7_jPT6_SH_bb
	.globl	_ZN7rocprim6detail20lookback_scan_kernelILNS0_25lookback_scan_determinismE0ELb1ENS0_19wrapped_scan_configINS_14default_configEyEEPyS6_N6hipcub3MinEyyNS0_19lookback_scan_stateIyLb1ELb1EEEEEvT2_T3_mT5_T4_T7_jPT6_SH_bb
	.p2align	8
	.type	_ZN7rocprim6detail20lookback_scan_kernelILNS0_25lookback_scan_determinismE0ELb1ENS0_19wrapped_scan_configINS_14default_configEyEEPyS6_N6hipcub3MinEyyNS0_19lookback_scan_stateIyLb1ELb1EEEEEvT2_T3_mT5_T4_T7_jPT6_SH_bb,@function
_ZN7rocprim6detail20lookback_scan_kernelILNS0_25lookback_scan_determinismE0ELb1ENS0_19wrapped_scan_configINS_14default_configEyEEPyS6_N6hipcub3MinEyyNS0_19lookback_scan_stateIyLb1ELb1EEEEEvT2_T3_mT5_T4_T7_jPT6_SH_bb: ; @_ZN7rocprim6detail20lookback_scan_kernelILNS0_25lookback_scan_determinismE0ELb1ENS0_19wrapped_scan_configINS_14default_configEyEEPyS6_N6hipcub3MinEyyNS0_19lookback_scan_stateIyLb1ELb1EEEEEvT2_T3_mT5_T4_T7_jPT6_SH_bb
; %bb.0:
	s_endpgm
	.section	.rodata,"a",@progbits
	.p2align	6, 0x0
	.amdhsa_kernel _ZN7rocprim6detail20lookback_scan_kernelILNS0_25lookback_scan_determinismE0ELb1ENS0_19wrapped_scan_configINS_14default_configEyEEPyS6_N6hipcub3MinEyyNS0_19lookback_scan_stateIyLb1ELb1EEEEEvT2_T3_mT5_T4_T7_jPT6_SH_bb
		.amdhsa_group_segment_fixed_size 0
		.amdhsa_private_segment_fixed_size 0
		.amdhsa_kernarg_size 76
		.amdhsa_user_sgpr_count 6
		.amdhsa_user_sgpr_private_segment_buffer 1
		.amdhsa_user_sgpr_dispatch_ptr 0
		.amdhsa_user_sgpr_queue_ptr 0
		.amdhsa_user_sgpr_kernarg_segment_ptr 1
		.amdhsa_user_sgpr_dispatch_id 0
		.amdhsa_user_sgpr_flat_scratch_init 0
		.amdhsa_user_sgpr_kernarg_preload_length 0
		.amdhsa_user_sgpr_kernarg_preload_offset 0
		.amdhsa_user_sgpr_private_segment_size 0
		.amdhsa_uses_dynamic_stack 0
		.amdhsa_system_sgpr_private_segment_wavefront_offset 0
		.amdhsa_system_sgpr_workgroup_id_x 1
		.amdhsa_system_sgpr_workgroup_id_y 0
		.amdhsa_system_sgpr_workgroup_id_z 0
		.amdhsa_system_sgpr_workgroup_info 0
		.amdhsa_system_vgpr_workitem_id 0
		.amdhsa_next_free_vgpr 1
		.amdhsa_next_free_sgpr 0
		.amdhsa_accum_offset 4
		.amdhsa_reserve_vcc 0
		.amdhsa_reserve_flat_scratch 0
		.amdhsa_float_round_mode_32 0
		.amdhsa_float_round_mode_16_64 0
		.amdhsa_float_denorm_mode_32 3
		.amdhsa_float_denorm_mode_16_64 3
		.amdhsa_dx10_clamp 1
		.amdhsa_ieee_mode 1
		.amdhsa_fp16_overflow 0
		.amdhsa_tg_split 0
		.amdhsa_exception_fp_ieee_invalid_op 0
		.amdhsa_exception_fp_denorm_src 0
		.amdhsa_exception_fp_ieee_div_zero 0
		.amdhsa_exception_fp_ieee_overflow 0
		.amdhsa_exception_fp_ieee_underflow 0
		.amdhsa_exception_fp_ieee_inexact 0
		.amdhsa_exception_int_div_zero 0
	.end_amdhsa_kernel
	.section	.text._ZN7rocprim6detail20lookback_scan_kernelILNS0_25lookback_scan_determinismE0ELb1ENS0_19wrapped_scan_configINS_14default_configEyEEPyS6_N6hipcub3MinEyyNS0_19lookback_scan_stateIyLb1ELb1EEEEEvT2_T3_mT5_T4_T7_jPT6_SH_bb,"axG",@progbits,_ZN7rocprim6detail20lookback_scan_kernelILNS0_25lookback_scan_determinismE0ELb1ENS0_19wrapped_scan_configINS_14default_configEyEEPyS6_N6hipcub3MinEyyNS0_19lookback_scan_stateIyLb1ELb1EEEEEvT2_T3_mT5_T4_T7_jPT6_SH_bb,comdat
.Lfunc_end91:
	.size	_ZN7rocprim6detail20lookback_scan_kernelILNS0_25lookback_scan_determinismE0ELb1ENS0_19wrapped_scan_configINS_14default_configEyEEPyS6_N6hipcub3MinEyyNS0_19lookback_scan_stateIyLb1ELb1EEEEEvT2_T3_mT5_T4_T7_jPT6_SH_bb, .Lfunc_end91-_ZN7rocprim6detail20lookback_scan_kernelILNS0_25lookback_scan_determinismE0ELb1ENS0_19wrapped_scan_configINS_14default_configEyEEPyS6_N6hipcub3MinEyyNS0_19lookback_scan_stateIyLb1ELb1EEEEEvT2_T3_mT5_T4_T7_jPT6_SH_bb
                                        ; -- End function
	.section	.AMDGPU.csdata,"",@progbits
; Kernel info:
; codeLenInByte = 4
; NumSgprs: 4
; NumVgprs: 0
; NumAgprs: 0
; TotalNumVgprs: 0
; ScratchSize: 0
; MemoryBound: 0
; FloatMode: 240
; IeeeMode: 1
; LDSByteSize: 0 bytes/workgroup (compile time only)
; SGPRBlocks: 0
; VGPRBlocks: 0
; NumSGPRsForWavesPerEU: 4
; NumVGPRsForWavesPerEU: 1
; AccumOffset: 4
; Occupancy: 8
; WaveLimiterHint : 0
; COMPUTE_PGM_RSRC2:SCRATCH_EN: 0
; COMPUTE_PGM_RSRC2:USER_SGPR: 6
; COMPUTE_PGM_RSRC2:TRAP_HANDLER: 0
; COMPUTE_PGM_RSRC2:TGID_X_EN: 1
; COMPUTE_PGM_RSRC2:TGID_Y_EN: 0
; COMPUTE_PGM_RSRC2:TGID_Z_EN: 0
; COMPUTE_PGM_RSRC2:TIDIG_COMP_CNT: 0
; COMPUTE_PGM_RSRC3_GFX90A:ACCUM_OFFSET: 0
; COMPUTE_PGM_RSRC3_GFX90A:TG_SPLIT: 0
	.section	.text._ZN7rocprim6detail20lookback_scan_kernelILNS0_25lookback_scan_determinismE0ELb1ENS0_19wrapped_scan_configINS_14default_configEyEEPyS6_N6hipcub3MinEyyNS0_19lookback_scan_stateIyLb0ELb1EEEEEvT2_T3_mT5_T4_T7_jPT6_SH_bb,"axG",@progbits,_ZN7rocprim6detail20lookback_scan_kernelILNS0_25lookback_scan_determinismE0ELb1ENS0_19wrapped_scan_configINS_14default_configEyEEPyS6_N6hipcub3MinEyyNS0_19lookback_scan_stateIyLb0ELb1EEEEEvT2_T3_mT5_T4_T7_jPT6_SH_bb,comdat
	.protected	_ZN7rocprim6detail20lookback_scan_kernelILNS0_25lookback_scan_determinismE0ELb1ENS0_19wrapped_scan_configINS_14default_configEyEEPyS6_N6hipcub3MinEyyNS0_19lookback_scan_stateIyLb0ELb1EEEEEvT2_T3_mT5_T4_T7_jPT6_SH_bb ; -- Begin function _ZN7rocprim6detail20lookback_scan_kernelILNS0_25lookback_scan_determinismE0ELb1ENS0_19wrapped_scan_configINS_14default_configEyEEPyS6_N6hipcub3MinEyyNS0_19lookback_scan_stateIyLb0ELb1EEEEEvT2_T3_mT5_T4_T7_jPT6_SH_bb
	.globl	_ZN7rocprim6detail20lookback_scan_kernelILNS0_25lookback_scan_determinismE0ELb1ENS0_19wrapped_scan_configINS_14default_configEyEEPyS6_N6hipcub3MinEyyNS0_19lookback_scan_stateIyLb0ELb1EEEEEvT2_T3_mT5_T4_T7_jPT6_SH_bb
	.p2align	8
	.type	_ZN7rocprim6detail20lookback_scan_kernelILNS0_25lookback_scan_determinismE0ELb1ENS0_19wrapped_scan_configINS_14default_configEyEEPyS6_N6hipcub3MinEyyNS0_19lookback_scan_stateIyLb0ELb1EEEEEvT2_T3_mT5_T4_T7_jPT6_SH_bb,@function
_ZN7rocprim6detail20lookback_scan_kernelILNS0_25lookback_scan_determinismE0ELb1ENS0_19wrapped_scan_configINS_14default_configEyEEPyS6_N6hipcub3MinEyyNS0_19lookback_scan_stateIyLb0ELb1EEEEEvT2_T3_mT5_T4_T7_jPT6_SH_bb: ; @_ZN7rocprim6detail20lookback_scan_kernelILNS0_25lookback_scan_determinismE0ELb1ENS0_19wrapped_scan_configINS_14default_configEyEEPyS6_N6hipcub3MinEyyNS0_19lookback_scan_stateIyLb0ELb1EEEEEvT2_T3_mT5_T4_T7_jPT6_SH_bb
; %bb.0:
	s_load_dword s1, s[4:5], 0x30
	s_load_dwordx8 s[8:15], s[4:5], 0x0
	s_mul_i32 s0, s6, 0x540
	v_lshlrev_b32_e32 v88, 3, v0
	s_waitcnt lgkmcnt(0)
	s_add_i32 s2, s1, -1
	s_mul_i32 s3, s2, 0x540
	s_sub_u32 s24, s12, s3
	s_subb_u32 s25, s13, 0
	s_mov_b32 s1, 0
	s_cmp_lg_u32 s6, s2
	s_cselect_b64 s[12:13], -1, 0
	s_lshl_b64 s[20:21], s[0:1], 3
	s_add_u32 s16, s8, s20
	s_addc_u32 s17, s9, s21
	s_mov_b64 s[0:1], -1
	s_and_b64 vcc, exec, s[12:13]
	s_cbranch_vccz .LBB92_2
; %bb.1:
	v_mov_b32_e32 v1, s17
	v_add_co_u32_e32 v36, vcc, s16, v88
	v_addc_co_u32_e32 v1, vcc, 0, v1, vcc
	v_add_co_u32_e32 v18, vcc, 0x1000, v36
	v_addc_co_u32_e32 v19, vcc, 0, v1, vcc
	global_load_dwordx2 v[2:3], v88, s[16:17]
	global_load_dwordx2 v[4:5], v88, s[16:17] offset:512
	global_load_dwordx2 v[6:7], v88, s[16:17] offset:1024
	global_load_dwordx2 v[8:9], v88, s[16:17] offset:1536
	global_load_dwordx2 v[10:11], v88, s[16:17] offset:2048
	global_load_dwordx2 v[12:13], v88, s[16:17] offset:2560
	global_load_dwordx2 v[14:15], v88, s[16:17] offset:3072
	global_load_dwordx2 v[16:17], v88, s[16:17] offset:3584
	global_load_dwordx2 v[20:21], v[18:19], off
	global_load_dwordx2 v[22:23], v[18:19], off offset:512
	global_load_dwordx2 v[24:25], v[18:19], off offset:1024
	;; [unrolled: 1-line block ×7, first 2 shown]
	v_add_co_u32_e32 v18, vcc, 0x2000, v36
	v_addc_co_u32_e32 v19, vcc, 0, v1, vcc
	global_load_dwordx2 v[36:37], v[18:19], off
	global_load_dwordx2 v[38:39], v[18:19], off offset:512
	global_load_dwordx2 v[40:41], v[18:19], off offset:1024
	global_load_dwordx2 v[42:43], v[18:19], off offset:1536
	global_load_dwordx2 v[44:45], v[18:19], off offset:2048
	s_mov_b64 s[0:1], 0
	s_waitcnt vmcnt(19)
	ds_write2st64_b64 v88, v[2:3], v[4:5] offset1:1
	s_waitcnt vmcnt(17)
	ds_write2st64_b64 v88, v[6:7], v[8:9] offset0:2 offset1:3
	s_waitcnt vmcnt(15)
	ds_write2st64_b64 v88, v[10:11], v[12:13] offset0:4 offset1:5
	s_waitcnt vmcnt(13)
	ds_write2st64_b64 v88, v[14:15], v[16:17] offset0:6 offset1:7
	s_waitcnt vmcnt(11)
	ds_write2st64_b64 v88, v[20:21], v[22:23] offset0:8 offset1:9
	s_waitcnt vmcnt(9)
	ds_write2st64_b64 v88, v[24:25], v[26:27] offset0:10 offset1:11
	s_waitcnt vmcnt(7)
	ds_write2st64_b64 v88, v[28:29], v[30:31] offset0:12 offset1:13
	s_waitcnt vmcnt(5)
	ds_write2st64_b64 v88, v[32:33], v[34:35] offset0:14 offset1:15
	s_waitcnt vmcnt(3)
	ds_write2st64_b64 v88, v[36:37], v[38:39] offset0:16 offset1:17
	s_waitcnt vmcnt(1)
	ds_write2st64_b64 v88, v[40:41], v[42:43] offset0:18 offset1:19
	s_waitcnt vmcnt(0)
	ds_write_b64 v88, v[44:45] offset:10240
	s_waitcnt lgkmcnt(0)
	; wave barrier
.LBB92_2:
	s_andn2_b64 vcc, exec, s[0:1]
	v_cmp_gt_u32_e64 s[0:1], s24, v0
	s_cbranch_vccnz .LBB92_46
; %bb.3:
	s_load_dwordx2 s[2:3], s[16:17], 0x0
	v_mov_b32_e32 v1, s17
	v_add_co_u32_e32 v4, vcc, s16, v88
	v_addc_co_u32_e32 v5, vcc, 0, v1, vcc
	s_waitcnt lgkmcnt(0)
	v_pk_mov_b32 v[2:3], s[2:3], s[2:3] op_sel:[0,1]
	s_and_saveexec_b64 s[16:17], s[0:1]
	s_cbranch_execz .LBB92_5
; %bb.4:
	global_load_dwordx2 v[2:3], v[4:5], off
.LBB92_5:
	s_or_b64 exec, exec, s[16:17]
	v_or_b32_e32 v1, 64, v0
	v_cmp_gt_u32_e32 vcc, s24, v1
	v_pk_mov_b32 v[6:7], s[2:3], s[2:3] op_sel:[0,1]
	s_and_saveexec_b64 s[0:1], vcc
	s_cbranch_execz .LBB92_7
; %bb.6:
	global_load_dwordx2 v[6:7], v[4:5], off offset:512
.LBB92_7:
	s_or_b64 exec, exec, s[0:1]
	v_or_b32_e32 v1, 0x80, v0
	v_cmp_gt_u32_e32 vcc, s24, v1
	v_pk_mov_b32 v[8:9], s[2:3], s[2:3] op_sel:[0,1]
	s_and_saveexec_b64 s[0:1], vcc
	s_cbranch_execz .LBB92_9
; %bb.8:
	global_load_dwordx2 v[8:9], v[4:5], off offset:1024
.LBB92_9:
	;; [unrolled: 9-line block ×7, first 2 shown]
	s_or_b64 exec, exec, s[0:1]
	v_or_b32_e32 v1, 0x200, v0
	v_cmp_gt_u32_e32 vcc, s24, v1
	v_pk_mov_b32 v[20:21], s[2:3], s[2:3] op_sel:[0,1]
	s_and_saveexec_b64 s[0:1], vcc
	s_cbranch_execz .LBB92_21
; %bb.20:
	v_add_co_u32_e32 v20, vcc, 0x1000, v4
	v_addc_co_u32_e32 v21, vcc, 0, v5, vcc
	global_load_dwordx2 v[20:21], v[20:21], off
.LBB92_21:
	s_or_b64 exec, exec, s[0:1]
	v_or_b32_e32 v1, 0x240, v0
	v_cmp_gt_u32_e32 vcc, s24, v1
	v_pk_mov_b32 v[22:23], s[2:3], s[2:3] op_sel:[0,1]
	s_and_saveexec_b64 s[0:1], vcc
	s_cbranch_execz .LBB92_23
; %bb.22:
	v_add_co_u32_e32 v22, vcc, 0x1000, v4
	v_addc_co_u32_e32 v23, vcc, 0, v5, vcc
	global_load_dwordx2 v[22:23], v[22:23], off offset:512
.LBB92_23:
	s_or_b64 exec, exec, s[0:1]
	v_or_b32_e32 v1, 0x280, v0
	v_cmp_gt_u32_e32 vcc, s24, v1
	v_pk_mov_b32 v[24:25], s[2:3], s[2:3] op_sel:[0,1]
	s_and_saveexec_b64 s[0:1], vcc
	s_cbranch_execz .LBB92_25
; %bb.24:
	v_add_co_u32_e32 v24, vcc, 0x1000, v4
	v_addc_co_u32_e32 v25, vcc, 0, v5, vcc
	global_load_dwordx2 v[24:25], v[24:25], off offset:1024
.LBB92_25:
	;; [unrolled: 11-line block ×7, first 2 shown]
	s_or_b64 exec, exec, s[0:1]
	v_or_b32_e32 v1, 0x400, v0
	v_cmp_gt_u32_e32 vcc, s24, v1
	v_pk_mov_b32 v[36:37], s[2:3], s[2:3] op_sel:[0,1]
	s_and_saveexec_b64 s[0:1], vcc
	s_cbranch_execz .LBB92_37
; %bb.36:
	v_add_co_u32_e32 v36, vcc, 0x2000, v4
	v_addc_co_u32_e32 v37, vcc, 0, v5, vcc
	global_load_dwordx2 v[36:37], v[36:37], off
.LBB92_37:
	s_or_b64 exec, exec, s[0:1]
	v_or_b32_e32 v1, 0x440, v0
	v_cmp_gt_u32_e32 vcc, s24, v1
	v_pk_mov_b32 v[38:39], s[2:3], s[2:3] op_sel:[0,1]
	s_and_saveexec_b64 s[0:1], vcc
	s_cbranch_execz .LBB92_39
; %bb.38:
	v_add_co_u32_e32 v38, vcc, 0x2000, v4
	v_addc_co_u32_e32 v39, vcc, 0, v5, vcc
	global_load_dwordx2 v[38:39], v[38:39], off offset:512
.LBB92_39:
	s_or_b64 exec, exec, s[0:1]
	v_or_b32_e32 v1, 0x480, v0
	v_cmp_gt_u32_e32 vcc, s24, v1
	v_pk_mov_b32 v[40:41], s[2:3], s[2:3] op_sel:[0,1]
	s_and_saveexec_b64 s[0:1], vcc
	s_cbranch_execz .LBB92_41
; %bb.40:
	v_add_co_u32_e32 v40, vcc, 0x2000, v4
	v_addc_co_u32_e32 v41, vcc, 0, v5, vcc
	global_load_dwordx2 v[40:41], v[40:41], off offset:1024
.LBB92_41:
	;; [unrolled: 11-line block ×4, first 2 shown]
	s_or_b64 exec, exec, s[0:1]
	s_waitcnt vmcnt(0)
	ds_write2st64_b64 v88, v[2:3], v[6:7] offset1:1
	ds_write2st64_b64 v88, v[8:9], v[10:11] offset0:2 offset1:3
	ds_write2st64_b64 v88, v[12:13], v[14:15] offset0:4 offset1:5
	ds_write2st64_b64 v88, v[16:17], v[18:19] offset0:6 offset1:7
	ds_write2st64_b64 v88, v[20:21], v[22:23] offset0:8 offset1:9
	ds_write2st64_b64 v88, v[24:25], v[26:27] offset0:10 offset1:11
	ds_write2st64_b64 v88, v[28:29], v[30:31] offset0:12 offset1:13
	ds_write2st64_b64 v88, v[32:33], v[34:35] offset0:14 offset1:15
	ds_write2st64_b64 v88, v[36:37], v[38:39] offset0:16 offset1:17
	ds_write2st64_b64 v88, v[40:41], v[42:43] offset0:18 offset1:19
	ds_write_b64 v88, v[44:45] offset:10240
	s_waitcnt lgkmcnt(0)
	; wave barrier
.LBB92_46:
	s_load_dwordx2 s[22:23], s[4:5], 0x28
	v_mul_u32_u24_e32 v89, 21, v0
	v_lshlrev_b32_e32 v90, 3, v89
	s_waitcnt lgkmcnt(0)
	ds_read2_b64 v[38:41], v90 offset1:1
	ds_read2_b64 v[34:37], v90 offset0:2 offset1:3
	ds_read2_b64 v[30:33], v90 offset0:4 offset1:5
	;; [unrolled: 1-line block ×9, first 2 shown]
	ds_read_b64 v[64:65], v90 offset:160
	s_cmp_lg_u32 s6, 0
	s_waitcnt lgkmcnt(10)
	v_cmp_lt_u64_e32 vcc, v[38:39], v[40:41]
	v_mbcnt_lo_u32_b32 v1, -1, 0
	s_waitcnt lgkmcnt(0)
	; wave barrier
	s_waitcnt lgkmcnt(0)
	s_cbranch_scc0 .LBB92_71
; %bb.47:
	v_cndmask_b32_e32 v43, v41, v39, vcc
	v_cndmask_b32_e32 v42, v40, v38, vcc
	v_cmp_lt_u64_e32 vcc, v[42:43], v[34:35]
	v_cndmask_b32_e32 v43, v35, v43, vcc
	v_cndmask_b32_e32 v42, v34, v42, vcc
	v_cmp_lt_u64_e32 vcc, v[42:43], v[36:37]
	;; [unrolled: 3-line block ×19, first 2 shown]
	v_cndmask_b32_e32 v43, v65, v43, vcc
	v_cndmask_b32_e32 v42, v64, v42, vcc
	v_mbcnt_hi_u32_b32 v53, -1, v1
	v_mov_b32_dpp v45, v43 row_shr:1 row_mask:0xf bank_mask:0xf
	v_mov_b32_dpp v44, v42 row_shr:1 row_mask:0xf bank_mask:0xf
	v_and_b32_e32 v48, 15, v53
	v_cmp_lt_u64_e32 vcc, v[44:45], v[42:43]
	v_cndmask_b32_e32 v44, v42, v44, vcc
	v_cndmask_b32_e32 v45, v43, v45, vcc
	v_cmp_eq_u32_e32 vcc, 0, v48
	v_cndmask_b32_e32 v45, v45, v43, vcc
	v_cndmask_b32_e32 v44, v44, v42, vcc
	v_and_b32_e32 v50, 16, v53
	v_mov_b32_dpp v47, v45 row_shr:2 row_mask:0xf bank_mask:0xf
	v_mov_b32_dpp v46, v44 row_shr:2 row_mask:0xf bank_mask:0xf
	v_cmp_lt_u64_e32 vcc, v[46:47], v[44:45]
	v_cndmask_b32_e32 v46, v44, v46, vcc
	v_cndmask_b32_e32 v47, v45, v47, vcc
	v_cmp_lt_u32_e32 vcc, 1, v48
	v_cndmask_b32_e32 v45, v45, v47, vcc
	v_cndmask_b32_e32 v44, v44, v46, vcc
	v_cmp_eq_u32_e64 s[0:1], 0, v53
	v_mov_b32_dpp v47, v45 row_shr:4 row_mask:0xf bank_mask:0xf
	v_mov_b32_dpp v46, v44 row_shr:4 row_mask:0xf bank_mask:0xf
	v_cmp_lt_u64_e32 vcc, v[46:47], v[44:45]
	v_cndmask_b32_e32 v46, v44, v46, vcc
	v_cndmask_b32_e32 v47, v45, v47, vcc
	v_cmp_lt_u32_e32 vcc, 3, v48
	v_cndmask_b32_e32 v45, v45, v47, vcc
	v_cndmask_b32_e32 v44, v44, v46, vcc
	v_cmp_ne_u32_e64 s[2:3], 0, v53
	v_mov_b32_dpp v47, v45 row_shr:8 row_mask:0xf bank_mask:0xf
	v_mov_b32_dpp v46, v44 row_shr:8 row_mask:0xf bank_mask:0xf
	v_cmp_lt_u64_e32 vcc, v[46:47], v[44:45]
	v_cndmask_b32_e32 v46, v44, v46, vcc
	v_cndmask_b32_e32 v47, v45, v47, vcc
	v_cmp_lt_u32_e32 vcc, 7, v48
	v_cndmask_b32_e32 v45, v45, v47, vcc
	v_cndmask_b32_e32 v44, v44, v46, vcc
	s_nop 0
	v_mov_b32_dpp v47, v45 row_bcast:15 row_mask:0xf bank_mask:0xf
	v_mov_b32_dpp v46, v44 row_bcast:15 row_mask:0xf bank_mask:0xf
	v_cmp_lt_u64_e32 vcc, v[46:47], v[44:45]
	v_cndmask_b32_e32 v48, v45, v47, vcc
	v_cndmask_b32_e32 v49, v44, v46, vcc
	v_cmp_eq_u32_e32 vcc, 0, v50
	v_cndmask_b32_e32 v47, v48, v45, vcc
	v_cndmask_b32_e32 v46, v49, v44, vcc
	s_nop 0
	v_mov_b32_dpp v47, v47 row_bcast:31 row_mask:0xf bank_mask:0xf
	v_mov_b32_dpp v46, v46 row_bcast:31 row_mask:0xf bank_mask:0xf
	s_and_saveexec_b64 s[16:17], s[2:3]
; %bb.48:
	v_cndmask_b32_e32 v43, v48, v45, vcc
	v_cndmask_b32_e32 v42, v49, v44, vcc
	v_cmp_lt_u32_e64 s[2:3], 31, v53
	v_cmp_lt_u64_e32 vcc, v[46:47], v[42:43]
	s_and_b64 vcc, s[2:3], vcc
	v_cndmask_b32_e32 v43, v43, v47, vcc
	v_cndmask_b32_e32 v42, v42, v46, vcc
; %bb.49:
	s_or_b64 exec, exec, s[16:17]
	v_cmp_eq_u32_e32 vcc, 63, v0
	s_and_saveexec_b64 s[2:3], vcc
	s_cbranch_execz .LBB92_51
; %bb.50:
	v_mov_b32_e32 v44, 0
	ds_write_b64 v44, v[42:43]
.LBB92_51:
	s_or_b64 exec, exec, s[2:3]
	v_add_u32_e32 v44, -1, v53
	v_and_b32_e32 v45, 64, v53
	v_cmp_lt_i32_e32 vcc, v44, v45
	v_cndmask_b32_e32 v44, v44, v53, vcc
	v_lshlrev_b32_e32 v44, 2, v44
	ds_bpermute_b32 v50, v44, v42
	ds_bpermute_b32 v51, v44, v43
	v_cmp_gt_u32_e32 vcc, 64, v0
	s_waitcnt lgkmcnt(0)
	; wave barrier
	s_waitcnt lgkmcnt(0)
	s_and_saveexec_b64 s[16:17], vcc
	s_cbranch_execz .LBB92_70
; %bb.52:
	v_mov_b32_e32 v45, 0
	ds_read_b64 v[42:43], v45
	s_and_saveexec_b64 s[2:3], s[0:1]
	s_cbranch_execz .LBB92_54
; %bb.53:
	s_add_i32 s18, s6, 64
	s_mov_b32 s19, 0
	s_lshl_b64 s[18:19], s[18:19], 4
	s_add_u32 s18, s22, s18
	s_addc_u32 s19, s23, s19
	v_mov_b32_e32 v44, 1
	v_pk_mov_b32 v[46:47], s[18:19], s[18:19] op_sel:[0,1]
	s_waitcnt lgkmcnt(0)
	;;#ASMSTART
	global_store_dwordx4 v[46:47], v[42:45] off	
s_waitcnt vmcnt(0)
	;;#ASMEND
.LBB92_54:
	s_or_b64 exec, exec, s[2:3]
	v_xad_u32 v52, v53, -1, s6
	v_add_u32_e32 v44, 64, v52
	v_lshlrev_b64 v[46:47], 4, v[44:45]
	v_mov_b32_e32 v44, s23
	v_add_co_u32_e32 v54, vcc, s22, v46
	v_addc_co_u32_e32 v55, vcc, v44, v47, vcc
	;;#ASMSTART
	global_load_dwordx4 v[46:49], v[54:55] off glc	
s_waitcnt vmcnt(0)
	;;#ASMEND
	v_cmp_eq_u16_sdwa s[18:19], v48, v45 src0_sel:BYTE_0 src1_sel:DWORD
	s_and_saveexec_b64 s[2:3], s[18:19]
	s_cbranch_execz .LBB92_58
; %bb.55:
	s_mov_b64 s[18:19], 0
	v_mov_b32_e32 v44, 0
.LBB92_56:                              ; =>This Inner Loop Header: Depth=1
	;;#ASMSTART
	global_load_dwordx4 v[46:49], v[54:55] off glc	
s_waitcnt vmcnt(0)
	;;#ASMEND
	v_cmp_ne_u16_sdwa s[26:27], v48, v44 src0_sel:BYTE_0 src1_sel:DWORD
	s_or_b64 s[18:19], s[26:27], s[18:19]
	s_andn2_b64 exec, exec, s[18:19]
	s_cbranch_execnz .LBB92_56
; %bb.57:
	s_or_b64 exec, exec, s[18:19]
.LBB92_58:
	s_or_b64 exec, exec, s[2:3]
	v_and_b32_e32 v57, 63, v53
	v_cmp_ne_u32_e32 vcc, 63, v57
	v_addc_co_u32_e32 v54, vcc, 0, v53, vcc
	v_mov_b32_e32 v58, 2
	v_lshlrev_b32_e32 v59, 2, v54
	v_cmp_eq_u16_sdwa s[2:3], v48, v58 src0_sel:BYTE_0 src1_sel:DWORD
	v_lshlrev_b64 v[44:45], v53, -1
	ds_bpermute_b32 v54, v59, v46
	ds_bpermute_b32 v55, v59, v47
	v_and_b32_e32 v49, s3, v45
	v_or_b32_e32 v49, 0x80000000, v49
	v_and_b32_e32 v56, s2, v44
	v_ffbl_b32_e32 v49, v49
	v_add_u32_e32 v49, 32, v49
	v_ffbl_b32_e32 v56, v56
	v_min_u32_e32 v49, v56, v49
	v_add_u32_e32 v60, 1, v53
	s_waitcnt lgkmcnt(0)
	v_cmp_lt_u64_e32 vcc, v[54:55], v[46:47]
	v_cndmask_b32_e32 v55, v47, v55, vcc
	v_cndmask_b32_e32 v54, v46, v54, vcc
	v_cmp_gt_u32_e32 vcc, v60, v49
	v_cndmask_b32_e32 v46, v54, v46, vcc
	v_cndmask_b32_e32 v47, v55, v47, vcc
	v_cmp_gt_u32_e32 vcc, 62, v57
	v_cndmask_b32_e64 v54, 0, 1, vcc
	v_lshlrev_b32_e32 v54, 1, v54
	v_add_lshl_u32 v61, v54, v53, 2
	ds_bpermute_b32 v54, v61, v46
	ds_bpermute_b32 v55, v61, v47
	v_add_u32_e32 v62, 2, v53
	v_add_u32_e32 v66, 4, v53
	;; [unrolled: 1-line block ×4, first 2 shown]
	s_waitcnt lgkmcnt(0)
	v_cmp_lt_u64_e32 vcc, v[54:55], v[46:47]
	v_cndmask_b32_e32 v55, v47, v55, vcc
	v_cndmask_b32_e32 v54, v46, v54, vcc
	v_cmp_gt_u32_e32 vcc, v62, v49
	v_cndmask_b32_e32 v46, v54, v46, vcc
	v_cndmask_b32_e32 v47, v55, v47, vcc
	v_cmp_gt_u32_e32 vcc, 60, v57
	v_cndmask_b32_e64 v54, 0, 1, vcc
	v_lshlrev_b32_e32 v54, 2, v54
	v_add_lshl_u32 v63, v54, v53, 2
	ds_bpermute_b32 v54, v63, v46
	ds_bpermute_b32 v55, v63, v47
	v_cmp_gt_u32_e64 s[2:3], 32, v57
	v_add_u32_e32 v72, 32, v53
	s_waitcnt lgkmcnt(0)
	v_cmp_lt_u64_e32 vcc, v[54:55], v[46:47]
	v_cndmask_b32_e32 v55, v47, v55, vcc
	v_cndmask_b32_e32 v54, v46, v54, vcc
	v_cmp_gt_u32_e32 vcc, v66, v49
	v_cndmask_b32_e32 v46, v54, v46, vcc
	v_cndmask_b32_e32 v47, v55, v47, vcc
	v_cmp_gt_u32_e32 vcc, 56, v57
	v_cndmask_b32_e64 v54, 0, 1, vcc
	v_lshlrev_b32_e32 v54, 3, v54
	v_add_lshl_u32 v67, v54, v53, 2
	ds_bpermute_b32 v54, v67, v46
	ds_bpermute_b32 v55, v67, v47
	s_waitcnt lgkmcnt(0)
	v_cmp_lt_u64_e32 vcc, v[54:55], v[46:47]
	v_cndmask_b32_e32 v55, v47, v55, vcc
	v_cndmask_b32_e32 v54, v46, v54, vcc
	v_cmp_gt_u32_e32 vcc, v68, v49
	v_cndmask_b32_e32 v46, v54, v46, vcc
	v_cndmask_b32_e32 v47, v55, v47, vcc
	v_cmp_gt_u32_e32 vcc, 48, v57
	v_cndmask_b32_e64 v54, 0, 1, vcc
	v_lshlrev_b32_e32 v54, 4, v54
	v_add_lshl_u32 v69, v54, v53, 2
	ds_bpermute_b32 v54, v69, v46
	ds_bpermute_b32 v55, v69, v47
	s_waitcnt lgkmcnt(0)
	v_cmp_lt_u64_e32 vcc, v[54:55], v[46:47]
	v_cndmask_b32_e32 v55, v47, v55, vcc
	v_cndmask_b32_e32 v54, v46, v54, vcc
	v_cmp_gt_u32_e32 vcc, v70, v49
	v_cndmask_b32_e32 v46, v54, v46, vcc
	v_cndmask_b32_e64 v54, 0, 1, s[2:3]
	v_lshlrev_b32_e32 v54, 5, v54
	v_add_lshl_u32 v71, v54, v53, 2
	v_cndmask_b32_e32 v47, v55, v47, vcc
	ds_bpermute_b32 v54, v71, v46
	ds_bpermute_b32 v55, v71, v47
	s_waitcnt lgkmcnt(0)
	v_cmp_lt_u64_e32 vcc, v[54:55], v[46:47]
	v_cndmask_b32_e32 v53, v46, v54, vcc
	v_cndmask_b32_e32 v54, v47, v55, vcc
	v_cmp_gt_u32_e32 vcc, v72, v49
	v_cndmask_b32_e32 v47, v54, v47, vcc
	v_cndmask_b32_e32 v46, v53, v46, vcc
	v_mov_b32_e32 v53, 0
	s_branch .LBB92_60
.LBB92_59:                              ;   in Loop: Header=BB92_60 Depth=1
	s_or_b64 exec, exec, s[2:3]
	v_cmp_eq_u16_sdwa s[2:3], v48, v58 src0_sel:BYTE_0 src1_sel:DWORD
	ds_bpermute_b32 v56, v59, v46
	ds_bpermute_b32 v57, v59, v47
	v_and_b32_e32 v49, s3, v45
	v_or_b32_e32 v49, 0x80000000, v49
	v_and_b32_e32 v73, s2, v44
	v_ffbl_b32_e32 v49, v49
	v_add_u32_e32 v49, 32, v49
	v_ffbl_b32_e32 v73, v73
	v_min_u32_e32 v49, v73, v49
	s_waitcnt lgkmcnt(0)
	v_cmp_lt_u64_e32 vcc, v[56:57], v[46:47]
	v_cndmask_b32_e32 v57, v47, v57, vcc
	v_cndmask_b32_e32 v56, v46, v56, vcc
	v_cmp_gt_u32_e32 vcc, v60, v49
	v_cndmask_b32_e32 v46, v56, v46, vcc
	v_cndmask_b32_e32 v47, v57, v47, vcc
	ds_bpermute_b32 v56, v61, v46
	ds_bpermute_b32 v57, v61, v47
	v_subrev_u32_e32 v52, 64, v52
	s_waitcnt lgkmcnt(0)
	v_cmp_lt_u64_e32 vcc, v[56:57], v[46:47]
	v_cndmask_b32_e32 v57, v47, v57, vcc
	v_cndmask_b32_e32 v56, v46, v56, vcc
	v_cmp_gt_u32_e32 vcc, v62, v49
	v_cndmask_b32_e32 v46, v56, v46, vcc
	v_cndmask_b32_e32 v47, v57, v47, vcc
	ds_bpermute_b32 v56, v63, v46
	ds_bpermute_b32 v57, v63, v47
	s_waitcnt lgkmcnt(0)
	v_cmp_lt_u64_e32 vcc, v[56:57], v[46:47]
	v_cndmask_b32_e32 v57, v47, v57, vcc
	v_cndmask_b32_e32 v56, v46, v56, vcc
	v_cmp_gt_u32_e32 vcc, v66, v49
	v_cndmask_b32_e32 v46, v56, v46, vcc
	v_cndmask_b32_e32 v47, v57, v47, vcc
	ds_bpermute_b32 v56, v67, v46
	ds_bpermute_b32 v57, v67, v47
	;; [unrolled: 9-line block ×4, first 2 shown]
	s_waitcnt lgkmcnt(0)
	v_cmp_lt_u64_e32 vcc, v[56:57], v[46:47]
	v_cndmask_b32_e32 v56, v46, v56, vcc
	v_cndmask_b32_e32 v57, v47, v57, vcc
	v_cmp_gt_u32_e32 vcc, v72, v49
	v_cndmask_b32_e32 v47, v57, v47, vcc
	v_cndmask_b32_e32 v46, v56, v46, vcc
	v_cmp_lt_u64_e32 vcc, v[46:47], v[54:55]
	v_cndmask_b32_e32 v47, v55, v47, vcc
	v_cndmask_b32_e32 v46, v54, v46, vcc
.LBB92_60:                              ; =>This Loop Header: Depth=1
                                        ;     Child Loop BB92_63 Depth 2
	v_cmp_ne_u16_sdwa s[2:3], v48, v58 src0_sel:BYTE_0 src1_sel:DWORD
	v_cndmask_b32_e64 v48, 0, 1, s[2:3]
	;;#ASMSTART
	;;#ASMEND
	v_cmp_ne_u32_e32 vcc, 0, v48
	s_cmp_lg_u64 vcc, exec
	v_pk_mov_b32 v[54:55], v[46:47], v[46:47] op_sel:[0,1]
	s_cbranch_scc1 .LBB92_65
; %bb.61:                               ;   in Loop: Header=BB92_60 Depth=1
	v_lshlrev_b64 v[46:47], 4, v[52:53]
	v_mov_b32_e32 v48, s23
	v_add_co_u32_e32 v56, vcc, s22, v46
	v_addc_co_u32_e32 v57, vcc, v48, v47, vcc
	;;#ASMSTART
	global_load_dwordx4 v[46:49], v[56:57] off glc	
s_waitcnt vmcnt(0)
	;;#ASMEND
	v_cmp_eq_u16_sdwa s[18:19], v48, v53 src0_sel:BYTE_0 src1_sel:DWORD
	s_and_saveexec_b64 s[2:3], s[18:19]
	s_cbranch_execz .LBB92_59
; %bb.62:                               ;   in Loop: Header=BB92_60 Depth=1
	s_mov_b64 s[18:19], 0
.LBB92_63:                              ;   Parent Loop BB92_60 Depth=1
                                        ; =>  This Inner Loop Header: Depth=2
	;;#ASMSTART
	global_load_dwordx4 v[46:49], v[56:57] off glc	
s_waitcnt vmcnt(0)
	;;#ASMEND
	v_cmp_ne_u16_sdwa s[26:27], v48, v53 src0_sel:BYTE_0 src1_sel:DWORD
	s_or_b64 s[18:19], s[26:27], s[18:19]
	s_andn2_b64 exec, exec, s[18:19]
	s_cbranch_execnz .LBB92_63
; %bb.64:                               ;   in Loop: Header=BB92_60 Depth=1
	s_or_b64 exec, exec, s[18:19]
	s_branch .LBB92_59
.LBB92_65:                              ;   in Loop: Header=BB92_60 Depth=1
                                        ; implicit-def: $vgpr46_vgpr47
                                        ; implicit-def: $vgpr48
	s_cbranch_execz .LBB92_60
; %bb.66:
	s_and_saveexec_b64 s[2:3], s[0:1]
	s_cbranch_execz .LBB92_68
; %bb.67:
	s_add_i32 s0, s6, 64
	s_mov_b32 s1, 0
	s_lshl_b64 s[0:1], s[0:1], 4
	s_add_u32 s0, s22, s0
	v_cmp_lt_u64_e32 vcc, v[54:55], v[42:43]
	s_addc_u32 s1, s23, s1
	v_cndmask_b32_e32 v43, v43, v55, vcc
	v_cndmask_b32_e32 v42, v42, v54, vcc
	v_mov_b32_e32 v44, 2
	v_mov_b32_e32 v45, 0
	v_pk_mov_b32 v[46:47], s[0:1], s[0:1] op_sel:[0,1]
	;;#ASMSTART
	global_store_dwordx4 v[46:47], v[42:45] off	
s_waitcnt vmcnt(0)
	;;#ASMEND
.LBB92_68:
	s_or_b64 exec, exec, s[2:3]
	v_cmp_eq_u32_e32 vcc, 0, v0
	s_and_b64 exec, exec, vcc
	s_cbranch_execz .LBB92_70
; %bb.69:
	v_mov_b32_e32 v42, 0
	ds_write_b64 v42, v[54:55]
.LBB92_70:
	s_or_b64 exec, exec, s[16:17]
	v_mov_b32_e32 v42, 0
	s_waitcnt lgkmcnt(0)
	; wave barrier
	s_waitcnt lgkmcnt(0)
	ds_read_b64 v[42:43], v42
	s_waitcnt lgkmcnt(0)
	v_cmp_lt_u64_e32 vcc, v[42:43], v[50:51]
	v_cndmask_b32_e32 v44, v50, v42, vcc
	v_cndmask_b32_e32 v45, v51, v43, vcc
	v_cmp_eq_u32_e32 vcc, 0, v0
	v_cndmask_b32_e32 v69, v45, v43, vcc
	v_cndmask_b32_e32 v68, v44, v42, vcc
	v_cmp_lt_u64_e32 vcc, v[68:69], v[38:39]
	v_cndmask_b32_e32 v45, v39, v69, vcc
	v_cndmask_b32_e32 v44, v38, v68, vcc
	v_cmp_lt_u64_e32 vcc, v[44:45], v[40:41]
	;; [unrolled: 3-line block ×20, first 2 shown]
	v_cndmask_b32_e32 v87, v5, v63, vcc
	v_cndmask_b32_e32 v86, v4, v62, vcc
	s_load_dwordx4 s[16:19], s[4:5], 0x38
	s_branch .LBB92_81
.LBB92_71:
                                        ; implicit-def: $vgpr60_vgpr61_vgpr62_vgpr63
                                        ; implicit-def: $vgpr58_vgpr59_vgpr60_vgpr61
                                        ; implicit-def: $vgpr68_vgpr69
                                        ; implicit-def: $vgpr66_vgpr67
                                        ; implicit-def: $vgpr70_vgpr71
                                        ; implicit-def: $vgpr72_vgpr73
                                        ; implicit-def: $vgpr74_vgpr75
                                        ; implicit-def: $vgpr76_vgpr77
                                        ; implicit-def: $vgpr78_vgpr79
                                        ; implicit-def: $vgpr80_vgpr81
                                        ; implicit-def: $vgpr82_vgpr83
                                        ; implicit-def: $vgpr84_vgpr85
                                        ; implicit-def: $vgpr86_vgpr87
                                        ; implicit-def: $vgpr56_vgpr57_vgpr58_vgpr59
                                        ; implicit-def: $vgpr54_vgpr55_vgpr56_vgpr57
                                        ; implicit-def: $vgpr52_vgpr53_vgpr54_vgpr55
                                        ; implicit-def: $vgpr50_vgpr51_vgpr52_vgpr53
                                        ; implicit-def: $vgpr48_vgpr49_vgpr50_vgpr51
                                        ; implicit-def: $vgpr46_vgpr47_vgpr48_vgpr49
                                        ; implicit-def: $vgpr44_vgpr45_vgpr46_vgpr47
                                        ; implicit-def: $vgpr42_vgpr43_vgpr44_vgpr45
	s_load_dwordx4 s[16:19], s[4:5], 0x38
	s_cbranch_execz .LBB92_81
; %bb.72:
	s_load_dword s0, s[4:5], 0x48
	s_waitcnt lgkmcnt(0)
	s_bitcmp0_b32 s0, 0
	s_cbranch_scc1 .LBB92_74
; %bb.73:
	s_add_u32 s0, s8, -8
	s_addc_u32 s1, s9, -1
	s_load_dwordx2 s[2:3], s[0:1], 0x0
	s_load_dwordx2 s[6:7], s[16:17], 0x0
	s_waitcnt lgkmcnt(0)
	v_pk_mov_b32 v[42:43], s[2:3], s[2:3] op_sel:[0,1]
	v_cmp_lt_u64_e32 vcc, s[6:7], v[42:43]
	s_and_b64 s[0:1], vcc, exec
	s_cselect_b32 s15, s7, s3
	s_cselect_b32 s14, s6, s2
.LBB92_74:
	v_cmp_lt_u64_e32 vcc, v[38:39], v[40:41]
	v_cndmask_b32_e32 v43, v41, v39, vcc
	v_cndmask_b32_e32 v42, v40, v38, vcc
	v_cmp_lt_u64_e32 vcc, v[42:43], v[34:35]
	v_cndmask_b32_e32 v43, v35, v43, vcc
	v_cndmask_b32_e32 v42, v34, v42, vcc
	;; [unrolled: 3-line block ×20, first 2 shown]
	v_mbcnt_hi_u32_b32 v1, -1, v1
	v_mov_b32_dpp v45, v43 row_shr:1 row_mask:0xf bank_mask:0xf
	v_mov_b32_dpp v44, v42 row_shr:1 row_mask:0xf bank_mask:0xf
	v_and_b32_e32 v48, 15, v1
	v_cmp_lt_u64_e32 vcc, v[44:45], v[42:43]
	v_cndmask_b32_e32 v44, v42, v44, vcc
	v_cndmask_b32_e32 v45, v43, v45, vcc
	v_cmp_eq_u32_e32 vcc, 0, v48
	v_cndmask_b32_e32 v45, v45, v43, vcc
	v_cndmask_b32_e32 v44, v44, v42, vcc
	v_and_b32_e32 v50, 16, v1
	v_mov_b32_dpp v47, v45 row_shr:2 row_mask:0xf bank_mask:0xf
	v_mov_b32_dpp v46, v44 row_shr:2 row_mask:0xf bank_mask:0xf
	v_cmp_lt_u64_e32 vcc, v[46:47], v[44:45]
	v_cndmask_b32_e32 v46, v44, v46, vcc
	v_cndmask_b32_e32 v47, v45, v47, vcc
	v_cmp_lt_u32_e32 vcc, 1, v48
	v_cndmask_b32_e32 v45, v45, v47, vcc
	v_cndmask_b32_e32 v44, v44, v46, vcc
	v_cmp_eq_u32_e64 s[0:1], 0, v1
	v_mov_b32_dpp v47, v45 row_shr:4 row_mask:0xf bank_mask:0xf
	v_mov_b32_dpp v46, v44 row_shr:4 row_mask:0xf bank_mask:0xf
	v_cmp_lt_u64_e32 vcc, v[46:47], v[44:45]
	v_cndmask_b32_e32 v46, v44, v46, vcc
	v_cndmask_b32_e32 v47, v45, v47, vcc
	v_cmp_lt_u32_e32 vcc, 3, v48
	v_cndmask_b32_e32 v45, v45, v47, vcc
	v_cndmask_b32_e32 v44, v44, v46, vcc
	v_cmp_ne_u32_e64 s[2:3], 0, v1
	v_mov_b32_dpp v47, v45 row_shr:8 row_mask:0xf bank_mask:0xf
	v_mov_b32_dpp v46, v44 row_shr:8 row_mask:0xf bank_mask:0xf
	v_cmp_lt_u64_e32 vcc, v[46:47], v[44:45]
	v_cndmask_b32_e32 v46, v44, v46, vcc
	v_cndmask_b32_e32 v47, v45, v47, vcc
	v_cmp_lt_u32_e32 vcc, 7, v48
	v_cndmask_b32_e32 v45, v45, v47, vcc
	v_cndmask_b32_e32 v44, v44, v46, vcc
	s_nop 0
	v_mov_b32_dpp v47, v45 row_bcast:15 row_mask:0xf bank_mask:0xf
	v_mov_b32_dpp v46, v44 row_bcast:15 row_mask:0xf bank_mask:0xf
	v_cmp_lt_u64_e32 vcc, v[46:47], v[44:45]
	v_cndmask_b32_e32 v48, v45, v47, vcc
	v_cndmask_b32_e32 v49, v44, v46, vcc
	v_cmp_eq_u32_e32 vcc, 0, v50
	v_cndmask_b32_e32 v47, v48, v45, vcc
	v_cndmask_b32_e32 v46, v49, v44, vcc
	s_nop 0
	v_mov_b32_dpp v47, v47 row_bcast:31 row_mask:0xf bank_mask:0xf
	v_mov_b32_dpp v46, v46 row_bcast:31 row_mask:0xf bank_mask:0xf
	s_and_saveexec_b64 s[6:7], s[2:3]
; %bb.75:
	v_cndmask_b32_e32 v43, v48, v45, vcc
	v_cndmask_b32_e32 v42, v49, v44, vcc
	v_cmp_lt_u64_e32 vcc, v[46:47], v[42:43]
	v_cmp_lt_u32_e64 s[2:3], 31, v1
	v_cndmask_b32_e32 v44, v43, v47, vcc
	s_and_b64 vcc, s[2:3], vcc
	v_cndmask_b32_e64 v43, v43, v44, s[2:3]
	v_cndmask_b32_e32 v42, v42, v46, vcc
; %bb.76:
	s_or_b64 exec, exec, s[6:7]
	v_cmp_eq_u32_e32 vcc, 63, v0
	s_and_saveexec_b64 s[2:3], vcc
	s_cbranch_execz .LBB92_78
; %bb.77:
	v_mov_b32_e32 v44, 0
	ds_write_b64 v44, v[42:43]
.LBB92_78:
	s_or_b64 exec, exec, s[2:3]
	v_mov_b32_e32 v44, s15
	v_cmp_lt_u64_e32 vcc, s[14:15], v[42:43]
	v_mov_b32_e32 v45, s14
	v_add_u32_e32 v46, -1, v1
	v_and_b32_e32 v47, 64, v1
	v_cndmask_b32_e32 v43, v43, v44, vcc
	v_cndmask_b32_e32 v42, v42, v45, vcc
	v_cmp_lt_i32_e32 vcc, v46, v47
	v_cndmask_b32_e32 v1, v46, v1, vcc
	v_lshlrev_b32_e32 v1, 2, v1
	ds_bpermute_b32 v43, v1, v43
	ds_bpermute_b32 v1, v1, v42
	v_cmp_eq_u32_e32 vcc, 0, v0
	s_or_b64 s[0:1], vcc, s[0:1]
	s_waitcnt lgkmcnt(0)
	v_cndmask_b32_e64 v69, v43, v44, s[0:1]
	v_cndmask_b32_e64 v68, v1, v45, s[0:1]
	v_cmp_lt_u64_e64 s[0:1], v[68:69], v[38:39]
	v_cndmask_b32_e64 v45, v39, v69, s[0:1]
	v_cndmask_b32_e64 v44, v38, v68, s[0:1]
	v_cmp_lt_u64_e64 s[0:1], v[44:45], v[40:41]
	;; [unrolled: 3-line block ×20, first 2 shown]
	v_cndmask_b32_e64 v87, v5, v63, s[0:1]
	v_cndmask_b32_e64 v86, v4, v62, s[0:1]
	; wave barrier
	s_and_saveexec_b64 s[0:1], vcc
	s_cbranch_execz .LBB92_80
; %bb.79:
	v_mov_b32_e32 v5, 0
	ds_read_b64 v[2:3], v5
	s_add_u32 s2, s22, 0x400
	v_mov_b32_e32 v1, s15
	v_mov_b32_e32 v4, s14
	s_addc_u32 s3, s23, 0
	s_waitcnt lgkmcnt(0)
	v_cmp_lt_u64_e32 vcc, s[14:15], v[2:3]
	v_cndmask_b32_e32 v3, v3, v1, vcc
	v_cndmask_b32_e32 v2, v2, v4, vcc
	v_mov_b32_e32 v4, 2
	v_pk_mov_b32 v[6:7], s[2:3], s[2:3] op_sel:[0,1]
	;;#ASMSTART
	global_store_dwordx4 v[6:7], v[2:5] off	
s_waitcnt vmcnt(0)
	;;#ASMEND
	v_pk_mov_b32 v[68:69], s[14:15], s[14:15] op_sel:[0,1]
.LBB92_80:
	s_or_b64 exec, exec, s[0:1]
.LBB92_81:
	s_add_u32 s0, s10, s20
	s_addc_u32 s1, s11, s21
	s_mov_b64 s[2:3], -1
	s_and_b64 vcc, exec, s[12:13]
	s_waitcnt lgkmcnt(0)
	; wave barrier
	s_waitcnt lgkmcnt(0)
	s_cbranch_vccz .LBB92_83
; %bb.82:
	v_mul_u32_u24_e32 v1, 0xa8, v0
	s_movk_i32 s2, 0xa8
	ds_write2_b64 v1, v[68:69], v[44:45] offset1:1
	ds_write2_b64 v1, v[66:67], v[46:47] offset0:2 offset1:3
	ds_write2_b64 v1, v[70:71], v[48:49] offset0:4 offset1:5
	ds_write2_b64 v1, v[72:73], v[50:51] offset0:6 offset1:7
	ds_write2_b64 v1, v[74:75], v[52:53] offset0:8 offset1:9
	ds_write2_b64 v1, v[76:77], v[54:55] offset0:10 offset1:11
	ds_write2_b64 v1, v[78:79], v[56:57] offset0:12 offset1:13
	ds_write2_b64 v1, v[80:81], v[58:59] offset0:14 offset1:15
	ds_write2_b64 v1, v[82:83], v[60:61] offset0:16 offset1:17
	ds_write2_b64 v1, v[84:85], v[62:63] offset0:18 offset1:19
	ds_write_b64 v1, v[86:87] offset:160
	v_mul_i32_i24_e32 v1, 0xffffff60, v0
	v_mad_u32_u24 v1, v0, s2, v1
	s_waitcnt lgkmcnt(0)
	; wave barrier
	s_waitcnt lgkmcnt(0)
	ds_read2st64_b64 v[2:5], v1 offset1:1
	ds_read2st64_b64 v[6:9], v1 offset0:2 offset1:3
	ds_read2st64_b64 v[10:13], v1 offset0:4 offset1:5
	;; [unrolled: 1-line block ×9, first 2 shown]
	ds_read_b64 v[42:43], v1 offset:10240
	v_mov_b32_e32 v1, s1
	v_add_co_u32_e32 v64, vcc, s0, v88
	v_addc_co_u32_e32 v1, vcc, 0, v1, vcc
	s_movk_i32 s2, 0x1000
	s_waitcnt lgkmcnt(10)
	global_store_dwordx2 v88, v[2:3], s[0:1]
	global_store_dwordx2 v88, v[4:5], s[0:1] offset:512
	s_waitcnt lgkmcnt(9)
	global_store_dwordx2 v88, v[6:7], s[0:1] offset:1024
	global_store_dwordx2 v88, v[8:9], s[0:1] offset:1536
	s_waitcnt lgkmcnt(8)
	global_store_dwordx2 v88, v[10:11], s[0:1] offset:2048
	;; [unrolled: 3-line block ×3, first 2 shown]
	global_store_dwordx2 v88, v[16:17], s[0:1] offset:3584
	v_add_co_u32_e32 v2, vcc, s2, v64
	v_addc_co_u32_e32 v3, vcc, 0, v1, vcc
	s_waitcnt lgkmcnt(6)
	global_store_dwordx2 v[2:3], v[18:19], off
	global_store_dwordx2 v[2:3], v[20:21], off offset:512
	s_waitcnt lgkmcnt(5)
	global_store_dwordx2 v[2:3], v[22:23], off offset:1024
	global_store_dwordx2 v[2:3], v[24:25], off offset:1536
	s_waitcnt lgkmcnt(4)
	global_store_dwordx2 v[2:3], v[26:27], off offset:2048
	;; [unrolled: 3-line block ×3, first 2 shown]
	global_store_dwordx2 v[2:3], v[32:33], off offset:3584
	v_add_co_u32_e32 v2, vcc, 0x2000, v64
	v_addc_co_u32_e32 v3, vcc, 0, v1, vcc
	s_waitcnt lgkmcnt(2)
	global_store_dwordx2 v[2:3], v[34:35], off
	global_store_dwordx2 v[2:3], v[36:37], off offset:512
	s_waitcnt lgkmcnt(1)
	global_store_dwordx2 v[2:3], v[38:39], off offset:1024
	global_store_dwordx2 v[2:3], v[40:41], off offset:1536
	s_waitcnt lgkmcnt(0)
	global_store_dwordx2 v[2:3], v[42:43], off offset:2048
	s_mov_b64 s[2:3], 0
.LBB92_83:
	s_andn2_b64 vcc, exec, s[2:3]
	s_cbranch_vccnz .LBB92_204
; %bb.84:
	s_movk_i32 s2, 0xff60
	v_mad_i32_i24 v42, v0, s2, v90
	ds_write2_b64 v90, v[68:69], v[44:45] offset1:1
	ds_write2_b64 v90, v[66:67], v[46:47] offset0:2 offset1:3
	ds_write2_b64 v90, v[70:71], v[48:49] offset0:4 offset1:5
	ds_write2_b64 v90, v[72:73], v[50:51] offset0:6 offset1:7
	ds_write2_b64 v90, v[74:75], v[52:53] offset0:8 offset1:9
	ds_write2_b64 v90, v[76:77], v[54:55] offset0:10 offset1:11
	ds_write2_b64 v90, v[78:79], v[56:57] offset0:12 offset1:13
	ds_write2_b64 v90, v[80:81], v[58:59] offset0:14 offset1:15
	ds_write2_b64 v90, v[82:83], v[60:61] offset0:16 offset1:17
	ds_write2_b64 v90, v[84:85], v[62:63] offset0:18 offset1:19
	ds_write_b64 v90, v[86:87] offset:160
	s_waitcnt lgkmcnt(0)
	; wave barrier
	s_waitcnt lgkmcnt(0)
	ds_read2st64_b64 v[6:9], v42 offset1:1
	ds_read2st64_b64 v[10:13], v42 offset0:2 offset1:3
	ds_read2st64_b64 v[14:17], v42 offset0:4 offset1:5
	;; [unrolled: 1-line block ×9, first 2 shown]
	ds_read_b64 v[42:43], v42 offset:10240
	v_mov_b32_e32 v45, s1
	v_add_co_u32_e32 v44, vcc, s0, v88
	v_addc_co_u32_e32 v45, vcc, 0, v45, vcc
	v_mov_b32_e32 v1, 0
	v_cmp_gt_u32_e32 vcc, s24, v0
	s_and_saveexec_b64 s[0:1], vcc
	s_cbranch_execz .LBB92_86
; %bb.85:
	s_waitcnt lgkmcnt(10)
	global_store_dwordx2 v[44:45], v[6:7], off
.LBB92_86:
	s_or_b64 exec, exec, s[0:1]
	v_or_b32_e32 v46, 64, v0
	v_cmp_gt_u32_e32 vcc, s24, v46
	s_and_saveexec_b64 s[0:1], vcc
	s_cbranch_execz .LBB92_88
; %bb.87:
	s_waitcnt lgkmcnt(10)
	global_store_dwordx2 v[44:45], v[8:9], off offset:512
.LBB92_88:
	s_or_b64 exec, exec, s[0:1]
	v_or_b32_e32 v46, 0x80, v0
	v_cmp_gt_u32_e32 vcc, s24, v46
	s_and_saveexec_b64 s[0:1], vcc
	s_cbranch_execz .LBB92_90
; %bb.89:
	s_waitcnt lgkmcnt(9)
	global_store_dwordx2 v[44:45], v[10:11], off offset:1024
.LBB92_90:
	;; [unrolled: 9-line block ×7, first 2 shown]
	s_or_b64 exec, exec, s[0:1]
	v_or_b32_e32 v46, 0x200, v0
	v_cmp_gt_u32_e32 vcc, s24, v46
	s_and_saveexec_b64 s[0:1], vcc
	s_cbranch_execz .LBB92_102
; %bb.101:
	v_add_co_u32_e32 v46, vcc, 0x1000, v44
	v_addc_co_u32_e32 v47, vcc, 0, v45, vcc
	s_waitcnt lgkmcnt(6)
	global_store_dwordx2 v[46:47], v[18:19], off
.LBB92_102:
	s_or_b64 exec, exec, s[0:1]
	v_or_b32_e32 v46, 0x240, v0
	v_cmp_gt_u32_e32 vcc, s24, v46
	s_and_saveexec_b64 s[0:1], vcc
	s_cbranch_execz .LBB92_104
; %bb.103:
	v_add_co_u32_e32 v46, vcc, 0x1000, v44
	v_addc_co_u32_e32 v47, vcc, 0, v45, vcc
	s_waitcnt lgkmcnt(6)
	global_store_dwordx2 v[46:47], v[20:21], off offset:512
.LBB92_104:
	s_or_b64 exec, exec, s[0:1]
	v_or_b32_e32 v46, 0x280, v0
	v_cmp_gt_u32_e32 vcc, s24, v46
	s_and_saveexec_b64 s[0:1], vcc
	s_cbranch_execz .LBB92_106
; %bb.105:
	v_add_co_u32_e32 v46, vcc, 0x1000, v44
	v_addc_co_u32_e32 v47, vcc, 0, v45, vcc
	s_waitcnt lgkmcnt(5)
	global_store_dwordx2 v[46:47], v[2:3], off offset:1024
.LBB92_106:
	;; [unrolled: 11-line block ×7, first 2 shown]
	s_or_b64 exec, exec, s[0:1]
	v_or_b32_e32 v46, 0x400, v0
	v_cmp_gt_u32_e32 vcc, s24, v46
	s_and_saveexec_b64 s[0:1], vcc
	s_cbranch_execz .LBB92_118
; %bb.117:
	v_add_co_u32_e32 v46, vcc, 0x2000, v44
	v_addc_co_u32_e32 v47, vcc, 0, v45, vcc
	s_waitcnt lgkmcnt(2)
	global_store_dwordx2 v[46:47], v[38:39], off
.LBB92_118:
	s_or_b64 exec, exec, s[0:1]
	v_or_b32_e32 v46, 0x440, v0
	v_cmp_gt_u32_e32 vcc, s24, v46
	s_and_saveexec_b64 s[0:1], vcc
	s_cbranch_execz .LBB92_120
; %bb.119:
	v_add_co_u32_e32 v46, vcc, 0x2000, v44
	v_addc_co_u32_e32 v47, vcc, 0, v45, vcc
	s_waitcnt lgkmcnt(2)
	global_store_dwordx2 v[46:47], v[40:41], off offset:512
.LBB92_120:
	s_or_b64 exec, exec, s[0:1]
	v_or_b32_e32 v46, 0x480, v0
	v_cmp_gt_u32_e32 vcc, s24, v46
	s_and_saveexec_b64 s[0:1], vcc
	s_cbranch_execz .LBB92_122
; %bb.121:
	v_add_co_u32_e32 v46, vcc, 0x2000, v44
	v_addc_co_u32_e32 v47, vcc, 0, v45, vcc
	s_waitcnt lgkmcnt(1)
	global_store_dwordx2 v[46:47], v[34:35], off offset:1024
.LBB92_122:
	;; [unrolled: 11-line block ×4, first 2 shown]
	s_or_b64 exec, exec, s[0:1]
	s_load_dword s0, s[4:5], 0x48
	s_waitcnt lgkmcnt(0)
	s_bfe_u32 s0, s0, 0x10008
	s_cmp_eq_u32 s0, 0
	s_cbranch_scc1 .LBB92_204
; %bb.127:
	s_add_u32 s0, s24, -1
	s_addc_u32 s1, s25, -1
	s_add_u32 s2, 0, 0x30c26c00
	s_addc_u32 s3, 0, 44
	s_add_i32 s3, s3, 0xc30c2e0
	s_mul_hi_u32 s7, s2, 0xffffffeb
	s_sub_i32 s7, s7, s2
	s_mul_i32 s8, s3, 0xffffffeb
	s_mul_i32 s4, s2, 0xffffffeb
	s_add_i32 s7, s7, s8
	s_mul_hi_u32 s5, s3, s4
	s_mul_i32 s6, s3, s4
	s_mul_i32 s9, s2, s7
	s_mul_hi_u32 s4, s2, s4
	s_mul_hi_u32 s8, s2, s7
	s_add_u32 s4, s4, s9
	s_addc_u32 s8, 0, s8
	s_add_u32 s4, s4, s6
	s_mul_hi_u32 s9, s3, s7
	s_addc_u32 s4, s8, s5
	s_addc_u32 s5, s9, 0
	s_mul_i32 s6, s3, s7
	s_add_u32 s4, s4, s6
	v_mov_b32_e32 v44, s4
	s_addc_u32 s5, 0, s5
	v_add_co_u32_e32 v44, vcc, s2, v44
	s_cmp_lg_u64 vcc, 0
	s_addc_u32 s2, s3, s5
	v_readfirstlane_b32 s5, v44
	s_mul_i32 s4, s0, s2
	s_mul_hi_u32 s6, s0, s5
	s_mul_hi_u32 s3, s0, s2
	s_add_u32 s4, s6, s4
	s_addc_u32 s3, 0, s3
	s_mul_hi_u32 s7, s1, s5
	s_mul_i32 s5, s1, s5
	s_add_u32 s4, s4, s5
	s_mul_hi_u32 s6, s1, s2
	s_addc_u32 s3, s3, s7
	s_addc_u32 s4, s6, 0
	s_mul_i32 s2, s1, s2
	s_add_u32 s2, s3, s2
	s_addc_u32 s3, 0, s4
	s_add_u32 s4, s2, 1
	s_addc_u32 s5, s3, 0
	s_add_u32 s6, s2, 2
	s_mul_i32 s8, s3, 21
	s_mul_hi_u32 s9, s2, 21
	s_addc_u32 s7, s3, 0
	s_add_i32 s9, s9, s8
	s_mul_i32 s8, s2, 21
	v_mov_b32_e32 v44, s8
	v_sub_co_u32_e32 v44, vcc, s0, v44
	s_cmp_lg_u64 vcc, 0
	s_subb_u32 s8, s1, s9
	v_subrev_co_u32_e32 v45, vcc, 21, v44
	s_cmp_lg_u64 vcc, 0
	s_subb_u32 s9, s8, 0
	v_readfirstlane_b32 s10, v45
	s_cmp_gt_u32 s10, 20
	s_cselect_b32 s10, -1, 0
	s_cmp_eq_u32 s9, 0
	s_cselect_b32 s9, s10, -1
	s_cmp_lg_u32 s9, 0
	s_cselect_b32 s4, s6, s4
	v_readfirstlane_b32 s6, v44
	s_cselect_b32 s5, s7, s5
	s_cmp_gt_u32 s6, 20
	s_cselect_b32 s6, -1, 0
	s_cmp_eq_u32 s8, 0
	s_cselect_b32 s6, s6, -1
	s_cmp_lg_u32 s6, 0
	s_cselect_b32 s3, s5, s3
	s_cselect_b32 s2, s4, s2
	v_cmp_eq_u64_e32 vcc, s[2:3], v[0:1]
	s_and_saveexec_b64 s[2:3], vcc
	s_cbranch_execz .LBB92_204
; %bb.128:
	v_mul_hi_u32_u24_e32 v1, 21, v0
	v_mov_b32_e32 v44, s1
	v_sub_co_u32_e32 v0, vcc, s0, v89
	v_subb_co_u32_e32 v1, vcc, v44, v1, vcc
	v_cmp_lt_i64_e32 vcc, 10, v[0:1]
	s_and_saveexec_b64 s[0:1], vcc
	s_xor_b64 s[0:1], exec, s[0:1]
	s_cbranch_execz .LBB92_166
; %bb.129:
	v_cmp_lt_i64_e32 vcc, 15, v[0:1]
	s_and_saveexec_b64 s[2:3], vcc
	s_xor_b64 s[2:3], exec, s[2:3]
	s_cbranch_execz .LBB92_147
; %bb.130:
	;; [unrolled: 5-line block ×5, first 2 shown]
	v_mov_b32_e32 v0, 0
	global_store_dwordx2 v0, v[42:43], s[18:19]
                                        ; implicit-def: $vgpr34_vgpr35_vgpr36_vgpr37
.LBB92_134:
	s_andn2_saveexec_b64 s[8:9], s[8:9]
	s_cbranch_execz .LBB92_136
; %bb.135:
	v_mov_b32_e32 v0, 0
	global_store_dwordx2 v0, v[36:37], s[18:19]
.LBB92_136:
	s_or_b64 exec, exec, s[8:9]
                                        ; implicit-def: $vgpr34_vgpr35_vgpr36_vgpr37
.LBB92_137:
	s_andn2_saveexec_b64 s[6:7], s[6:7]
	s_cbranch_execz .LBB92_139
; %bb.138:
	v_mov_b32_e32 v0, 0
	global_store_dwordx2 v0, v[34:35], s[18:19]
.LBB92_139:
	s_or_b64 exec, exec, s[6:7]
                                        ; implicit-def: $vgpr38_vgpr39_vgpr40_vgpr41
                                        ; implicit-def: $vgpr0_vgpr1
.LBB92_140:
	s_andn2_saveexec_b64 s[4:5], s[4:5]
	s_cbranch_execz .LBB92_146
; %bb.141:
	v_cmp_lt_i64_e32 vcc, 16, v[0:1]
	s_and_saveexec_b64 s[6:7], vcc
	s_xor_b64 s[6:7], exec, s[6:7]
	s_cbranch_execz .LBB92_143
; %bb.142:
	v_mov_b32_e32 v0, 0
	global_store_dwordx2 v0, v[40:41], s[18:19]
                                        ; implicit-def: $vgpr38_vgpr39_vgpr40_vgpr41
.LBB92_143:
	s_andn2_saveexec_b64 s[6:7], s[6:7]
	s_cbranch_execz .LBB92_145
; %bb.144:
	v_mov_b32_e32 v0, 0
	global_store_dwordx2 v0, v[38:39], s[18:19]
.LBB92_145:
	s_or_b64 exec, exec, s[6:7]
.LBB92_146:
	s_or_b64 exec, exec, s[4:5]
                                        ; implicit-def: $vgpr0_vgpr1
                                        ; implicit-def: $vgpr2_vgpr3_vgpr4_vgpr5
                                        ; implicit-def: $vgpr22_vgpr23_vgpr24_vgpr25
                                        ; implicit-def: $vgpr30_vgpr31_vgpr32_vgpr33
.LBB92_147:
	s_andn2_saveexec_b64 s[2:3], s[2:3]
	s_cbranch_execz .LBB92_165
; %bb.148:
	v_cmp_lt_i64_e32 vcc, 12, v[0:1]
	s_and_saveexec_b64 s[4:5], vcc
	s_xor_b64 s[4:5], exec, s[4:5]
	s_cbranch_execz .LBB92_158
; %bb.149:
	v_cmp_lt_i64_e32 vcc, 13, v[0:1]
	s_and_saveexec_b64 s[6:7], vcc
	s_xor_b64 s[6:7], exec, s[6:7]
	;; [unrolled: 5-line block ×3, first 2 shown]
	s_cbranch_execz .LBB92_152
; %bb.151:
	v_mov_b32_e32 v0, 0
	global_store_dwordx2 v0, v[32:33], s[18:19]
                                        ; implicit-def: $vgpr30_vgpr31_vgpr32_vgpr33
.LBB92_152:
	s_andn2_saveexec_b64 s[8:9], s[8:9]
	s_cbranch_execz .LBB92_154
; %bb.153:
	v_mov_b32_e32 v0, 0
	global_store_dwordx2 v0, v[30:31], s[18:19]
.LBB92_154:
	s_or_b64 exec, exec, s[8:9]
                                        ; implicit-def: $vgpr22_vgpr23_vgpr24_vgpr25
.LBB92_155:
	s_andn2_saveexec_b64 s[6:7], s[6:7]
	s_cbranch_execz .LBB92_157
; %bb.156:
	v_mov_b32_e32 v0, 0
	global_store_dwordx2 v0, v[24:25], s[18:19]
.LBB92_157:
	s_or_b64 exec, exec, s[6:7]
                                        ; implicit-def: $vgpr2_vgpr3_vgpr4_vgpr5
                                        ; implicit-def: $vgpr0_vgpr1
                                        ; implicit-def: $vgpr22_vgpr23_vgpr24_vgpr25
.LBB92_158:
	s_andn2_saveexec_b64 s[4:5], s[4:5]
	s_cbranch_execz .LBB92_164
; %bb.159:
	v_cmp_lt_i64_e32 vcc, 11, v[0:1]
	s_and_saveexec_b64 s[6:7], vcc
	s_xor_b64 s[6:7], exec, s[6:7]
	s_cbranch_execz .LBB92_161
; %bb.160:
	v_mov_b32_e32 v0, 0
	global_store_dwordx2 v0, v[22:23], s[18:19]
                                        ; implicit-def: $vgpr2_vgpr3_vgpr4_vgpr5
.LBB92_161:
	s_andn2_saveexec_b64 s[6:7], s[6:7]
	s_cbranch_execz .LBB92_163
; %bb.162:
	v_mov_b32_e32 v0, 0
	global_store_dwordx2 v0, v[4:5], s[18:19]
.LBB92_163:
	s_or_b64 exec, exec, s[6:7]
.LBB92_164:
	s_or_b64 exec, exec, s[4:5]
.LBB92_165:
	s_or_b64 exec, exec, s[2:3]
                                        ; implicit-def: $vgpr0_vgpr1
                                        ; implicit-def: $vgpr26_vgpr27_vgpr28_vgpr29
                                        ; implicit-def: $vgpr10_vgpr11_vgpr12_vgpr13
                                        ; implicit-def: $vgpr6_vgpr7_vgpr8_vgpr9
                                        ; implicit-def: $vgpr18_vgpr19_vgpr20_vgpr21
                                        ; implicit-def: $vgpr14_vgpr15_vgpr16_vgpr17
                                        ; implicit-def: $vgpr2_vgpr3_vgpr4_vgpr5
.LBB92_166:
	s_andn2_saveexec_b64 s[0:1], s[0:1]
	s_cbranch_execz .LBB92_204
; %bb.167:
	v_cmp_lt_i64_e32 vcc, 5, v[0:1]
	s_and_saveexec_b64 s[0:1], vcc
	s_xor_b64 s[0:1], exec, s[0:1]
	s_cbranch_execz .LBB92_185
; %bb.168:
	v_cmp_lt_i64_e32 vcc, 7, v[0:1]
	s_and_saveexec_b64 s[2:3], vcc
	s_xor_b64 s[2:3], exec, s[2:3]
	;; [unrolled: 5-line block ×4, first 2 shown]
	s_cbranch_execz .LBB92_172
; %bb.171:
	v_mov_b32_e32 v0, 0
	global_store_dwordx2 v0, v[2:3], s[18:19]
                                        ; implicit-def: $vgpr18_vgpr19_vgpr20_vgpr21
.LBB92_172:
	s_andn2_saveexec_b64 s[6:7], s[6:7]
	s_cbranch_execz .LBB92_174
; %bb.173:
	v_mov_b32_e32 v0, 0
	global_store_dwordx2 v0, v[20:21], s[18:19]
.LBB92_174:
	s_or_b64 exec, exec, s[6:7]
                                        ; implicit-def: $vgpr18_vgpr19_vgpr20_vgpr21
.LBB92_175:
	s_andn2_saveexec_b64 s[4:5], s[4:5]
	s_cbranch_execz .LBB92_177
; %bb.176:
	v_mov_b32_e32 v0, 0
	global_store_dwordx2 v0, v[18:19], s[18:19]
.LBB92_177:
	s_or_b64 exec, exec, s[4:5]
                                        ; implicit-def: $vgpr26_vgpr27_vgpr28_vgpr29
                                        ; implicit-def: $vgpr0_vgpr1
.LBB92_178:
	s_andn2_saveexec_b64 s[2:3], s[2:3]
	s_cbranch_execz .LBB92_184
; %bb.179:
	v_cmp_lt_i64_e32 vcc, 6, v[0:1]
	s_and_saveexec_b64 s[4:5], vcc
	s_xor_b64 s[4:5], exec, s[4:5]
	s_cbranch_execz .LBB92_181
; %bb.180:
	v_mov_b32_e32 v0, 0
	global_store_dwordx2 v0, v[28:29], s[18:19]
                                        ; implicit-def: $vgpr26_vgpr27_vgpr28_vgpr29
.LBB92_181:
	s_andn2_saveexec_b64 s[4:5], s[4:5]
	s_cbranch_execz .LBB92_183
; %bb.182:
	v_mov_b32_e32 v0, 0
	global_store_dwordx2 v0, v[26:27], s[18:19]
.LBB92_183:
	s_or_b64 exec, exec, s[4:5]
.LBB92_184:
	s_or_b64 exec, exec, s[2:3]
                                        ; implicit-def: $vgpr0_vgpr1
                                        ; implicit-def: $vgpr10_vgpr11_vgpr12_vgpr13
                                        ; implicit-def: $vgpr6_vgpr7_vgpr8_vgpr9
                                        ; implicit-def: $vgpr14_vgpr15_vgpr16_vgpr17
.LBB92_185:
	s_andn2_saveexec_b64 s[0:1], s[0:1]
	s_cbranch_execz .LBB92_204
; %bb.186:
	v_cmp_lt_i64_e32 vcc, 2, v[0:1]
	s_and_saveexec_b64 s[0:1], vcc
	s_xor_b64 s[0:1], exec, s[0:1]
	s_cbranch_execz .LBB92_196
; %bb.187:
	v_cmp_lt_i64_e32 vcc, 3, v[0:1]
	s_and_saveexec_b64 s[2:3], vcc
	s_xor_b64 s[2:3], exec, s[2:3]
	;; [unrolled: 5-line block ×3, first 2 shown]
	s_cbranch_execz .LBB92_190
; %bb.189:
	v_mov_b32_e32 v0, 0
	global_store_dwordx2 v0, v[16:17], s[18:19]
                                        ; implicit-def: $vgpr14_vgpr15_vgpr16_vgpr17
.LBB92_190:
	s_andn2_saveexec_b64 s[4:5], s[4:5]
	s_cbranch_execz .LBB92_192
; %bb.191:
	v_mov_b32_e32 v0, 0
	global_store_dwordx2 v0, v[14:15], s[18:19]
.LBB92_192:
	s_or_b64 exec, exec, s[4:5]
                                        ; implicit-def: $vgpr10_vgpr11_vgpr12_vgpr13
.LBB92_193:
	s_andn2_saveexec_b64 s[2:3], s[2:3]
	s_cbranch_execz .LBB92_195
; %bb.194:
	v_mov_b32_e32 v0, 0
	global_store_dwordx2 v0, v[12:13], s[18:19]
.LBB92_195:
	s_or_b64 exec, exec, s[2:3]
                                        ; implicit-def: $vgpr0_vgpr1
                                        ; implicit-def: $vgpr10_vgpr11_vgpr12_vgpr13
                                        ; implicit-def: $vgpr6_vgpr7_vgpr8_vgpr9
.LBB92_196:
	s_andn2_saveexec_b64 s[0:1], s[0:1]
	s_cbranch_execz .LBB92_204
; %bb.197:
	v_cmp_lt_i64_e32 vcc, 1, v[0:1]
	s_and_saveexec_b64 s[0:1], vcc
	s_xor_b64 s[0:1], exec, s[0:1]
	s_cbranch_execz .LBB92_199
; %bb.198:
	v_mov_b32_e32 v0, 0
	global_store_dwordx2 v0, v[10:11], s[18:19]
                                        ; implicit-def: $vgpr6_vgpr7_vgpr8_vgpr9
                                        ; implicit-def: $vgpr0_vgpr1
.LBB92_199:
	s_andn2_saveexec_b64 s[0:1], s[0:1]
	s_cbranch_execz .LBB92_204
; %bb.200:
	v_cmp_ne_u64_e32 vcc, 1, v[0:1]
	s_and_saveexec_b64 s[0:1], vcc
	s_xor_b64 s[0:1], exec, s[0:1]
	s_cbranch_execz .LBB92_202
; %bb.201:
	v_mov_b32_e32 v0, 0
	global_store_dwordx2 v0, v[6:7], s[18:19]
                                        ; implicit-def: $vgpr6_vgpr7_vgpr8_vgpr9
.LBB92_202:
	s_andn2_saveexec_b64 s[0:1], s[0:1]
	s_cbranch_execz .LBB92_204
; %bb.203:
	v_mov_b32_e32 v0, 0
	global_store_dwordx2 v0, v[8:9], s[18:19]
.LBB92_204:
	s_endpgm
	.section	.rodata,"a",@progbits
	.p2align	6, 0x0
	.amdhsa_kernel _ZN7rocprim6detail20lookback_scan_kernelILNS0_25lookback_scan_determinismE0ELb1ENS0_19wrapped_scan_configINS_14default_configEyEEPyS6_N6hipcub3MinEyyNS0_19lookback_scan_stateIyLb0ELb1EEEEEvT2_T3_mT5_T4_T7_jPT6_SH_bb
		.amdhsa_group_segment_fixed_size 10752
		.amdhsa_private_segment_fixed_size 0
		.amdhsa_kernarg_size 76
		.amdhsa_user_sgpr_count 6
		.amdhsa_user_sgpr_private_segment_buffer 1
		.amdhsa_user_sgpr_dispatch_ptr 0
		.amdhsa_user_sgpr_queue_ptr 0
		.amdhsa_user_sgpr_kernarg_segment_ptr 1
		.amdhsa_user_sgpr_dispatch_id 0
		.amdhsa_user_sgpr_flat_scratch_init 0
		.amdhsa_user_sgpr_kernarg_preload_length 0
		.amdhsa_user_sgpr_kernarg_preload_offset 0
		.amdhsa_user_sgpr_private_segment_size 0
		.amdhsa_uses_dynamic_stack 0
		.amdhsa_system_sgpr_private_segment_wavefront_offset 0
		.amdhsa_system_sgpr_workgroup_id_x 1
		.amdhsa_system_sgpr_workgroup_id_y 0
		.amdhsa_system_sgpr_workgroup_id_z 0
		.amdhsa_system_sgpr_workgroup_info 0
		.amdhsa_system_vgpr_workitem_id 0
		.amdhsa_next_free_vgpr 91
		.amdhsa_next_free_sgpr 28
		.amdhsa_accum_offset 92
		.amdhsa_reserve_vcc 1
		.amdhsa_reserve_flat_scratch 0
		.amdhsa_float_round_mode_32 0
		.amdhsa_float_round_mode_16_64 0
		.amdhsa_float_denorm_mode_32 3
		.amdhsa_float_denorm_mode_16_64 3
		.amdhsa_dx10_clamp 1
		.amdhsa_ieee_mode 1
		.amdhsa_fp16_overflow 0
		.amdhsa_tg_split 0
		.amdhsa_exception_fp_ieee_invalid_op 0
		.amdhsa_exception_fp_denorm_src 0
		.amdhsa_exception_fp_ieee_div_zero 0
		.amdhsa_exception_fp_ieee_overflow 0
		.amdhsa_exception_fp_ieee_underflow 0
		.amdhsa_exception_fp_ieee_inexact 0
		.amdhsa_exception_int_div_zero 0
	.end_amdhsa_kernel
	.section	.text._ZN7rocprim6detail20lookback_scan_kernelILNS0_25lookback_scan_determinismE0ELb1ENS0_19wrapped_scan_configINS_14default_configEyEEPyS6_N6hipcub3MinEyyNS0_19lookback_scan_stateIyLb0ELb1EEEEEvT2_T3_mT5_T4_T7_jPT6_SH_bb,"axG",@progbits,_ZN7rocprim6detail20lookback_scan_kernelILNS0_25lookback_scan_determinismE0ELb1ENS0_19wrapped_scan_configINS_14default_configEyEEPyS6_N6hipcub3MinEyyNS0_19lookback_scan_stateIyLb0ELb1EEEEEvT2_T3_mT5_T4_T7_jPT6_SH_bb,comdat
.Lfunc_end92:
	.size	_ZN7rocprim6detail20lookback_scan_kernelILNS0_25lookback_scan_determinismE0ELb1ENS0_19wrapped_scan_configINS_14default_configEyEEPyS6_N6hipcub3MinEyyNS0_19lookback_scan_stateIyLb0ELb1EEEEEvT2_T3_mT5_T4_T7_jPT6_SH_bb, .Lfunc_end92-_ZN7rocprim6detail20lookback_scan_kernelILNS0_25lookback_scan_determinismE0ELb1ENS0_19wrapped_scan_configINS_14default_configEyEEPyS6_N6hipcub3MinEyyNS0_19lookback_scan_stateIyLb0ELb1EEEEEvT2_T3_mT5_T4_T7_jPT6_SH_bb
                                        ; -- End function
	.section	.AMDGPU.csdata,"",@progbits
; Kernel info:
; codeLenInByte = 7948
; NumSgprs: 32
; NumVgprs: 91
; NumAgprs: 0
; TotalNumVgprs: 91
; ScratchSize: 0
; MemoryBound: 1
; FloatMode: 240
; IeeeMode: 1
; LDSByteSize: 10752 bytes/workgroup (compile time only)
; SGPRBlocks: 3
; VGPRBlocks: 11
; NumSGPRsForWavesPerEU: 32
; NumVGPRsForWavesPerEU: 91
; AccumOffset: 92
; Occupancy: 2
; WaveLimiterHint : 1
; COMPUTE_PGM_RSRC2:SCRATCH_EN: 0
; COMPUTE_PGM_RSRC2:USER_SGPR: 6
; COMPUTE_PGM_RSRC2:TRAP_HANDLER: 0
; COMPUTE_PGM_RSRC2:TGID_X_EN: 1
; COMPUTE_PGM_RSRC2:TGID_Y_EN: 0
; COMPUTE_PGM_RSRC2:TGID_Z_EN: 0
; COMPUTE_PGM_RSRC2:TIDIG_COMP_CNT: 0
; COMPUTE_PGM_RSRC3_GFX90A:ACCUM_OFFSET: 22
; COMPUTE_PGM_RSRC3_GFX90A:TG_SPLIT: 0
	.section	.text._ZN7rocprim6detail18single_scan_kernelILb1ENS0_19wrapped_scan_configINS_14default_configEyEEPyS5_N6hipcub3MinEyyEEvT1_mT4_T2_T3_,"axG",@progbits,_ZN7rocprim6detail18single_scan_kernelILb1ENS0_19wrapped_scan_configINS_14default_configEyEEPyS5_N6hipcub3MinEyyEEvT1_mT4_T2_T3_,comdat
	.protected	_ZN7rocprim6detail18single_scan_kernelILb1ENS0_19wrapped_scan_configINS_14default_configEyEEPyS5_N6hipcub3MinEyyEEvT1_mT4_T2_T3_ ; -- Begin function _ZN7rocprim6detail18single_scan_kernelILb1ENS0_19wrapped_scan_configINS_14default_configEyEEPyS5_N6hipcub3MinEyyEEvT1_mT4_T2_T3_
	.globl	_ZN7rocprim6detail18single_scan_kernelILb1ENS0_19wrapped_scan_configINS_14default_configEyEEPyS5_N6hipcub3MinEyyEEvT1_mT4_T2_T3_
	.p2align	8
	.type	_ZN7rocprim6detail18single_scan_kernelILb1ENS0_19wrapped_scan_configINS_14default_configEyEEPyS5_N6hipcub3MinEyyEEvT1_mT4_T2_T3_,@function
_ZN7rocprim6detail18single_scan_kernelILb1ENS0_19wrapped_scan_configINS_14default_configEyEEPyS5_N6hipcub3MinEyyEEvT1_mT4_T2_T3_: ; @_ZN7rocprim6detail18single_scan_kernelILb1ENS0_19wrapped_scan_configINS_14default_configEyEEPyS5_N6hipcub3MinEyyEEvT1_mT4_T2_T3_
; %bb.0:
	s_load_dwordx8 s[44:51], s[4:5], 0x0
	v_lshlrev_b32_e32 v48, 3, v0
	s_waitcnt lgkmcnt(0)
	s_load_dwordx2 s[52:53], s[44:45], 0x0
	v_mov_b32_e32 v1, s45
	v_add_co_u32_e32 v4, vcc, s44, v48
	v_addc_co_u32_e32 v5, vcc, 0, v1, vcc
	v_cmp_gt_u32_e64 s[0:1], s46, v0
	s_waitcnt lgkmcnt(0)
	v_pk_mov_b32 v[2:3], s[52:53], s[52:53] op_sel:[0,1]
	s_and_saveexec_b64 s[2:3], s[0:1]
	s_cbranch_execz .LBB93_2
; %bb.1:
	global_load_dwordx2 v[2:3], v[4:5], off
.LBB93_2:
	s_or_b64 exec, exec, s[2:3]
	v_or_b32_e32 v1, 64, v0
	v_cmp_gt_u32_e64 s[2:3], s46, v1
	v_pk_mov_b32 v[6:7], s[52:53], s[52:53] op_sel:[0,1]
	s_and_saveexec_b64 s[4:5], s[2:3]
	s_cbranch_execz .LBB93_4
; %bb.3:
	global_load_dwordx2 v[6:7], v[4:5], off offset:512
.LBB93_4:
	s_or_b64 exec, exec, s[4:5]
	v_or_b32_e32 v1, 0x80, v0
	v_cmp_gt_u32_e64 s[4:5], s46, v1
	v_pk_mov_b32 v[8:9], s[52:53], s[52:53] op_sel:[0,1]
	s_and_saveexec_b64 s[6:7], s[4:5]
	s_cbranch_execz .LBB93_6
; %bb.5:
	global_load_dwordx2 v[8:9], v[4:5], off offset:1024
.LBB93_6:
	;; [unrolled: 9-line block ×7, first 2 shown]
	s_or_b64 exec, exec, s[16:17]
	v_or_b32_e32 v1, 0x200, v0
	v_cmp_gt_u32_e64 s[16:17], s46, v1
	v_pk_mov_b32 v[20:21], s[52:53], s[52:53] op_sel:[0,1]
	s_and_saveexec_b64 s[18:19], s[16:17]
	s_cbranch_execz .LBB93_18
; %bb.17:
	v_add_co_u32_e32 v20, vcc, 0x1000, v4
	v_addc_co_u32_e32 v21, vcc, 0, v5, vcc
	global_load_dwordx2 v[20:21], v[20:21], off
.LBB93_18:
	s_or_b64 exec, exec, s[18:19]
	v_or_b32_e32 v1, 0x240, v0
	v_cmp_gt_u32_e64 s[18:19], s46, v1
	v_pk_mov_b32 v[22:23], s[52:53], s[52:53] op_sel:[0,1]
	s_and_saveexec_b64 s[20:21], s[18:19]
	s_cbranch_execz .LBB93_20
; %bb.19:
	v_add_co_u32_e32 v22, vcc, 0x1000, v4
	v_addc_co_u32_e32 v23, vcc, 0, v5, vcc
	global_load_dwordx2 v[22:23], v[22:23], off offset:512
.LBB93_20:
	s_or_b64 exec, exec, s[20:21]
	v_or_b32_e32 v1, 0x280, v0
	v_cmp_gt_u32_e64 s[20:21], s46, v1
	v_pk_mov_b32 v[24:25], s[52:53], s[52:53] op_sel:[0,1]
	s_and_saveexec_b64 s[22:23], s[20:21]
	s_cbranch_execz .LBB93_22
; %bb.21:
	v_add_co_u32_e32 v24, vcc, 0x1000, v4
	v_addc_co_u32_e32 v25, vcc, 0, v5, vcc
	global_load_dwordx2 v[24:25], v[24:25], off offset:1024
.LBB93_22:
	;; [unrolled: 11-line block ×7, first 2 shown]
	s_or_b64 exec, exec, s[34:35]
	v_or_b32_e32 v1, 0x400, v0
	v_cmp_gt_u32_e64 s[34:35], s46, v1
	v_pk_mov_b32 v[36:37], s[52:53], s[52:53] op_sel:[0,1]
	s_and_saveexec_b64 s[36:37], s[34:35]
	s_cbranch_execz .LBB93_34
; %bb.33:
	v_add_co_u32_e32 v36, vcc, 0x2000, v4
	v_addc_co_u32_e32 v37, vcc, 0, v5, vcc
	global_load_dwordx2 v[36:37], v[36:37], off
.LBB93_34:
	s_or_b64 exec, exec, s[36:37]
	v_or_b32_e32 v1, 0x440, v0
	v_cmp_gt_u32_e64 s[36:37], s46, v1
	v_pk_mov_b32 v[38:39], s[52:53], s[52:53] op_sel:[0,1]
	s_and_saveexec_b64 s[38:39], s[36:37]
	s_cbranch_execz .LBB93_36
; %bb.35:
	v_add_co_u32_e32 v38, vcc, 0x2000, v4
	v_addc_co_u32_e32 v39, vcc, 0, v5, vcc
	global_load_dwordx2 v[38:39], v[38:39], off offset:512
.LBB93_36:
	s_or_b64 exec, exec, s[38:39]
	v_or_b32_e32 v1, 0x480, v0
	v_cmp_gt_u32_e64 s[38:39], s46, v1
	v_pk_mov_b32 v[40:41], s[52:53], s[52:53] op_sel:[0,1]
	s_and_saveexec_b64 s[40:41], s[38:39]
	s_cbranch_execz .LBB93_38
; %bb.37:
	v_add_co_u32_e32 v40, vcc, 0x2000, v4
	v_addc_co_u32_e32 v41, vcc, 0, v5, vcc
	global_load_dwordx2 v[40:41], v[40:41], off offset:1024
.LBB93_38:
	;; [unrolled: 11-line block ×4, first 2 shown]
	s_or_b64 exec, exec, s[44:45]
	s_movk_i32 s33, 0xa0
	v_mad_u32_u24 v1, v0, s33, v48
	s_waitcnt vmcnt(0)
	ds_write2st64_b64 v48, v[2:3], v[6:7] offset1:1
	ds_write2st64_b64 v48, v[8:9], v[10:11] offset0:2 offset1:3
	ds_write2st64_b64 v48, v[12:13], v[14:15] offset0:4 offset1:5
	;; [unrolled: 1-line block ×9, first 2 shown]
	ds_write_b64 v48, v[44:45] offset:10240
	s_waitcnt lgkmcnt(0)
	; wave barrier
	s_waitcnt lgkmcnt(0)
	ds_read2_b64 v[38:41], v1 offset1:1
	ds_read2_b64 v[34:37], v1 offset0:2 offset1:3
	ds_read2_b64 v[30:33], v1 offset0:4 offset1:5
	;; [unrolled: 1-line block ×9, first 2 shown]
	ds_read_b64 v[42:43], v1 offset:160
	s_waitcnt lgkmcnt(10)
	v_cmp_lt_u64_e32 vcc, v[38:39], v[40:41]
	v_cndmask_b32_e32 v45, v41, v39, vcc
	v_cndmask_b32_e32 v44, v40, v38, vcc
	s_waitcnt lgkmcnt(9)
	v_cmp_lt_u64_e32 vcc, v[44:45], v[34:35]
	v_cndmask_b32_e32 v45, v35, v45, vcc
	v_cndmask_b32_e32 v44, v34, v44, vcc
	v_cmp_lt_u64_e32 vcc, v[44:45], v[36:37]
	v_cndmask_b32_e32 v45, v37, v45, vcc
	v_cndmask_b32_e32 v44, v36, v44, vcc
	s_waitcnt lgkmcnt(8)
	v_cmp_lt_u64_e32 vcc, v[44:45], v[30:31]
	v_cndmask_b32_e32 v45, v31, v45, vcc
	v_cndmask_b32_e32 v44, v30, v44, vcc
	;; [unrolled: 7-line block ×10, first 2 shown]
	v_mbcnt_lo_u32_b32 v44, -1, 0
	v_mbcnt_hi_u32_b32 v49, -1, v44
	v_mov_b32_dpp v45, v43 row_shr:1 row_mask:0xf bank_mask:0xf
	v_mov_b32_dpp v44, v42 row_shr:1 row_mask:0xf bank_mask:0xf
	v_and_b32_e32 v50, 15, v49
	v_cmp_lt_u64_e32 vcc, v[44:45], v[42:43]
	v_cndmask_b32_e32 v44, v42, v44, vcc
	v_cndmask_b32_e32 v45, v43, v45, vcc
	v_cmp_eq_u32_e32 vcc, 0, v50
	v_cndmask_b32_e32 v45, v45, v43, vcc
	v_cndmask_b32_e32 v44, v44, v42, vcc
	v_and_b32_e32 v52, 16, v49
	v_mov_b32_dpp v47, v45 row_shr:2 row_mask:0xf bank_mask:0xf
	v_mov_b32_dpp v46, v44 row_shr:2 row_mask:0xf bank_mask:0xf
	v_cmp_lt_u64_e32 vcc, v[46:47], v[44:45]
	v_cndmask_b32_e32 v46, v44, v46, vcc
	v_cndmask_b32_e32 v47, v45, v47, vcc
	v_cmp_lt_u32_e32 vcc, 1, v50
	v_cndmask_b32_e32 v45, v45, v47, vcc
	v_cndmask_b32_e32 v44, v44, v46, vcc
	v_cmp_eq_u32_e64 s[44:45], 0, v52
	v_mov_b32_dpp v47, v45 row_shr:4 row_mask:0xf bank_mask:0xf
	v_mov_b32_dpp v46, v44 row_shr:4 row_mask:0xf bank_mask:0xf
	v_cmp_lt_u64_e32 vcc, v[46:47], v[44:45]
	v_cndmask_b32_e32 v46, v44, v46, vcc
	v_cndmask_b32_e32 v47, v45, v47, vcc
	v_cmp_lt_u32_e32 vcc, 3, v50
	v_cndmask_b32_e32 v45, v45, v47, vcc
	v_cndmask_b32_e32 v44, v44, v46, vcc
	v_cmp_ne_u32_e64 s[46:47], 0, v49
	v_mov_b32_dpp v47, v45 row_shr:8 row_mask:0xf bank_mask:0xf
	v_mov_b32_dpp v46, v44 row_shr:8 row_mask:0xf bank_mask:0xf
	v_cmp_lt_u64_e32 vcc, v[46:47], v[44:45]
	v_cndmask_b32_e32 v46, v44, v46, vcc
	v_cndmask_b32_e32 v47, v45, v47, vcc
	v_cmp_lt_u32_e32 vcc, 7, v50
	v_cndmask_b32_e32 v45, v45, v47, vcc
	v_cndmask_b32_e32 v44, v44, v46, vcc
	s_nop 0
	v_mov_b32_dpp v47, v45 row_bcast:15 row_mask:0xf bank_mask:0xf
	v_mov_b32_dpp v46, v44 row_bcast:15 row_mask:0xf bank_mask:0xf
	v_cmp_lt_u64_e32 vcc, v[46:47], v[44:45]
	v_cndmask_b32_e32 v50, v45, v47, vcc
	v_cndmask_b32_e32 v51, v44, v46, vcc
	v_cndmask_b32_e64 v47, v50, v45, s[44:45]
	v_cndmask_b32_e64 v46, v51, v44, s[44:45]
	v_cmp_eq_u32_e32 vcc, 0, v49
	v_mov_b32_dpp v47, v47 row_bcast:31 row_mask:0xf bank_mask:0xf
	v_mov_b32_dpp v46, v46 row_bcast:31 row_mask:0xf bank_mask:0xf
	; wave barrier
	s_and_saveexec_b64 s[52:53], s[46:47]
; %bb.43:
	v_cndmask_b32_e64 v43, v50, v45, s[44:45]
	v_cndmask_b32_e64 v42, v51, v44, s[44:45]
	v_cmp_lt_u64_e64 s[44:45], v[46:47], v[42:43]
	v_cmp_lt_u32_e64 s[46:47], 31, v49
	v_cndmask_b32_e64 v44, v43, v47, s[44:45]
	s_and_b64 s[44:45], s[46:47], s[44:45]
	v_cndmask_b32_e64 v43, v43, v44, s[46:47]
	v_cndmask_b32_e64 v42, v42, v46, s[44:45]
; %bb.44:
	s_or_b64 exec, exec, s[52:53]
	v_cmp_eq_u32_e64 s[44:45], 63, v0
	s_and_saveexec_b64 s[46:47], s[44:45]
	s_cbranch_execz .LBB93_46
; %bb.45:
	v_mov_b32_e32 v44, 0
	ds_write_b64 v44, v[42:43]
.LBB93_46:
	s_or_b64 exec, exec, s[46:47]
	v_mov_b32_e32 v44, s49
	v_cmp_lt_u64_e64 s[44:45], s[48:49], v[42:43]
	v_mov_b32_e32 v45, s48
	v_add_u32_e32 v46, -1, v49
	v_and_b32_e32 v47, 64, v49
	v_cndmask_b32_e64 v43, v43, v44, s[44:45]
	v_cndmask_b32_e64 v42, v42, v45, s[44:45]
	v_cmp_lt_i32_e64 s[44:45], v46, v47
	v_cndmask_b32_e64 v46, v46, v49, s[44:45]
	v_lshlrev_b32_e32 v46, 2, v46
	ds_bpermute_b32 v43, v46, v43
	ds_bpermute_b32 v42, v46, v42
	v_cmp_eq_u32_e64 s[44:45], 0, v0
	s_or_b64 vcc, s[44:45], vcc
	s_movk_i32 s33, 0xff60
	s_waitcnt lgkmcnt(1)
	v_cndmask_b32_e32 v43, v43, v44, vcc
	s_waitcnt lgkmcnt(0)
	v_cndmask_b32_e32 v42, v42, v45, vcc
	v_cmp_lt_u64_e32 vcc, v[42:43], v[38:39]
	v_cndmask_b32_e32 v39, v39, v43, vcc
	v_cndmask_b32_e32 v38, v38, v42, vcc
	v_cmp_lt_u64_e32 vcc, v[38:39], v[40:41]
	v_cndmask_b32_e32 v41, v41, v39, vcc
	;; [unrolled: 3-line block ×19, first 2 shown]
	v_cndmask_b32_e32 v2, v2, v8, vcc
	v_cmp_lt_u64_e32 vcc, v[2:3], v[4:5]
	s_waitcnt lgkmcnt(0)
	; wave barrier
	v_cndmask_b32_e32 v5, v5, v3, vcc
	v_cndmask_b32_e32 v4, v4, v2, vcc
	s_waitcnt lgkmcnt(0)
	; wave barrier
	ds_write2_b64 v1, v[42:43], v[38:39] offset1:1
	ds_write2_b64 v1, v[40:41], v[34:35] offset0:2 offset1:3
	ds_write2_b64 v1, v[36:37], v[30:31] offset0:4 offset1:5
	;; [unrolled: 1-line block ×9, first 2 shown]
	ds_write_b64 v1, v[4:5] offset:160
	v_mad_i32_i24 v36, v0, s33, v1
	s_waitcnt lgkmcnt(0)
	; wave barrier
	s_waitcnt lgkmcnt(0)
	ds_read2st64_b64 v[32:35], v36 offset0:1 offset1:2
	ds_read2st64_b64 v[28:31], v36 offset0:3 offset1:4
	;; [unrolled: 1-line block ×7, first 2 shown]
	ds_read_b64 v[40:41], v48 offset:8192
	ds_read2st64_b64 v[8:11], v36 offset0:13 offset1:14
	ds_read2st64_b64 v[0:3], v36 offset0:18 offset1:19
	ds_read_b64 v[36:37], v36 offset:10240
	v_mov_b32_e32 v39, s51
	v_add_co_u32_e32 v38, vcc, s50, v48
	v_addc_co_u32_e32 v39, vcc, 0, v39, vcc
	s_and_saveexec_b64 s[44:45], s[0:1]
	s_cbranch_execnz .LBB93_68
; %bb.47:
	s_or_b64 exec, exec, s[44:45]
	s_and_saveexec_b64 s[0:1], s[2:3]
	s_cbranch_execnz .LBB93_69
.LBB93_48:
	s_or_b64 exec, exec, s[0:1]
	s_and_saveexec_b64 s[0:1], s[4:5]
	s_cbranch_execnz .LBB93_70
.LBB93_49:
	s_or_b64 exec, exec, s[0:1]
	s_and_saveexec_b64 s[0:1], s[6:7]
	s_cbranch_execnz .LBB93_71
.LBB93_50:
	s_or_b64 exec, exec, s[0:1]
	s_and_saveexec_b64 s[0:1], s[8:9]
	s_cbranch_execnz .LBB93_72
.LBB93_51:
	s_or_b64 exec, exec, s[0:1]
	s_and_saveexec_b64 s[0:1], s[10:11]
	s_cbranch_execnz .LBB93_73
.LBB93_52:
	s_or_b64 exec, exec, s[0:1]
	s_and_saveexec_b64 s[0:1], s[12:13]
	s_cbranch_execnz .LBB93_74
.LBB93_53:
	s_or_b64 exec, exec, s[0:1]
	s_and_saveexec_b64 s[0:1], s[14:15]
	s_cbranch_execnz .LBB93_75
.LBB93_54:
	s_or_b64 exec, exec, s[0:1]
	s_and_saveexec_b64 s[0:1], s[16:17]
	s_cbranch_execnz .LBB93_76
.LBB93_55:
	s_or_b64 exec, exec, s[0:1]
	s_and_saveexec_b64 s[0:1], s[18:19]
	s_cbranch_execnz .LBB93_77
.LBB93_56:
	s_or_b64 exec, exec, s[0:1]
	s_and_saveexec_b64 s[0:1], s[20:21]
	s_cbranch_execnz .LBB93_78
.LBB93_57:
	s_or_b64 exec, exec, s[0:1]
	s_and_saveexec_b64 s[0:1], s[22:23]
	s_cbranch_execnz .LBB93_79
.LBB93_58:
	s_or_b64 exec, exec, s[0:1]
	s_and_saveexec_b64 s[0:1], s[24:25]
	s_cbranch_execnz .LBB93_80
.LBB93_59:
	s_or_b64 exec, exec, s[0:1]
	s_and_saveexec_b64 s[0:1], s[26:27]
	s_cbranch_execnz .LBB93_81
.LBB93_60:
	s_or_b64 exec, exec, s[0:1]
	s_and_saveexec_b64 s[0:1], s[28:29]
	s_cbranch_execnz .LBB93_82
.LBB93_61:
	s_or_b64 exec, exec, s[0:1]
	s_and_saveexec_b64 s[0:1], s[30:31]
	s_cbranch_execnz .LBB93_83
.LBB93_62:
	s_or_b64 exec, exec, s[0:1]
	s_and_saveexec_b64 s[0:1], s[34:35]
	s_cbranch_execnz .LBB93_84
.LBB93_63:
	s_or_b64 exec, exec, s[0:1]
	s_and_saveexec_b64 s[0:1], s[36:37]
	s_cbranch_execnz .LBB93_85
.LBB93_64:
	s_or_b64 exec, exec, s[0:1]
	s_and_saveexec_b64 s[0:1], s[38:39]
	s_cbranch_execnz .LBB93_86
.LBB93_65:
	s_or_b64 exec, exec, s[0:1]
	s_and_saveexec_b64 s[0:1], s[40:41]
	s_cbranch_execnz .LBB93_87
.LBB93_66:
	s_or_b64 exec, exec, s[0:1]
	s_and_saveexec_b64 s[0:1], s[42:43]
	s_cbranch_execnz .LBB93_88
.LBB93_67:
	s_endpgm
.LBB93_68:
	ds_read_b64 v[42:43], v48
	s_waitcnt lgkmcnt(0)
	global_store_dwordx2 v[38:39], v[42:43], off
	s_or_b64 exec, exec, s[44:45]
	s_and_saveexec_b64 s[0:1], s[2:3]
	s_cbranch_execz .LBB93_48
.LBB93_69:
	s_waitcnt lgkmcnt(10)
	global_store_dwordx2 v[38:39], v[32:33], off offset:512
	s_or_b64 exec, exec, s[0:1]
	s_and_saveexec_b64 s[0:1], s[4:5]
	s_cbranch_execz .LBB93_49
.LBB93_70:
	s_waitcnt lgkmcnt(10)
	global_store_dwordx2 v[38:39], v[34:35], off offset:1024
	s_or_b64 exec, exec, s[0:1]
	s_and_saveexec_b64 s[0:1], s[6:7]
	s_cbranch_execz .LBB93_50
.LBB93_71:
	s_waitcnt lgkmcnt(9)
	global_store_dwordx2 v[38:39], v[28:29], off offset:1536
	s_or_b64 exec, exec, s[0:1]
	s_and_saveexec_b64 s[0:1], s[8:9]
	s_cbranch_execz .LBB93_51
.LBB93_72:
	s_waitcnt lgkmcnt(9)
	global_store_dwordx2 v[38:39], v[30:31], off offset:2048
	s_or_b64 exec, exec, s[0:1]
	s_and_saveexec_b64 s[0:1], s[10:11]
	s_cbranch_execz .LBB93_52
.LBB93_73:
	s_waitcnt lgkmcnt(8)
	global_store_dwordx2 v[38:39], v[24:25], off offset:2560
	s_or_b64 exec, exec, s[0:1]
	s_and_saveexec_b64 s[0:1], s[12:13]
	s_cbranch_execz .LBB93_53
.LBB93_74:
	s_waitcnt lgkmcnt(8)
	global_store_dwordx2 v[38:39], v[26:27], off offset:3072
	s_or_b64 exec, exec, s[0:1]
	s_and_saveexec_b64 s[0:1], s[14:15]
	s_cbranch_execz .LBB93_54
.LBB93_75:
	s_waitcnt lgkmcnt(7)
	global_store_dwordx2 v[38:39], v[20:21], off offset:3584
	s_or_b64 exec, exec, s[0:1]
	s_and_saveexec_b64 s[0:1], s[16:17]
	s_cbranch_execz .LBB93_55
.LBB93_76:
	s_waitcnt lgkmcnt(7)
	v_add_co_u32_e32 v20, vcc, 0x1000, v38
	v_addc_co_u32_e32 v21, vcc, 0, v39, vcc
	global_store_dwordx2 v[20:21], v[22:23], off
	s_or_b64 exec, exec, s[0:1]
	s_and_saveexec_b64 s[0:1], s[18:19]
	s_cbranch_execz .LBB93_56
.LBB93_77:
	s_waitcnt lgkmcnt(7)
	v_add_co_u32_e32 v20, vcc, 0x1000, v38
	v_addc_co_u32_e32 v21, vcc, 0, v39, vcc
	s_waitcnt lgkmcnt(6)
	global_store_dwordx2 v[20:21], v[16:17], off offset:512
	s_or_b64 exec, exec, s[0:1]
	s_and_saveexec_b64 s[0:1], s[20:21]
	s_cbranch_execz .LBB93_57
.LBB93_78:
	s_waitcnt lgkmcnt(6)
	v_add_co_u32_e32 v16, vcc, 0x1000, v38
	v_addc_co_u32_e32 v17, vcc, 0, v39, vcc
	global_store_dwordx2 v[16:17], v[18:19], off offset:1024
	s_or_b64 exec, exec, s[0:1]
	s_and_saveexec_b64 s[0:1], s[22:23]
	s_cbranch_execz .LBB93_58
.LBB93_79:
	s_waitcnt lgkmcnt(6)
	v_add_co_u32_e32 v16, vcc, 0x1000, v38
	v_addc_co_u32_e32 v17, vcc, 0, v39, vcc
	s_waitcnt lgkmcnt(5)
	global_store_dwordx2 v[16:17], v[12:13], off offset:1536
	s_or_b64 exec, exec, s[0:1]
	s_and_saveexec_b64 s[0:1], s[24:25]
	s_cbranch_execz .LBB93_59
.LBB93_80:
	s_waitcnt lgkmcnt(5)
	v_add_co_u32_e32 v12, vcc, 0x1000, v38
	v_addc_co_u32_e32 v13, vcc, 0, v39, vcc
	global_store_dwordx2 v[12:13], v[14:15], off offset:2048
	s_or_b64 exec, exec, s[0:1]
	s_and_saveexec_b64 s[0:1], s[26:27]
	s_cbranch_execz .LBB93_60
.LBB93_81:
	s_waitcnt lgkmcnt(5)
	v_add_co_u32_e32 v12, vcc, 0x1000, v38
	v_addc_co_u32_e32 v13, vcc, 0, v39, vcc
	s_waitcnt lgkmcnt(2)
	global_store_dwordx2 v[12:13], v[8:9], off offset:2560
	s_or_b64 exec, exec, s[0:1]
	s_and_saveexec_b64 s[0:1], s[28:29]
	s_cbranch_execz .LBB93_61
.LBB93_82:
	s_waitcnt lgkmcnt(2)
	v_add_co_u32_e32 v8, vcc, 0x1000, v38
	v_addc_co_u32_e32 v9, vcc, 0, v39, vcc
	global_store_dwordx2 v[8:9], v[10:11], off offset:3072
	s_or_b64 exec, exec, s[0:1]
	s_and_saveexec_b64 s[0:1], s[30:31]
	s_cbranch_execz .LBB93_62
.LBB93_83:
	s_waitcnt lgkmcnt(2)
	v_add_co_u32_e32 v8, vcc, 0x1000, v38
	v_addc_co_u32_e32 v9, vcc, 0, v39, vcc
	global_store_dwordx2 v[8:9], v[4:5], off offset:3584
	s_or_b64 exec, exec, s[0:1]
	s_and_saveexec_b64 s[0:1], s[34:35]
	s_cbranch_execz .LBB93_63
.LBB93_84:
	s_waitcnt lgkmcnt(4)
	v_add_co_u32_e32 v4, vcc, 0x2000, v38
	v_addc_co_u32_e32 v5, vcc, 0, v39, vcc
	s_waitcnt lgkmcnt(3)
	global_store_dwordx2 v[4:5], v[40:41], off
	s_or_b64 exec, exec, s[0:1]
	s_and_saveexec_b64 s[0:1], s[36:37]
	s_cbranch_execz .LBB93_64
.LBB93_85:
	s_waitcnt lgkmcnt(4)
	v_add_co_u32_e32 v4, vcc, 0x2000, v38
	v_addc_co_u32_e32 v5, vcc, 0, v39, vcc
	global_store_dwordx2 v[4:5], v[6:7], off offset:512
	s_or_b64 exec, exec, s[0:1]
	s_and_saveexec_b64 s[0:1], s[38:39]
	s_cbranch_execz .LBB93_65
.LBB93_86:
	s_waitcnt lgkmcnt(4)
	v_add_co_u32_e32 v4, vcc, 0x2000, v38
	v_addc_co_u32_e32 v5, vcc, 0, v39, vcc
	s_waitcnt lgkmcnt(1)
	global_store_dwordx2 v[4:5], v[0:1], off offset:1024
	s_or_b64 exec, exec, s[0:1]
	s_and_saveexec_b64 s[0:1], s[40:41]
	s_cbranch_execz .LBB93_66
.LBB93_87:
	s_waitcnt lgkmcnt(1)
	v_add_co_u32_e32 v0, vcc, 0x2000, v38
	v_addc_co_u32_e32 v1, vcc, 0, v39, vcc
	global_store_dwordx2 v[0:1], v[2:3], off offset:1536
	s_or_b64 exec, exec, s[0:1]
	s_and_saveexec_b64 s[0:1], s[42:43]
	s_cbranch_execz .LBB93_67
.LBB93_88:
	s_waitcnt lgkmcnt(1)
	v_add_co_u32_e32 v0, vcc, 0x2000, v38
	v_addc_co_u32_e32 v1, vcc, 0, v39, vcc
	s_waitcnt lgkmcnt(0)
	global_store_dwordx2 v[0:1], v[36:37], off offset:2048
	s_endpgm
	.section	.rodata,"a",@progbits
	.p2align	6, 0x0
	.amdhsa_kernel _ZN7rocprim6detail18single_scan_kernelILb1ENS0_19wrapped_scan_configINS_14default_configEyEEPyS5_N6hipcub3MinEyyEEvT1_mT4_T2_T3_
		.amdhsa_group_segment_fixed_size 10752
		.amdhsa_private_segment_fixed_size 0
		.amdhsa_kernarg_size 36
		.amdhsa_user_sgpr_count 6
		.amdhsa_user_sgpr_private_segment_buffer 1
		.amdhsa_user_sgpr_dispatch_ptr 0
		.amdhsa_user_sgpr_queue_ptr 0
		.amdhsa_user_sgpr_kernarg_segment_ptr 1
		.amdhsa_user_sgpr_dispatch_id 0
		.amdhsa_user_sgpr_flat_scratch_init 0
		.amdhsa_user_sgpr_kernarg_preload_length 0
		.amdhsa_user_sgpr_kernarg_preload_offset 0
		.amdhsa_user_sgpr_private_segment_size 0
		.amdhsa_uses_dynamic_stack 0
		.amdhsa_system_sgpr_private_segment_wavefront_offset 0
		.amdhsa_system_sgpr_workgroup_id_x 1
		.amdhsa_system_sgpr_workgroup_id_y 0
		.amdhsa_system_sgpr_workgroup_id_z 0
		.amdhsa_system_sgpr_workgroup_info 0
		.amdhsa_system_vgpr_workitem_id 0
		.amdhsa_next_free_vgpr 53
		.amdhsa_next_free_sgpr 54
		.amdhsa_accum_offset 56
		.amdhsa_reserve_vcc 1
		.amdhsa_reserve_flat_scratch 0
		.amdhsa_float_round_mode_32 0
		.amdhsa_float_round_mode_16_64 0
		.amdhsa_float_denorm_mode_32 3
		.amdhsa_float_denorm_mode_16_64 3
		.amdhsa_dx10_clamp 1
		.amdhsa_ieee_mode 1
		.amdhsa_fp16_overflow 0
		.amdhsa_tg_split 0
		.amdhsa_exception_fp_ieee_invalid_op 0
		.amdhsa_exception_fp_denorm_src 0
		.amdhsa_exception_fp_ieee_div_zero 0
		.amdhsa_exception_fp_ieee_overflow 0
		.amdhsa_exception_fp_ieee_underflow 0
		.amdhsa_exception_fp_ieee_inexact 0
		.amdhsa_exception_int_div_zero 0
	.end_amdhsa_kernel
	.section	.text._ZN7rocprim6detail18single_scan_kernelILb1ENS0_19wrapped_scan_configINS_14default_configEyEEPyS5_N6hipcub3MinEyyEEvT1_mT4_T2_T3_,"axG",@progbits,_ZN7rocprim6detail18single_scan_kernelILb1ENS0_19wrapped_scan_configINS_14default_configEyEEPyS5_N6hipcub3MinEyyEEvT1_mT4_T2_T3_,comdat
.Lfunc_end93:
	.size	_ZN7rocprim6detail18single_scan_kernelILb1ENS0_19wrapped_scan_configINS_14default_configEyEEPyS5_N6hipcub3MinEyyEEvT1_mT4_T2_T3_, .Lfunc_end93-_ZN7rocprim6detail18single_scan_kernelILb1ENS0_19wrapped_scan_configINS_14default_configEyEEPyS5_N6hipcub3MinEyyEEvT1_mT4_T2_T3_
                                        ; -- End function
	.section	.AMDGPU.csdata,"",@progbits
; Kernel info:
; codeLenInByte = 3456
; NumSgprs: 58
; NumVgprs: 53
; NumAgprs: 0
; TotalNumVgprs: 53
; ScratchSize: 0
; MemoryBound: 0
; FloatMode: 240
; IeeeMode: 1
; LDSByteSize: 10752 bytes/workgroup (compile time only)
; SGPRBlocks: 7
; VGPRBlocks: 6
; NumSGPRsForWavesPerEU: 58
; NumVGPRsForWavesPerEU: 53
; AccumOffset: 56
; Occupancy: 2
; WaveLimiterHint : 0
; COMPUTE_PGM_RSRC2:SCRATCH_EN: 0
; COMPUTE_PGM_RSRC2:USER_SGPR: 6
; COMPUTE_PGM_RSRC2:TRAP_HANDLER: 0
; COMPUTE_PGM_RSRC2:TGID_X_EN: 1
; COMPUTE_PGM_RSRC2:TGID_Y_EN: 0
; COMPUTE_PGM_RSRC2:TGID_Z_EN: 0
; COMPUTE_PGM_RSRC2:TIDIG_COMP_CNT: 0
; COMPUTE_PGM_RSRC3_GFX90A:ACCUM_OFFSET: 13
; COMPUTE_PGM_RSRC3_GFX90A:TG_SPLIT: 0
	.section	.text._ZN7rocprim6detail25device_scan_by_key_kernelILNS0_25lookback_scan_determinismE0ELb1ENS0_26wrapped_scan_by_key_configINS_14default_configEiiEEPiN6hipcub22TransformInputIteratorIiNS7_6CastOpIiEES6_lEEPliNS7_8EqualityENS7_3SumENS0_19lookback_scan_stateINS_5tupleIJibEEELb1ELb1EEEiEEvT2_T3_T4_T5_T6_T7_T8_mmmPKNSG_IJT9_bEEE,"axG",@progbits,_ZN7rocprim6detail25device_scan_by_key_kernelILNS0_25lookback_scan_determinismE0ELb1ENS0_26wrapped_scan_by_key_configINS_14default_configEiiEEPiN6hipcub22TransformInputIteratorIiNS7_6CastOpIiEES6_lEEPliNS7_8EqualityENS7_3SumENS0_19lookback_scan_stateINS_5tupleIJibEEELb1ELb1EEEiEEvT2_T3_T4_T5_T6_T7_T8_mmmPKNSG_IJT9_bEEE,comdat
	.protected	_ZN7rocprim6detail25device_scan_by_key_kernelILNS0_25lookback_scan_determinismE0ELb1ENS0_26wrapped_scan_by_key_configINS_14default_configEiiEEPiN6hipcub22TransformInputIteratorIiNS7_6CastOpIiEES6_lEEPliNS7_8EqualityENS7_3SumENS0_19lookback_scan_stateINS_5tupleIJibEEELb1ELb1EEEiEEvT2_T3_T4_T5_T6_T7_T8_mmmPKNSG_IJT9_bEEE ; -- Begin function _ZN7rocprim6detail25device_scan_by_key_kernelILNS0_25lookback_scan_determinismE0ELb1ENS0_26wrapped_scan_by_key_configINS_14default_configEiiEEPiN6hipcub22TransformInputIteratorIiNS7_6CastOpIiEES6_lEEPliNS7_8EqualityENS7_3SumENS0_19lookback_scan_stateINS_5tupleIJibEEELb1ELb1EEEiEEvT2_T3_T4_T5_T6_T7_T8_mmmPKNSG_IJT9_bEEE
	.globl	_ZN7rocprim6detail25device_scan_by_key_kernelILNS0_25lookback_scan_determinismE0ELb1ENS0_26wrapped_scan_by_key_configINS_14default_configEiiEEPiN6hipcub22TransformInputIteratorIiNS7_6CastOpIiEES6_lEEPliNS7_8EqualityENS7_3SumENS0_19lookback_scan_stateINS_5tupleIJibEEELb1ELb1EEEiEEvT2_T3_T4_T5_T6_T7_T8_mmmPKNSG_IJT9_bEEE
	.p2align	8
	.type	_ZN7rocprim6detail25device_scan_by_key_kernelILNS0_25lookback_scan_determinismE0ELb1ENS0_26wrapped_scan_by_key_configINS_14default_configEiiEEPiN6hipcub22TransformInputIteratorIiNS7_6CastOpIiEES6_lEEPliNS7_8EqualityENS7_3SumENS0_19lookback_scan_stateINS_5tupleIJibEEELb1ELb1EEEiEEvT2_T3_T4_T5_T6_T7_T8_mmmPKNSG_IJT9_bEEE,@function
_ZN7rocprim6detail25device_scan_by_key_kernelILNS0_25lookback_scan_determinismE0ELb1ENS0_26wrapped_scan_by_key_configINS_14default_configEiiEEPiN6hipcub22TransformInputIteratorIiNS7_6CastOpIiEES6_lEEPliNS7_8EqualityENS7_3SumENS0_19lookback_scan_stateINS_5tupleIJibEEELb1ELb1EEEiEEvT2_T3_T4_T5_T6_T7_T8_mmmPKNSG_IJT9_bEEE: ; @_ZN7rocprim6detail25device_scan_by_key_kernelILNS0_25lookback_scan_determinismE0ELb1ENS0_26wrapped_scan_by_key_configINS_14default_configEiiEEPiN6hipcub22TransformInputIteratorIiNS7_6CastOpIiEES6_lEEPliNS7_8EqualityENS7_3SumENS0_19lookback_scan_stateINS_5tupleIJibEEELb1ELb1EEEiEEvT2_T3_T4_T5_T6_T7_T8_mmmPKNSG_IJT9_bEEE
; %bb.0:
	s_endpgm
	.section	.rodata,"a",@progbits
	.p2align	6, 0x0
	.amdhsa_kernel _ZN7rocprim6detail25device_scan_by_key_kernelILNS0_25lookback_scan_determinismE0ELb1ENS0_26wrapped_scan_by_key_configINS_14default_configEiiEEPiN6hipcub22TransformInputIteratorIiNS7_6CastOpIiEES6_lEEPliNS7_8EqualityENS7_3SumENS0_19lookback_scan_stateINS_5tupleIJibEEELb1ELb1EEEiEEvT2_T3_T4_T5_T6_T7_T8_mmmPKNSG_IJT9_bEEE
		.amdhsa_group_segment_fixed_size 0
		.amdhsa_private_segment_fixed_size 0
		.amdhsa_kernarg_size 80
		.amdhsa_user_sgpr_count 6
		.amdhsa_user_sgpr_private_segment_buffer 1
		.amdhsa_user_sgpr_dispatch_ptr 0
		.amdhsa_user_sgpr_queue_ptr 0
		.amdhsa_user_sgpr_kernarg_segment_ptr 1
		.amdhsa_user_sgpr_dispatch_id 0
		.amdhsa_user_sgpr_flat_scratch_init 0
		.amdhsa_user_sgpr_kernarg_preload_length 0
		.amdhsa_user_sgpr_kernarg_preload_offset 0
		.amdhsa_user_sgpr_private_segment_size 0
		.amdhsa_uses_dynamic_stack 0
		.amdhsa_system_sgpr_private_segment_wavefront_offset 0
		.amdhsa_system_sgpr_workgroup_id_x 1
		.amdhsa_system_sgpr_workgroup_id_y 0
		.amdhsa_system_sgpr_workgroup_id_z 0
		.amdhsa_system_sgpr_workgroup_info 0
		.amdhsa_system_vgpr_workitem_id 0
		.amdhsa_next_free_vgpr 1
		.amdhsa_next_free_sgpr 0
		.amdhsa_accum_offset 4
		.amdhsa_reserve_vcc 0
		.amdhsa_reserve_flat_scratch 0
		.amdhsa_float_round_mode_32 0
		.amdhsa_float_round_mode_16_64 0
		.amdhsa_float_denorm_mode_32 3
		.amdhsa_float_denorm_mode_16_64 3
		.amdhsa_dx10_clamp 1
		.amdhsa_ieee_mode 1
		.amdhsa_fp16_overflow 0
		.amdhsa_tg_split 0
		.amdhsa_exception_fp_ieee_invalid_op 0
		.amdhsa_exception_fp_denorm_src 0
		.amdhsa_exception_fp_ieee_div_zero 0
		.amdhsa_exception_fp_ieee_overflow 0
		.amdhsa_exception_fp_ieee_underflow 0
		.amdhsa_exception_fp_ieee_inexact 0
		.amdhsa_exception_int_div_zero 0
	.end_amdhsa_kernel
	.section	.text._ZN7rocprim6detail25device_scan_by_key_kernelILNS0_25lookback_scan_determinismE0ELb1ENS0_26wrapped_scan_by_key_configINS_14default_configEiiEEPiN6hipcub22TransformInputIteratorIiNS7_6CastOpIiEES6_lEEPliNS7_8EqualityENS7_3SumENS0_19lookback_scan_stateINS_5tupleIJibEEELb1ELb1EEEiEEvT2_T3_T4_T5_T6_T7_T8_mmmPKNSG_IJT9_bEEE,"axG",@progbits,_ZN7rocprim6detail25device_scan_by_key_kernelILNS0_25lookback_scan_determinismE0ELb1ENS0_26wrapped_scan_by_key_configINS_14default_configEiiEEPiN6hipcub22TransformInputIteratorIiNS7_6CastOpIiEES6_lEEPliNS7_8EqualityENS7_3SumENS0_19lookback_scan_stateINS_5tupleIJibEEELb1ELb1EEEiEEvT2_T3_T4_T5_T6_T7_T8_mmmPKNSG_IJT9_bEEE,comdat
.Lfunc_end94:
	.size	_ZN7rocprim6detail25device_scan_by_key_kernelILNS0_25lookback_scan_determinismE0ELb1ENS0_26wrapped_scan_by_key_configINS_14default_configEiiEEPiN6hipcub22TransformInputIteratorIiNS7_6CastOpIiEES6_lEEPliNS7_8EqualityENS7_3SumENS0_19lookback_scan_stateINS_5tupleIJibEEELb1ELb1EEEiEEvT2_T3_T4_T5_T6_T7_T8_mmmPKNSG_IJT9_bEEE, .Lfunc_end94-_ZN7rocprim6detail25device_scan_by_key_kernelILNS0_25lookback_scan_determinismE0ELb1ENS0_26wrapped_scan_by_key_configINS_14default_configEiiEEPiN6hipcub22TransformInputIteratorIiNS7_6CastOpIiEES6_lEEPliNS7_8EqualityENS7_3SumENS0_19lookback_scan_stateINS_5tupleIJibEEELb1ELb1EEEiEEvT2_T3_T4_T5_T6_T7_T8_mmmPKNSG_IJT9_bEEE
                                        ; -- End function
	.section	.AMDGPU.csdata,"",@progbits
; Kernel info:
; codeLenInByte = 4
; NumSgprs: 4
; NumVgprs: 0
; NumAgprs: 0
; TotalNumVgprs: 0
; ScratchSize: 0
; MemoryBound: 0
; FloatMode: 240
; IeeeMode: 1
; LDSByteSize: 0 bytes/workgroup (compile time only)
; SGPRBlocks: 0
; VGPRBlocks: 0
; NumSGPRsForWavesPerEU: 4
; NumVGPRsForWavesPerEU: 1
; AccumOffset: 4
; Occupancy: 8
; WaveLimiterHint : 0
; COMPUTE_PGM_RSRC2:SCRATCH_EN: 0
; COMPUTE_PGM_RSRC2:USER_SGPR: 6
; COMPUTE_PGM_RSRC2:TRAP_HANDLER: 0
; COMPUTE_PGM_RSRC2:TGID_X_EN: 1
; COMPUTE_PGM_RSRC2:TGID_Y_EN: 0
; COMPUTE_PGM_RSRC2:TGID_Z_EN: 0
; COMPUTE_PGM_RSRC2:TIDIG_COMP_CNT: 0
; COMPUTE_PGM_RSRC3_GFX90A:ACCUM_OFFSET: 0
; COMPUTE_PGM_RSRC3_GFX90A:TG_SPLIT: 0
	.section	.text._ZN7rocprim6detail25device_scan_by_key_kernelILNS0_25lookback_scan_determinismE0ELb1ENS0_26wrapped_scan_by_key_configINS_14default_configEiiEEPiN6hipcub22TransformInputIteratorIiNS7_6CastOpIiEES6_lEEPliNS7_8EqualityENS7_3SumENS0_19lookback_scan_stateINS_5tupleIJibEEELb0ELb1EEEiEEvT2_T3_T4_T5_T6_T7_T8_mmmPKNSG_IJT9_bEEE,"axG",@progbits,_ZN7rocprim6detail25device_scan_by_key_kernelILNS0_25lookback_scan_determinismE0ELb1ENS0_26wrapped_scan_by_key_configINS_14default_configEiiEEPiN6hipcub22TransformInputIteratorIiNS7_6CastOpIiEES6_lEEPliNS7_8EqualityENS7_3SumENS0_19lookback_scan_stateINS_5tupleIJibEEELb0ELb1EEEiEEvT2_T3_T4_T5_T6_T7_T8_mmmPKNSG_IJT9_bEEE,comdat
	.protected	_ZN7rocprim6detail25device_scan_by_key_kernelILNS0_25lookback_scan_determinismE0ELb1ENS0_26wrapped_scan_by_key_configINS_14default_configEiiEEPiN6hipcub22TransformInputIteratorIiNS7_6CastOpIiEES6_lEEPliNS7_8EqualityENS7_3SumENS0_19lookback_scan_stateINS_5tupleIJibEEELb0ELb1EEEiEEvT2_T3_T4_T5_T6_T7_T8_mmmPKNSG_IJT9_bEEE ; -- Begin function _ZN7rocprim6detail25device_scan_by_key_kernelILNS0_25lookback_scan_determinismE0ELb1ENS0_26wrapped_scan_by_key_configINS_14default_configEiiEEPiN6hipcub22TransformInputIteratorIiNS7_6CastOpIiEES6_lEEPliNS7_8EqualityENS7_3SumENS0_19lookback_scan_stateINS_5tupleIJibEEELb0ELb1EEEiEEvT2_T3_T4_T5_T6_T7_T8_mmmPKNSG_IJT9_bEEE
	.globl	_ZN7rocprim6detail25device_scan_by_key_kernelILNS0_25lookback_scan_determinismE0ELb1ENS0_26wrapped_scan_by_key_configINS_14default_configEiiEEPiN6hipcub22TransformInputIteratorIiNS7_6CastOpIiEES6_lEEPliNS7_8EqualityENS7_3SumENS0_19lookback_scan_stateINS_5tupleIJibEEELb0ELb1EEEiEEvT2_T3_T4_T5_T6_T7_T8_mmmPKNSG_IJT9_bEEE
	.p2align	8
	.type	_ZN7rocprim6detail25device_scan_by_key_kernelILNS0_25lookback_scan_determinismE0ELb1ENS0_26wrapped_scan_by_key_configINS_14default_configEiiEEPiN6hipcub22TransformInputIteratorIiNS7_6CastOpIiEES6_lEEPliNS7_8EqualityENS7_3SumENS0_19lookback_scan_stateINS_5tupleIJibEEELb0ELb1EEEiEEvT2_T3_T4_T5_T6_T7_T8_mmmPKNSG_IJT9_bEEE,@function
_ZN7rocprim6detail25device_scan_by_key_kernelILNS0_25lookback_scan_determinismE0ELb1ENS0_26wrapped_scan_by_key_configINS_14default_configEiiEEPiN6hipcub22TransformInputIteratorIiNS7_6CastOpIiEES6_lEEPliNS7_8EqualityENS7_3SumENS0_19lookback_scan_stateINS_5tupleIJibEEELb0ELb1EEEiEEvT2_T3_T4_T5_T6_T7_T8_mmmPKNSG_IJT9_bEEE: ; @_ZN7rocprim6detail25device_scan_by_key_kernelILNS0_25lookback_scan_determinismE0ELb1ENS0_26wrapped_scan_by_key_configINS_14default_configEiiEEPiN6hipcub22TransformInputIteratorIiNS7_6CastOpIiEES6_lEEPliNS7_8EqualityENS7_3SumENS0_19lookback_scan_stateINS_5tupleIJibEEELb0ELb1EEEiEEvT2_T3_T4_T5_T6_T7_T8_mmmPKNSG_IJT9_bEEE
; %bb.0:
	s_load_dwordx4 s[0:3], s[4:5], 0x0
	s_load_dword s54, s[4:5], 0x20
	s_load_dwordx8 s[36:43], s[4:5], 0x28
	s_load_dwordx2 s[46:47], s[4:5], 0x48
	s_mul_i32 s44, s6, 0xe00
	s_mov_b32 s45, 0
	s_lshl_b64 s[8:9], s[44:45], 2
	s_waitcnt lgkmcnt(0)
	s_add_u32 s50, s0, s8
	s_addc_u32 s51, s1, s9
	s_add_u32 s48, s2, s8
	s_addc_u32 s49, s3, s9
	;; [unrolled: 2-line block ×3, first 2 shown]
	s_add_u32 s8, s42, -1
	s_addc_u32 s9, s43, -1
	v_pk_mov_b32 v[2:3], s[8:9], s[8:9] op_sel:[0,1]
	v_cmp_ge_u64_e64 s[0:1], s[0:1], v[2:3]
	s_mov_b64 s[2:3], -1
	s_and_b64 vcc, exec, s[0:1]
	s_mul_i32 s33, s8, 0xfffff200
	v_lshlrev_b32_e32 v1, 2, v0
	s_cbranch_vccz .LBB95_76
; %bb.1:
	s_load_dword s39, s[50:51], 0x0
	s_add_i32 s7, s33, s38
	v_mov_b32_e32 v3, s51
	v_add_co_u32_e32 v2, vcc, s50, v1
	v_addc_co_u32_e32 v3, vcc, 0, v3, vcc
	v_cmp_gt_u32_e64 s[2:3], s7, v0
	s_waitcnt lgkmcnt(0)
	v_mov_b32_e32 v4, s39
	s_and_saveexec_b64 s[8:9], s[2:3]
	s_cbranch_execz .LBB95_3
; %bb.2:
	global_load_dword v4, v[2:3], off
.LBB95_3:
	s_or_b64 exec, exec, s[8:9]
	v_or_b32_e32 v5, 0x100, v0
	v_cmp_gt_u32_e64 s[34:35], s7, v5
	v_mov_b32_e32 v5, s39
	s_and_saveexec_b64 s[8:9], s[34:35]
	s_cbranch_execz .LBB95_5
; %bb.4:
	global_load_dword v5, v[2:3], off offset:1024
.LBB95_5:
	s_or_b64 exec, exec, s[8:9]
	v_or_b32_e32 v6, 0x200, v0
	v_cmp_gt_u32_e64 s[8:9], s7, v6
	v_mov_b32_e32 v6, s39
	s_and_saveexec_b64 s[10:11], s[8:9]
	s_cbranch_execz .LBB95_7
; %bb.6:
	global_load_dword v6, v[2:3], off offset:2048
.LBB95_7:
	;; [unrolled: 9-line block ×3, first 2 shown]
	s_or_b64 exec, exec, s[12:13]
	v_or_b32_e32 v8, 0x400, v0
	v_cmp_gt_u32_e64 s[12:13], s7, v8
	v_mov_b32_e32 v8, s39
	s_and_saveexec_b64 s[14:15], s[12:13]
	s_cbranch_execz .LBB95_11
; %bb.10:
	v_add_co_u32_e32 v8, vcc, 0x1000, v2
	v_addc_co_u32_e32 v9, vcc, 0, v3, vcc
	global_load_dword v8, v[8:9], off
.LBB95_11:
	s_or_b64 exec, exec, s[14:15]
	v_or_b32_e32 v9, 0x500, v0
	v_cmp_gt_u32_e64 s[14:15], s7, v9
	v_mov_b32_e32 v9, s39
	s_and_saveexec_b64 s[16:17], s[14:15]
	s_cbranch_execz .LBB95_13
; %bb.12:
	v_add_co_u32_e32 v10, vcc, 0x1000, v2
	v_addc_co_u32_e32 v11, vcc, 0, v3, vcc
	global_load_dword v9, v[10:11], off offset:1024
.LBB95_13:
	s_or_b64 exec, exec, s[16:17]
	v_or_b32_e32 v10, 0x600, v0
	v_cmp_gt_u32_e64 s[16:17], s7, v10
	v_mov_b32_e32 v10, s39
	s_and_saveexec_b64 s[18:19], s[16:17]
	s_cbranch_execz .LBB95_15
; %bb.14:
	v_add_co_u32_e32 v10, vcc, 0x1000, v2
	v_addc_co_u32_e32 v11, vcc, 0, v3, vcc
	global_load_dword v10, v[10:11], off offset:2048
.LBB95_15:
	;; [unrolled: 11-line block ×3, first 2 shown]
	s_or_b64 exec, exec, s[20:21]
	v_or_b32_e32 v12, 0x800, v0
	v_cmp_gt_u32_e64 s[20:21], s7, v12
	v_mov_b32_e32 v12, s39
	s_and_saveexec_b64 s[22:23], s[20:21]
	s_cbranch_execz .LBB95_19
; %bb.18:
	v_add_co_u32_e32 v12, vcc, 0x2000, v2
	v_addc_co_u32_e32 v13, vcc, 0, v3, vcc
	global_load_dword v12, v[12:13], off
.LBB95_19:
	s_or_b64 exec, exec, s[22:23]
	v_or_b32_e32 v13, 0x900, v0
	v_cmp_gt_u32_e64 s[22:23], s7, v13
	v_mov_b32_e32 v13, s39
	s_and_saveexec_b64 s[24:25], s[22:23]
	s_cbranch_execz .LBB95_21
; %bb.20:
	v_add_co_u32_e32 v14, vcc, 0x2000, v2
	v_addc_co_u32_e32 v15, vcc, 0, v3, vcc
	global_load_dword v13, v[14:15], off offset:1024
.LBB95_21:
	s_or_b64 exec, exec, s[24:25]
	v_or_b32_e32 v14, 0xa00, v0
	v_cmp_gt_u32_e64 s[24:25], s7, v14
	v_mov_b32_e32 v14, s39
	s_and_saveexec_b64 s[26:27], s[24:25]
	s_cbranch_execz .LBB95_23
; %bb.22:
	v_add_co_u32_e32 v14, vcc, 0x2000, v2
	v_addc_co_u32_e32 v15, vcc, 0, v3, vcc
	global_load_dword v14, v[14:15], off offset:2048
.LBB95_23:
	;; [unrolled: 11-line block ×3, first 2 shown]
	s_or_b64 exec, exec, s[28:29]
	v_or_b32_e32 v16, 0xc00, v0
	v_cmp_gt_u32_e64 s[28:29], s7, v16
	v_mov_b32_e32 v16, s39
	s_and_saveexec_b64 s[30:31], s[28:29]
	s_cbranch_execz .LBB95_27
; %bb.26:
	v_add_co_u32_e32 v16, vcc, 0x3000, v2
	v_addc_co_u32_e32 v17, vcc, 0, v3, vcc
	global_load_dword v16, v[16:17], off
.LBB95_27:
	s_or_b64 exec, exec, s[30:31]
	v_or_b32_e32 v17, 0xd00, v0
	v_cmp_gt_u32_e64 s[30:31], s7, v17
	v_mov_b32_e32 v17, s39
	s_and_saveexec_b64 s[40:41], s[30:31]
	s_cbranch_execz .LBB95_29
; %bb.28:
	v_add_co_u32_e32 v2, vcc, 0x3000, v2
	v_addc_co_u32_e32 v3, vcc, 0, v3, vcc
	global_load_dword v17, v[2:3], off offset:1024
.LBB95_29:
	s_or_b64 exec, exec, s[40:41]
	v_mad_u32_u24 v44, v0, 52, v1
	s_waitcnt vmcnt(0)
	ds_write2st64_b32 v1, v4, v5 offset1:4
	ds_write2st64_b32 v1, v6, v7 offset0:8 offset1:12
	ds_write2st64_b32 v1, v8, v9 offset0:16 offset1:20
	;; [unrolled: 1-line block ×6, first 2 shown]
	s_waitcnt lgkmcnt(0)
	s_barrier
	ds_read2_b64 v[34:37], v44 offset1:1
	ds_read2_b64 v[30:33], v44 offset0:2 offset1:3
	ds_read2_b64 v[26:29], v44 offset0:4 offset1:5
	ds_read_b64 v[40:41], v44 offset:48
	s_load_dword s39, s[50:51], 0x0
	s_movk_i32 s40, 0xffcc
	v_mad_i32_i24 v2, v0, s40, v44
	s_movk_i32 s40, 0xff
	v_cmp_ne_u32_e32 vcc, s40, v0
	s_waitcnt lgkmcnt(0)
	v_mov_b32_e32 v45, s39
	ds_write_b32 v2, v34 offset:15360
	s_waitcnt lgkmcnt(0)
	s_barrier
	s_and_saveexec_b64 s[40:41], vcc
	s_cbranch_execz .LBB95_31
; %bb.30:
	ds_read_b32 v45, v1 offset:15364
.LBB95_31:
	s_or_b64 exec, exec, s[40:41]
	v_mov_b32_e32 v3, s49
	v_add_co_u32_e32 v2, vcc, s48, v1
	v_addc_co_u32_e32 v3, vcc, 0, v3, vcc
	s_waitcnt lgkmcnt(0)
	s_barrier
	s_waitcnt lgkmcnt(0)
                                        ; implicit-def: $vgpr4
	s_and_saveexec_b64 s[40:41], s[2:3]
	s_cbranch_execz .LBB95_123
; %bb.32:
	global_load_dword v4, v[2:3], off
	s_or_b64 exec, exec, s[40:41]
                                        ; implicit-def: $vgpr5
	s_and_saveexec_b64 s[2:3], s[34:35]
	s_cbranch_execnz .LBB95_124
.LBB95_33:
	s_or_b64 exec, exec, s[2:3]
                                        ; implicit-def: $vgpr6
	s_and_saveexec_b64 s[2:3], s[8:9]
	s_cbranch_execz .LBB95_125
.LBB95_34:
	global_load_dword v6, v[2:3], off offset:2048
	s_or_b64 exec, exec, s[2:3]
                                        ; implicit-def: $vgpr7
	s_and_saveexec_b64 s[2:3], s[10:11]
	s_cbranch_execnz .LBB95_126
.LBB95_35:
	s_or_b64 exec, exec, s[2:3]
                                        ; implicit-def: $vgpr8
	s_and_saveexec_b64 s[2:3], s[12:13]
	s_cbranch_execz .LBB95_127
.LBB95_36:
	v_add_co_u32_e32 v8, vcc, 0x1000, v2
	v_addc_co_u32_e32 v9, vcc, 0, v3, vcc
	global_load_dword v8, v[8:9], off
	s_or_b64 exec, exec, s[2:3]
                                        ; implicit-def: $vgpr9
	s_and_saveexec_b64 s[2:3], s[14:15]
	s_cbranch_execnz .LBB95_128
.LBB95_37:
	s_or_b64 exec, exec, s[2:3]
                                        ; implicit-def: $vgpr10
	s_and_saveexec_b64 s[2:3], s[16:17]
	s_cbranch_execz .LBB95_129
.LBB95_38:
	v_add_co_u32_e32 v10, vcc, 0x1000, v2
	v_addc_co_u32_e32 v11, vcc, 0, v3, vcc
	global_load_dword v10, v[10:11], off offset:2048
	s_or_b64 exec, exec, s[2:3]
                                        ; implicit-def: $vgpr11
	s_and_saveexec_b64 s[2:3], s[18:19]
	s_cbranch_execnz .LBB95_130
.LBB95_39:
	s_or_b64 exec, exec, s[2:3]
                                        ; implicit-def: $vgpr12
	s_and_saveexec_b64 s[2:3], s[20:21]
	s_cbranch_execz .LBB95_131
.LBB95_40:
	v_add_co_u32_e32 v12, vcc, 0x2000, v2
	v_addc_co_u32_e32 v13, vcc, 0, v3, vcc
	global_load_dword v12, v[12:13], off
	s_or_b64 exec, exec, s[2:3]
                                        ; implicit-def: $vgpr13
	s_and_saveexec_b64 s[2:3], s[22:23]
	s_cbranch_execnz .LBB95_132
.LBB95_41:
	s_or_b64 exec, exec, s[2:3]
                                        ; implicit-def: $vgpr14
	s_and_saveexec_b64 s[2:3], s[24:25]
	s_cbranch_execz .LBB95_133
.LBB95_42:
	v_add_co_u32_e32 v14, vcc, 0x2000, v2
	v_addc_co_u32_e32 v15, vcc, 0, v3, vcc
	global_load_dword v14, v[14:15], off offset:2048
	s_or_b64 exec, exec, s[2:3]
                                        ; implicit-def: $vgpr15
	s_and_saveexec_b64 s[2:3], s[26:27]
	s_cbranch_execnz .LBB95_134
.LBB95_43:
	s_or_b64 exec, exec, s[2:3]
                                        ; implicit-def: $vgpr16
	s_and_saveexec_b64 s[2:3], s[28:29]
	s_cbranch_execz .LBB95_45
.LBB95_44:
	v_add_co_u32_e32 v16, vcc, 0x3000, v2
	v_addc_co_u32_e32 v17, vcc, 0, v3, vcc
	global_load_dword v16, v[16:17], off
.LBB95_45:
	s_or_b64 exec, exec, s[2:3]
	v_mul_u32_u24_e32 v46, 14, v0
                                        ; implicit-def: $vgpr17
	s_and_saveexec_b64 s[2:3], s[30:31]
	s_cbranch_execz .LBB95_47
; %bb.46:
	v_add_co_u32_e32 v2, vcc, 0x3000, v2
	v_addc_co_u32_e32 v3, vcc, 0, v3, vcc
	global_load_dword v17, v[2:3], off offset:1024
.LBB95_47:
	s_or_b64 exec, exec, s[2:3]
	s_mov_b32 s8, 0
	s_mov_b32 s9, s8
	s_waitcnt vmcnt(0)
	ds_write2st64_b32 v1, v4, v5 offset1:4
	ds_write2st64_b32 v1, v6, v7 offset0:8 offset1:12
	ds_write2st64_b32 v1, v8, v9 offset0:16 offset1:20
	;; [unrolled: 1-line block ×6, first 2 shown]
	s_mov_b32 s10, s8
	s_mov_b32 s11, s8
	;; [unrolled: 1-line block ×6, first 2 shown]
	v_pk_mov_b32 v[2:3], s[8:9], s[8:9] op_sel:[0,1]
	v_pk_mov_b32 v[8:9], s[14:15], s[14:15] op_sel:[0,1]
	;; [unrolled: 1-line block ×6, first 2 shown]
	v_cmp_gt_u32_e32 vcc, s7, v46
	s_mov_b64 s[2:3], 0
	v_pk_mov_b32 v[38:39], 0, 0
	s_mov_b64 s[20:21], 0
	v_pk_mov_b32 v[14:15], v[6:7], v[6:7] op_sel:[0,1]
	v_pk_mov_b32 v[12:13], v[4:5], v[4:5] op_sel:[0,1]
	;; [unrolled: 1-line block ×6, first 2 shown]
	s_waitcnt lgkmcnt(0)
	s_barrier
	s_waitcnt lgkmcnt(0)
                                        ; implicit-def: $sgpr18_sgpr19
                                        ; implicit-def: $vgpr42
	s_and_saveexec_b64 s[16:17], vcc
	s_cbranch_execz .LBB95_75
; %bb.48:
	ds_read_b32 v2, v44
	v_mov_b32_e32 v4, s54
	v_cmp_eq_u32_e32 vcc, v34, v35
	v_or_b32_e32 v3, 1, v46
                                        ; implicit-def: $vgpr42
	s_waitcnt lgkmcnt(0)
	v_cndmask_b32_e32 v38, v4, v2, vcc
	v_cmp_ne_u32_e32 vcc, v34, v35
	v_cndmask_b32_e64 v39, 0, 1, vcc
	v_cmp_gt_u32_e32 vcc, s7, v3
	v_pk_mov_b32 v[2:3], s[8:9], s[8:9] op_sel:[0,1]
	v_pk_mov_b32 v[8:9], s[14:15], s[14:15] op_sel:[0,1]
	;; [unrolled: 1-line block ×12, first 2 shown]
                                        ; implicit-def: $sgpr8_sgpr9
	s_and_saveexec_b64 s[18:19], vcc
	s_cbranch_execz .LBB95_74
; %bb.49:
	ds_read2_b32 v[42:43], v44 offset0:1 offset1:2
	s_mov_b32 s8, 0
	v_mov_b32_e32 v3, s54
	v_cmp_eq_u32_e32 vcc, v35, v36
	s_mov_b32 s14, s8
	s_mov_b32 s15, s8
	v_add_u32_e32 v2, 2, v46
	s_waitcnt lgkmcnt(0)
	v_cndmask_b32_e32 v8, v3, v42, vcc
	v_cmp_ne_u32_e32 vcc, v35, v36
	s_mov_b32 s9, s8
	s_mov_b32 s10, s8
	;; [unrolled: 1-line block ×5, first 2 shown]
	v_pk_mov_b32 v[16:17], s[14:15], s[14:15] op_sel:[0,1]
	v_cndmask_b32_e64 v9, 0, 1, vcc
	v_cmp_gt_u32_e32 vcc, s7, v2
	v_mov_b32_e32 v2, 0
	v_pk_mov_b32 v[14:15], s[12:13], s[12:13] op_sel:[0,1]
	v_pk_mov_b32 v[12:13], s[10:11], s[10:11] op_sel:[0,1]
	;; [unrolled: 1-line block ×4, first 2 shown]
	v_mov_b32_e32 v3, v2
	v_mov_b32_e32 v4, v2
	;; [unrolled: 1-line block ×5, first 2 shown]
	s_mov_b64 s[22:23], 0
	v_pk_mov_b32 v[22:23], v[14:15], v[14:15] op_sel:[0,1]
	v_pk_mov_b32 v[20:21], v[12:13], v[12:13] op_sel:[0,1]
	;; [unrolled: 1-line block ×3, first 2 shown]
                                        ; implicit-def: $sgpr26_sgpr27
                                        ; implicit-def: $vgpr42
	s_and_saveexec_b64 s[20:21], vcc
	s_cbranch_execz .LBB95_73
; %bb.50:
	v_mov_b32_e32 v4, s54
	v_cmp_eq_u32_e32 vcc, v36, v37
	v_pk_mov_b32 v[16:17], s[14:15], s[14:15] op_sel:[0,1]
	v_add_u32_e32 v3, 3, v46
	v_cndmask_b32_e32 v6, v4, v43, vcc
	v_cmp_ne_u32_e32 vcc, v36, v37
	v_pk_mov_b32 v[14:15], s[12:13], s[12:13] op_sel:[0,1]
	v_pk_mov_b32 v[12:13], s[10:11], s[10:11] op_sel:[0,1]
	;; [unrolled: 1-line block ×4, first 2 shown]
	v_cndmask_b32_e64 v7, 0, 1, vcc
	v_cmp_gt_u32_e32 vcc, s7, v3
	v_mov_b32_e32 v3, v2
	v_mov_b32_e32 v4, v2
	;; [unrolled: 1-line block ×3, first 2 shown]
	s_mov_b64 s[24:25], 0
	v_pk_mov_b32 v[22:23], v[14:15], v[14:15] op_sel:[0,1]
	v_pk_mov_b32 v[20:21], v[12:13], v[12:13] op_sel:[0,1]
	;; [unrolled: 1-line block ×3, first 2 shown]
                                        ; implicit-def: $sgpr8_sgpr9
                                        ; implicit-def: $vgpr42
	s_and_saveexec_b64 s[22:23], vcc
	s_cbranch_execz .LBB95_72
; %bb.51:
	ds_read2_b32 v[34:35], v44 offset0:3 offset1:4
	s_mov_b32 s8, 0
	s_mov_b32 s14, s8
	;; [unrolled: 1-line block ×3, first 2 shown]
	v_mov_b32_e32 v3, s54
	v_cmp_eq_u32_e32 vcc, v37, v30
	s_mov_b32 s9, s8
	s_mov_b32 s10, s8
	;; [unrolled: 1-line block ×5, first 2 shown]
	v_pk_mov_b32 v[16:17], s[14:15], s[14:15] op_sel:[0,1]
	v_add_u32_e32 v2, 4, v46
	s_waitcnt lgkmcnt(0)
	v_cndmask_b32_e32 v4, v3, v34, vcc
	v_cmp_ne_u32_e32 vcc, v37, v30
	v_pk_mov_b32 v[14:15], s[12:13], s[12:13] op_sel:[0,1]
	v_pk_mov_b32 v[12:13], s[10:11], s[10:11] op_sel:[0,1]
	;; [unrolled: 1-line block ×4, first 2 shown]
	v_cndmask_b32_e64 v5, 0, 1, vcc
	v_cmp_gt_u32_e32 vcc, s7, v2
	v_mov_b32_e32 v2, s8
	v_mov_b32_e32 v3, s8
	s_mov_b64 s[26:27], 0
	v_pk_mov_b32 v[22:23], v[14:15], v[14:15] op_sel:[0,1]
	v_pk_mov_b32 v[20:21], v[12:13], v[12:13] op_sel:[0,1]
	;; [unrolled: 1-line block ×3, first 2 shown]
                                        ; implicit-def: $sgpr28_sgpr29
                                        ; implicit-def: $vgpr42
	s_and_saveexec_b64 s[24:25], vcc
	s_cbranch_execz .LBB95_71
; %bb.52:
	v_mov_b32_e32 v2, s54
	v_cmp_eq_u32_e32 vcc, v30, v31
	v_add_u32_e32 v10, 5, v46
	v_cndmask_b32_e32 v2, v2, v35, vcc
	v_cmp_ne_u32_e32 vcc, v30, v31
	v_cndmask_b32_e64 v3, 0, 1, vcc
	v_cmp_gt_u32_e32 vcc, s7, v10
	v_pk_mov_b32 v[16:17], s[14:15], s[14:15] op_sel:[0,1]
	v_pk_mov_b32 v[14:15], s[12:13], s[12:13] op_sel:[0,1]
	;; [unrolled: 1-line block ×5, first 2 shown]
	s_mov_b64 s[30:31], 0
	v_pk_mov_b32 v[22:23], v[14:15], v[14:15] op_sel:[0,1]
	v_pk_mov_b32 v[20:21], v[12:13], v[12:13] op_sel:[0,1]
	;; [unrolled: 1-line block ×3, first 2 shown]
                                        ; implicit-def: $sgpr8_sgpr9
                                        ; implicit-def: $vgpr42
	s_and_saveexec_b64 s[26:27], vcc
	s_cbranch_execz .LBB95_70
; %bb.53:
	ds_read2_b32 v[34:35], v44 offset0:5 offset1:6
	v_mov_b32_e32 v11, s54
	v_cmp_eq_u32_e32 vcc, v31, v32
	s_mov_b32 s8, 0
	v_add_u32_e32 v10, 6, v46
	s_waitcnt lgkmcnt(0)
	v_cndmask_b32_e32 v16, v11, v34, vcc
	v_cmp_ne_u32_e32 vcc, v31, v32
	s_mov_b32 s14, s8
	s_mov_b32 s15, s8
	v_cndmask_b32_e64 v17, 0, 1, vcc
	v_cmp_gt_u32_e32 vcc, s7, v10
	v_mov_b32_e32 v10, 0
	s_mov_b32 s9, s8
	s_mov_b32 s10, s8
	;; [unrolled: 1-line block ×5, first 2 shown]
	v_pk_mov_b32 v[24:25], s[14:15], s[14:15] op_sel:[0,1]
	v_mov_b32_e32 v11, v10
	v_mov_b32_e32 v12, v10
	;; [unrolled: 1-line block ×5, first 2 shown]
	v_pk_mov_b32 v[22:23], s[12:13], s[12:13] op_sel:[0,1]
	v_pk_mov_b32 v[20:21], s[10:11], s[10:11] op_sel:[0,1]
	;; [unrolled: 1-line block ×3, first 2 shown]
                                        ; implicit-def: $sgpr40_sgpr41
                                        ; implicit-def: $vgpr42
	s_and_saveexec_b64 s[28:29], vcc
	s_cbranch_execz .LBB95_69
; %bb.54:
	v_mov_b32_e32 v12, s54
	v_cmp_eq_u32_e32 vcc, v32, v33
	v_add_u32_e32 v11, 7, v46
	v_cndmask_b32_e32 v14, v12, v35, vcc
	v_cmp_ne_u32_e32 vcc, v32, v33
	v_pk_mov_b32 v[24:25], s[14:15], s[14:15] op_sel:[0,1]
	v_cndmask_b32_e64 v15, 0, 1, vcc
	v_cmp_gt_u32_e32 vcc, s7, v11
	v_mov_b32_e32 v11, v10
	v_mov_b32_e32 v12, v10
	;; [unrolled: 1-line block ×3, first 2 shown]
	s_mov_b64 s[34:35], 0
	v_pk_mov_b32 v[22:23], s[12:13], s[12:13] op_sel:[0,1]
	v_pk_mov_b32 v[20:21], s[10:11], s[10:11] op_sel:[0,1]
	;; [unrolled: 1-line block ×3, first 2 shown]
                                        ; implicit-def: $sgpr8_sgpr9
                                        ; implicit-def: $vgpr42
	s_and_saveexec_b64 s[30:31], vcc
	s_cbranch_execz .LBB95_68
; %bb.55:
	ds_read2_b32 v[30:31], v44 offset0:7 offset1:8
	s_mov_b32 s8, 0
	v_mov_b32_e32 v11, s54
	v_cmp_eq_u32_e32 vcc, v33, v26
	s_mov_b32 s14, s8
	s_mov_b32 s15, s8
	v_add_u32_e32 v10, 8, v46
	s_waitcnt lgkmcnt(0)
	v_cndmask_b32_e32 v12, v11, v30, vcc
	v_cmp_ne_u32_e32 vcc, v33, v26
	s_mov_b32 s9, s8
	s_mov_b32 s10, s8
	;; [unrolled: 1-line block ×5, first 2 shown]
	v_pk_mov_b32 v[24:25], s[14:15], s[14:15] op_sel:[0,1]
	v_cndmask_b32_e64 v13, 0, 1, vcc
	v_cmp_gt_u32_e32 vcc, s7, v10
	v_mov_b32_e32 v10, s8
	v_mov_b32_e32 v11, s8
	s_mov_b64 s[40:41], 0
	v_pk_mov_b32 v[22:23], s[12:13], s[12:13] op_sel:[0,1]
	v_pk_mov_b32 v[20:21], s[10:11], s[10:11] op_sel:[0,1]
	;; [unrolled: 1-line block ×3, first 2 shown]
                                        ; implicit-def: $sgpr42_sgpr43
                                        ; implicit-def: $vgpr42
	s_and_saveexec_b64 s[34:35], vcc
	s_cbranch_execz .LBB95_67
; %bb.56:
	v_mov_b32_e32 v10, s54
	v_cmp_eq_u32_e32 vcc, v26, v27
	v_add_u32_e32 v18, 9, v46
	v_cndmask_b32_e32 v10, v10, v31, vcc
	v_cmp_ne_u32_e32 vcc, v26, v27
	v_cndmask_b32_e64 v11, 0, 1, vcc
	v_cmp_gt_u32_e32 vcc, s7, v18
	v_pk_mov_b32 v[24:25], s[14:15], s[14:15] op_sel:[0,1]
	v_pk_mov_b32 v[22:23], s[12:13], s[12:13] op_sel:[0,1]
	;; [unrolled: 1-line block ×4, first 2 shown]
                                        ; implicit-def: $sgpr10_sgpr11
                                        ; implicit-def: $vgpr42
	s_and_saveexec_b64 s[8:9], vcc
	s_cbranch_execz .LBB95_66
; %bb.57:
	ds_read2_b32 v[30:31], v44 offset0:9 offset1:10
	v_mov_b32_e32 v18, s54
	v_cmp_eq_u32_e32 vcc, v27, v28
	v_add_u32_e32 v20, 10, v46
	v_mov_b32_e32 v22, 0
	s_waitcnt lgkmcnt(0)
	v_cndmask_b32_e32 v18, v18, v30, vcc
	v_cmp_ne_u32_e32 vcc, v27, v28
	v_cndmask_b32_e64 v19, 0, 1, vcc
	v_cmp_gt_u32_e32 vcc, s7, v20
	v_mov_b32_e32 v20, v22
	v_mov_b32_e32 v21, v22
	;; [unrolled: 1-line block ×5, first 2 shown]
	s_mov_b64 s[12:13], 0
                                        ; implicit-def: $sgpr40_sgpr41
                                        ; implicit-def: $vgpr42
	s_and_saveexec_b64 s[10:11], vcc
	s_cbranch_execz .LBB95_65
; %bb.58:
	v_mov_b32_e32 v20, s54
	v_cmp_eq_u32_e32 vcc, v28, v29
	v_add_u32_e32 v23, 11, v46
	v_cndmask_b32_e32 v20, v20, v31, vcc
	v_cmp_ne_u32_e32 vcc, v28, v29
	v_cndmask_b32_e64 v21, 0, 1, vcc
	v_cmp_gt_u32_e32 vcc, s7, v23
	s_mov_b32 s39, 0
	v_mov_b32_e32 v23, v22
	v_mov_b32_e32 v24, v22
	;; [unrolled: 1-line block ×3, first 2 shown]
	s_mov_b64 s[14:15], 0
                                        ; implicit-def: $sgpr42_sgpr43
                                        ; implicit-def: $vgpr42
	s_and_saveexec_b64 s[12:13], vcc
	s_cbranch_execz .LBB95_64
; %bb.59:
	ds_read2_b32 v[26:27], v44 offset0:11 offset1:12
	v_mov_b32_e32 v22, s54
	v_cmp_eq_u32_e32 vcc, v29, v40
	v_add_u32_e32 v24, 12, v46
	v_mov_b32_e32 v25, s39
	s_waitcnt lgkmcnt(0)
	v_cndmask_b32_e32 v22, v22, v26, vcc
	v_cmp_ne_u32_e32 vcc, v29, v40
	v_cndmask_b32_e64 v23, 0, 1, vcc
	v_cmp_gt_u32_e32 vcc, s7, v24
	v_mov_b32_e32 v24, s39
	s_mov_b64 s[40:41], 0
                                        ; implicit-def: $sgpr42_sgpr43
                                        ; implicit-def: $vgpr42
	s_and_saveexec_b64 s[14:15], vcc
	s_cbranch_execz .LBB95_63
; %bb.60:
	v_mov_b32_e32 v24, s54
	v_cmp_eq_u32_e32 vcc, v40, v41
	v_add_u32_e32 v26, 13, v46
	v_cndmask_b32_e32 v24, v24, v27, vcc
	v_cmp_ne_u32_e32 vcc, v40, v41
	v_cndmask_b32_e64 v25, 0, 1, vcc
	v_cmp_gt_u32_e32 vcc, s7, v26
                                        ; implicit-def: $sgpr42_sgpr43
                                        ; implicit-def: $vgpr42
	s_and_saveexec_b64 s[52:53], vcc
	s_xor_b64 s[52:53], exec, s[52:53]
	s_cbranch_execz .LBB95_62
; %bb.61:
	ds_read_b32 v26, v44 offset:52
	v_mov_b32_e32 v27, s54
	v_cmp_ne_u32_e32 vcc, v41, v45
	s_mov_b64 s[40:41], exec
	s_and_b64 s[42:43], vcc, exec
	s_waitcnt lgkmcnt(0)
	v_cndmask_b32_e32 v42, v26, v27, vcc
.LBB95_62:
	s_or_b64 exec, exec, s[52:53]
	s_and_b64 s[42:43], s[42:43], exec
	s_and_b64 s[40:41], s[40:41], exec
.LBB95_63:
	s_or_b64 exec, exec, s[14:15]
	s_and_b64 s[42:43], s[42:43], exec
	s_and_b64 s[14:15], s[40:41], exec
.LBB95_64:
	s_or_b64 exec, exec, s[12:13]
	s_and_b64 s[40:41], s[42:43], exec
	s_and_b64 s[12:13], s[14:15], exec
.LBB95_65:
	s_or_b64 exec, exec, s[10:11]
	s_and_b64 s[10:11], s[40:41], exec
	s_and_b64 s[40:41], s[12:13], exec
.LBB95_66:
	s_or_b64 exec, exec, s[8:9]
	s_and_b64 s[42:43], s[10:11], exec
	s_and_b64 s[40:41], s[40:41], exec
.LBB95_67:
	s_or_b64 exec, exec, s[34:35]
	s_and_b64 s[8:9], s[42:43], exec
	s_and_b64 s[34:35], s[40:41], exec
.LBB95_68:
	s_or_b64 exec, exec, s[30:31]
	s_and_b64 s[40:41], s[8:9], exec
	s_and_b64 s[30:31], s[34:35], exec
.LBB95_69:
	s_or_b64 exec, exec, s[28:29]
	s_and_b64 s[8:9], s[40:41], exec
	s_and_b64 s[30:31], s[30:31], exec
.LBB95_70:
	s_or_b64 exec, exec, s[26:27]
	s_and_b64 s[28:29], s[8:9], exec
	s_and_b64 s[26:27], s[30:31], exec
.LBB95_71:
	s_or_b64 exec, exec, s[24:25]
	s_and_b64 s[8:9], s[28:29], exec
	s_and_b64 s[24:25], s[26:27], exec
.LBB95_72:
	s_or_b64 exec, exec, s[22:23]
	s_and_b64 s[26:27], s[8:9], exec
	s_and_b64 s[22:23], s[24:25], exec
.LBB95_73:
	s_or_b64 exec, exec, s[20:21]
	s_and_b64 s[8:9], s[26:27], exec
	s_and_b64 s[20:21], s[22:23], exec
.LBB95_74:
	s_or_b64 exec, exec, s[18:19]
	s_and_b64 s[18:19], s[8:9], exec
	s_and_b64 s[20:21], s[20:21], exec
.LBB95_75:
	s_or_b64 exec, exec, s[16:17]
	s_and_b64 vcc, exec, s[2:3]
	s_cbranch_vccnz .LBB95_77
	s_branch .LBB95_82
.LBB95_76:
	s_mov_b64 s[20:21], 0
                                        ; implicit-def: $sgpr18_sgpr19
                                        ; implicit-def: $vgpr2_vgpr3_vgpr4_vgpr5_vgpr6_vgpr7_vgpr8_vgpr9
                                        ; implicit-def: $vgpr10_vgpr11_vgpr12_vgpr13_vgpr14_vgpr15_vgpr16_vgpr17
                                        ; implicit-def: $vgpr18_vgpr19_vgpr20_vgpr21_vgpr22_vgpr23_vgpr24_vgpr25
                                        ; implicit-def: $vgpr42
                                        ; implicit-def: $vgpr38_vgpr39
	s_and_b64 vcc, exec, s[2:3]
	s_cbranch_vccz .LBB95_82
.LBB95_77:
	v_mov_b32_e32 v2, s51
	v_add_co_u32_e32 v6, vcc, s50, v1
	v_addc_co_u32_e32 v7, vcc, 0, v2, vcc
	v_add_co_u32_e32 v2, vcc, 0x1000, v6
	v_addc_co_u32_e32 v3, vcc, 0, v7, vcc
	v_add_co_u32_e32 v4, vcc, 0x2000, v6
	v_addc_co_u32_e32 v5, vcc, 0, v7, vcc
	global_load_dword v8, v1, s[50:51]
	global_load_dword v9, v1, s[50:51] offset:1024
	global_load_dword v10, v1, s[50:51] offset:2048
	;; [unrolled: 1-line block ×3, first 2 shown]
	global_load_dword v12, v[2:3], off
	global_load_dword v13, v[2:3], off offset:1024
	global_load_dword v14, v[2:3], off offset:2048
	;; [unrolled: 1-line block ×3, first 2 shown]
	global_load_dword v16, v[4:5], off
	global_load_dword v17, v[4:5], off offset:1024
	global_load_dword v18, v[4:5], off offset:2048
	;; [unrolled: 1-line block ×3, first 2 shown]
	v_add_co_u32_e32 v2, vcc, 0x3000, v6
	v_addc_co_u32_e32 v3, vcc, 0, v7, vcc
	global_load_dword v4, v[2:3], off
	global_load_dword v5, v[2:3], off offset:1024
	v_mad_u32_u24 v6, v0, 52, v1
	s_movk_i32 s8, 0xffcc
	v_mad_i32_i24 v2, v0, s8, v6
	s_movk_i32 s9, 0xff
	s_movk_i32 s10, 0x1000
	s_mov_b32 s2, 0
	s_movk_i32 s7, 0x2000
	s_movk_i32 s3, 0x3000
	v_cmp_ne_u32_e32 vcc, s9, v0
	s_waitcnt vmcnt(12)
	ds_write2st64_b32 v1, v8, v9 offset1:4
	s_waitcnt vmcnt(10)
	ds_write2st64_b32 v1, v10, v11 offset0:8 offset1:12
	s_waitcnt vmcnt(8)
	ds_write2st64_b32 v1, v12, v13 offset0:16 offset1:20
	;; [unrolled: 2-line block ×6, first 2 shown]
	s_waitcnt lgkmcnt(0)
	s_barrier
	ds_read2_b32 v[26:27], v6 offset1:13
	ds_read2_b32 v[18:19], v6 offset0:7 offset1:8
	ds_read2_b32 v[20:21], v6 offset0:5 offset1:6
	;; [unrolled: 1-line block ×6, first 2 shown]
	s_load_dword s8, s[50:51], 0x3800
	s_waitcnt lgkmcnt(0)
	ds_write_b32 v2, v26 offset:15360
	s_waitcnt lgkmcnt(0)
	s_barrier
	v_mov_b32_e32 v34, s8
	s_and_saveexec_b64 s[8:9], vcc
	s_cbranch_execz .LBB95_79
; %bb.78:
	ds_read_b32 v34, v1 offset:15364
.LBB95_79:
	s_or_b64 exec, exec, s[8:9]
	v_mov_b32_e32 v2, s49
	v_add_co_u32_e32 v7, vcc, s48, v1
	v_addc_co_u32_e32 v8, vcc, 0, v2, vcc
	v_add_co_u32_e32 v2, vcc, s10, v7
	v_addc_co_u32_e32 v3, vcc, 0, v8, vcc
	;; [unrolled: 2-line block ×3, first 2 shown]
	s_waitcnt lgkmcnt(0)
	s_barrier
	global_load_dword v9, v1, s[48:49] offset:1024
	global_load_dword v14, v1, s[48:49] offset:2048
	;; [unrolled: 1-line block ×3, first 2 shown]
	global_load_dword v16, v[2:3], off offset:1024
	global_load_dword v17, v[2:3], off offset:2048
	;; [unrolled: 1-line block ×3, first 2 shown]
	global_load_dword v23, v[4:5], off offset:-4096
	global_load_dword v24, v[4:5], off
	global_load_dword v25, v[4:5], off offset:1024
	global_load_dword v32, v[4:5], off offset:2048
	global_load_dword v33, v1, s[48:49]
	global_load_dword v35, v[4:5], off offset:3072
	v_add_co_u32_e32 v2, vcc, s3, v7
	v_addc_co_u32_e32 v3, vcc, 0, v8, vcc
	global_load_dword v4, v[2:3], off
	global_load_dword v5, v[2:3], off offset:1024
	s_mov_b32 s3, 1
	v_cmp_eq_u32_e32 vcc, v26, v12
	v_pk_mov_b32 v[38:39], s[2:3], s[2:3] op_sel:[0,1]
	v_mov_b32_e32 v7, s54
	s_waitcnt vmcnt(3)
	ds_write2st64_b32 v1, v33, v9 offset1:4
	ds_write2st64_b32 v1, v14, v15 offset0:8 offset1:12
	ds_write2st64_b32 v1, v17, v22 offset0:24 offset1:28
	ds_write2st64_b32 v1, v23, v16 offset0:16 offset1:20
	ds_write2st64_b32 v1, v24, v25 offset0:32 offset1:36
	s_waitcnt vmcnt(2)
	ds_write2st64_b32 v1, v32, v35 offset0:40 offset1:44
	s_waitcnt vmcnt(0)
	ds_write2st64_b32 v1, v4, v5 offset0:48 offset1:52
	s_waitcnt lgkmcnt(0)
	s_barrier
	ds_read2_b32 v[24:25], v6 offset0:7 offset1:8
	ds_read2_b32 v[14:15], v6 offset0:5 offset1:6
	;; [unrolled: 1-line block ×4, first 2 shown]
	ds_read_b32 v1, v6 offset:52
	ds_read2_b32 v[22:23], v6 offset0:11 offset1:12
	ds_read2_b32 v[32:33], v6 offset0:9 offset1:10
	s_and_saveexec_b64 s[2:3], vcc
	s_cbranch_execz .LBB95_81
; %bb.80:
	ds_read_b32 v7, v6
	v_pk_mov_b32 v[38:39], 0, 0
.LBB95_81:
	s_or_b64 exec, exec, s[2:3]
	v_mov_b32_e32 v26, s54
	v_cmp_eq_u32_e32 vcc, v12, v13
	s_waitcnt lgkmcnt(3)
	v_cndmask_b32_e32 v8, v26, v4, vcc
	v_cmp_eq_u32_e32 vcc, v13, v10
	v_cndmask_b32_e32 v6, v26, v5, vcc
	v_cmp_eq_u32_e32 vcc, v10, v11
	;; [unrolled: 2-line block ×3, first 2 shown]
	v_cndmask_b32_e32 v2, v26, v3, vcc
	v_cmp_ne_u32_e32 vcc, v12, v13
	v_cndmask_b32_e64 v9, 0, 1, vcc
	v_cmp_ne_u32_e32 vcc, v13, v10
	s_waitcnt lgkmcnt(0)
	v_or_b32_e32 v38, v38, v7
	v_cndmask_b32_e64 v7, 0, 1, vcc
	v_cmp_ne_u32_e32 vcc, v10, v11
	v_cndmask_b32_e64 v5, 0, 1, vcc
	v_cmp_ne_u32_e32 vcc, v11, v20
	v_cndmask_b32_e64 v3, 0, 1, vcc
	v_cmp_eq_u32_e32 vcc, v20, v21
	v_cndmask_b32_e32 v16, v26, v14, vcc
	v_cmp_eq_u32_e32 vcc, v21, v18
	v_cndmask_b32_e32 v14, v26, v15, vcc
	;; [unrolled: 2-line block ×4, first 2 shown]
	v_cmp_ne_u32_e32 vcc, v20, v21
	v_cndmask_b32_e64 v17, 0, 1, vcc
	v_cmp_ne_u32_e32 vcc, v21, v18
	v_cndmask_b32_e64 v15, 0, 1, vcc
	;; [unrolled: 2-line block ×4, first 2 shown]
	v_cmp_eq_u32_e32 vcc, v31, v27
	v_cndmask_b32_e32 v24, v26, v23, vcc
	v_cmp_eq_u32_e32 vcc, v30, v31
	v_cndmask_b32_e32 v22, v26, v22, vcc
	v_cmp_eq_u32_e32 vcc, v29, v30
	v_cndmask_b32_e32 v20, v26, v33, vcc
	v_cmp_eq_u32_e32 vcc, v28, v29
	v_cndmask_b32_e32 v18, v26, v32, vcc
	v_cmp_ne_u32_e32 vcc, v31, v27
	v_cndmask_b32_e64 v25, 0, 1, vcc
	v_cmp_ne_u32_e32 vcc, v30, v31
	v_cndmask_b32_e64 v23, 0, 1, vcc
	;; [unrolled: 2-line block ×3, first 2 shown]
	v_cmp_ne_u32_e32 vcc, v28, v29
	v_cmp_ne_u32_e64 s[18:19], v27, v34
	v_cndmask_b32_e64 v19, 0, 1, vcc
	v_cndmask_b32_e64 v42, v1, v26, s[18:19]
	s_mov_b64 s[20:21], -1
                                        ; implicit-def: $sgpr2_sgpr3
.LBB95_82:
	v_pk_mov_b32 v[40:41], s[2:3], s[2:3] op_sel:[0,1]
	s_and_saveexec_b64 s[2:3], s[20:21]
; %bb.83:
	v_cndmask_b32_e64 v43, 0, 1, s[18:19]
	v_pk_mov_b32 v[40:41], v[42:43], v[42:43] op_sel:[0,1]
; %bb.84:
	s_or_b64 exec, exec, s[2:3]
	s_mov_b32 s28, 0
	s_cmp_lg_u32 s6, 0
	v_mbcnt_lo_u32_b32 v1, -1, 0
	s_barrier
	s_cbranch_scc0 .LBB95_135
; %bb.85:
	s_mov_b32 s29, 1
	v_cmp_gt_u64_e64 s[2:3], s[28:29], v[8:9]
	v_cndmask_b32_e64 v27, 0, v38, s[2:3]
	v_add_u32_e32 v27, v27, v8
	v_cmp_gt_u64_e64 s[30:31], s[28:29], v[6:7]
	v_cndmask_b32_e64 v27, 0, v27, s[30:31]
	v_add_u32_e32 v27, v27, v6
	;; [unrolled: 3-line block ×12, first 2 shown]
	v_cmp_gt_u64_e32 vcc, s[28:29], v[40:41]
	v_cndmask_b32_e32 v27, 0, v27, vcc
	v_add_u32_e32 v28, v27, v40
	v_or3_b32 v27, v41, v25, v23
	v_or3_b32 v27, v27, v21, v19
	;; [unrolled: 1-line block ×6, first 2 shown]
	v_mov_b32_e32 v26, 0
	v_and_b32_e32 v27, 1, v27
	v_cmp_eq_u64_e32 vcc, 0, v[26:27]
	v_cndmask_b32_e32 v27, 1, v39, vcc
	v_and_b32_e32 v29, 0xff, v27
	v_mbcnt_hi_u32_b32 v44, -1, v1
	v_mov_b32_dpp v26, v28 row_shr:1 row_mask:0xf bank_mask:0xf
	v_mov_b32_dpp v31, v29 row_shr:1 row_mask:0xf bank_mask:0xf
	v_cmp_eq_u16_e32 vcc, 0, v29
	v_and_b32_e32 v32, 1, v27
	v_and_b32_e32 v30, 15, v44
	v_cndmask_b32_e32 v26, 0, v26, vcc
	v_and_b32_e32 v31, 1, v31
	v_cmp_eq_u32_e32 vcc, 1, v32
	v_cndmask_b32_e64 v31, v31, 1, vcc
	v_cmp_eq_u32_e32 vcc, 0, v30
	v_and_b32_e32 v32, 0xffff, v31
	v_cndmask_b32_e64 v26, v26, 0, vcc
	v_add_u32_e32 v26, v26, v28
	v_cndmask_b32_e32 v28, v32, v29, vcc
	v_cndmask_b32_e32 v27, v31, v27, vcc
	v_mov_b32_dpp v32, v26 row_shr:2 row_mask:0xf bank_mask:0xf
	v_mov_b32_dpp v33, v28 row_shr:2 row_mask:0xf bank_mask:0xf
	v_cmp_lt_u32_e32 vcc, 1, v30
	v_mov_b32_e32 v29, v28
	s_and_saveexec_b64 s[28:29], vcc
; %bb.86:
	v_and_b32_e32 v27, 1, v31
	v_and_b32_e32 v28, 1, v33
	v_cmp_eq_u32_e32 vcc, 1, v27
	v_cndmask_b32_e64 v27, v28, 1, vcc
	v_cmp_eq_u16_e32 vcc, 0, v31
	v_cndmask_b32_e32 v28, 0, v32, vcc
	v_and_b32_e32 v29, 0xffff, v27
	v_add_u32_e32 v26, v28, v26
	v_mov_b32_e32 v28, v27
; %bb.87:
	s_or_b64 exec, exec, s[28:29]
	v_mov_b32_dpp v31, v26 row_shr:4 row_mask:0xf bank_mask:0xf
	v_mov_b32_dpp v32, v29 row_shr:4 row_mask:0xf bank_mask:0xf
	v_cmp_lt_u32_e32 vcc, 3, v30
	s_and_saveexec_b64 s[28:29], vcc
; %bb.88:
	v_and_b32_e32 v27, 1, v28
	v_and_b32_e32 v29, 1, v32
	v_cmp_eq_u32_e32 vcc, 1, v27
	v_cndmask_b32_e64 v27, v29, 1, vcc
	v_cmp_eq_u16_e32 vcc, 0, v28
	v_cndmask_b32_e32 v28, 0, v31, vcc
	v_and_b32_e32 v29, 0xffff, v27
	v_add_u32_e32 v26, v28, v26
	v_mov_b32_e32 v28, v27
; %bb.89:
	s_or_b64 exec, exec, s[28:29]
	v_mov_b32_dpp v31, v26 row_shr:8 row_mask:0xf bank_mask:0xf
	v_mov_b32_dpp v32, v29 row_shr:8 row_mask:0xf bank_mask:0xf
	v_cmp_lt_u32_e32 vcc, 7, v30
	s_and_saveexec_b64 s[28:29], vcc
; %bb.90:
	v_and_b32_e32 v27, 1, v28
	v_and_b32_e32 v29, 1, v32
	v_cmp_eq_u32_e32 vcc, 1, v27
	v_cndmask_b32_e64 v27, v29, 1, vcc
	v_cmp_eq_u16_e32 vcc, 0, v28
	v_cndmask_b32_e32 v28, 0, v31, vcc
	v_and_b32_e32 v29, 0xffff, v27
	v_add_u32_e32 v26, v28, v26
	v_mov_b32_e32 v28, v27
; %bb.91:
	s_or_b64 exec, exec, s[28:29]
	v_and_b32_e32 v32, 16, v44
	v_mov_b32_dpp v30, v26 row_bcast:15 row_mask:0xf bank_mask:0xf
	v_mov_b32_dpp v31, v29 row_bcast:15 row_mask:0xf bank_mask:0xf
	v_cmp_ne_u32_e32 vcc, 0, v32
	s_and_saveexec_b64 s[28:29], vcc
; %bb.92:
	v_and_b32_e32 v27, 1, v28
	v_and_b32_e32 v29, 1, v31
	v_cmp_eq_u32_e32 vcc, 1, v27
	v_cndmask_b32_e64 v27, v29, 1, vcc
	v_cmp_eq_u16_e32 vcc, 0, v28
	v_cndmask_b32_e32 v28, 0, v30, vcc
	v_and_b32_e32 v29, 0xffff, v27
	v_add_u32_e32 v26, v28, v26
	v_mov_b32_e32 v28, v27
; %bb.93:
	s_or_b64 exec, exec, s[28:29]
	v_mov_b32_e32 v31, 0
	v_mov_b32_dpp v29, v29 row_bcast:31 row_mask:0xf bank_mask:0xf
	v_cmp_eq_u16_sdwa s[28:29], v28, v31 src0_sel:BYTE_0 src1_sel:DWORD
	v_and_b32_e32 v28, 1, v28
	v_and_b32_e32 v29, 1, v29
	v_cmp_eq_u32_e32 vcc, 1, v28
	v_cndmask_b32_e64 v28, v29, 1, vcc
	v_cmp_lt_u32_e32 vcc, 31, v44
	v_mov_b32_dpp v30, v26 row_bcast:31 row_mask:0xf bank_mask:0xf
	v_cndmask_b32_e32 v29, v27, v28, vcc
	s_and_b64 vcc, vcc, s[28:29]
	v_cndmask_b32_e32 v27, 0, v30, vcc
	v_add_u32_e32 v28, v27, v26
	v_or_b32_e32 v26, 63, v0
	v_lshrrev_b32_e32 v30, 6, v0
	v_cmp_eq_u32_e32 vcc, v26, v0
	s_and_saveexec_b64 s[28:29], vcc
	s_cbranch_execz .LBB95_95
; %bb.94:
	v_lshlrev_b32_e32 v26, 3, v30
	ds_write_b32 v26, v28
	ds_write_b8 v26, v29 offset:4
.LBB95_95:
	s_or_b64 exec, exec, s[28:29]
	v_cmp_gt_u32_e32 vcc, 4, v0
	s_waitcnt lgkmcnt(0)
	s_barrier
	s_and_saveexec_b64 s[28:29], vcc
	s_cbranch_execz .LBB95_101
; %bb.96:
	v_lshlrev_b32_e32 v31, 3, v0
	ds_read_b64 v[26:27], v31
	v_and_b32_e32 v32, 3, v44
	v_cmp_ne_u32_e32 vcc, 0, v32
	s_waitcnt lgkmcnt(0)
	v_mov_b32_dpp v34, v26 row_shr:1 row_mask:0xf bank_mask:0xf
	v_mov_b32_dpp v35, v27 row_shr:1 row_mask:0xf bank_mask:0xf
	v_mov_b32_e32 v33, v27
	s_and_saveexec_b64 s[34:35], vcc
	s_cbranch_execz .LBB95_98
; %bb.97:
	v_and_b32_e32 v33, 1, v27
	v_and_b32_e32 v35, 1, v35
	v_cmp_eq_u32_e32 vcc, 1, v33
	v_mov_b32_e32 v33, 0
	v_cndmask_b32_e64 v35, v35, 1, vcc
	v_cmp_eq_u16_sdwa vcc, v27, v33 src0_sel:BYTE_0 src1_sel:DWORD
	v_cndmask_b32_e32 v33, 0, v34, vcc
	v_add_u32_e32 v26, v33, v26
	v_and_b32_e32 v33, 0xffff, v35
	s_movk_i32 s7, 0xff00
	v_and_or_b32 v33, v27, s7, v33
	v_mov_b32_e32 v27, v35
.LBB95_98:
	s_or_b64 exec, exec, s[34:35]
	v_mov_b32_dpp v34, v26 row_shr:2 row_mask:0xf bank_mask:0xf
	v_mov_b32_dpp v35, v33 row_shr:2 row_mask:0xf bank_mask:0xf
	v_cmp_lt_u32_e32 vcc, 1, v32
	s_and_saveexec_b64 s[34:35], vcc
; %bb.99:
	v_and_b32_e32 v27, 1, v33
	v_and_b32_e32 v32, 1, v35
	v_cmp_eq_u32_e32 vcc, 1, v27
	v_cndmask_b32_e64 v27, v32, 1, vcc
	v_mov_b32_e32 v32, 0
	v_cmp_eq_u32_sdwa vcc, v33, v32 src0_sel:BYTE_0 src1_sel:DWORD
	v_cndmask_b32_e32 v32, 0, v34, vcc
	v_add_u32_e32 v26, v32, v26
; %bb.100:
	s_or_b64 exec, exec, s[34:35]
	ds_write_b32 v31, v26
	ds_write_b8 v31, v27 offset:4
.LBB95_101:
	s_or_b64 exec, exec, s[28:29]
	v_cmp_gt_u32_e32 vcc, 64, v0
	v_cmp_lt_u32_e64 s[28:29], 63, v0
	v_mov_b32_e32 v42, 0
	v_mov_b32_e32 v43, 0
	s_waitcnt lgkmcnt(0)
	s_barrier
	s_and_saveexec_b64 s[34:35], s[28:29]
	s_cbranch_execz .LBB95_103
; %bb.102:
	v_lshl_add_u32 v26, v30, 3, -8
	ds_read_b32 v42, v26
	ds_read_u8 v43, v26 offset:4
	v_mov_b32_e32 v27, 0
	v_and_b32_e32 v30, 1, v29
	v_cmp_eq_u16_sdwa s[28:29], v29, v27 src0_sel:BYTE_0 src1_sel:DWORD
	s_waitcnt lgkmcnt(1)
	v_cndmask_b32_e64 v26, 0, v42, s[28:29]
	v_cmp_eq_u32_e64 s[28:29], 1, v30
	v_add_u32_e32 v28, v26, v28
	s_waitcnt lgkmcnt(0)
	v_cndmask_b32_e64 v29, v43, 1, s[28:29]
.LBB95_103:
	s_or_b64 exec, exec, s[34:35]
	v_and_b32_e32 v26, 0xff, v29
	v_add_u32_e32 v27, -1, v44
	v_and_b32_e32 v29, 64, v44
	v_cmp_lt_i32_e64 s[28:29], v27, v29
	v_cndmask_b32_e64 v27, v27, v44, s[28:29]
	v_lshlrev_b32_e32 v27, 2, v27
	ds_bpermute_b32 v45, v27, v28
	ds_bpermute_b32 v46, v27, v26
	v_cmp_eq_u32_e64 s[28:29], 0, v44
	s_and_saveexec_b64 s[40:41], vcc
	s_cbranch_execz .LBB95_122
; %bb.104:
	v_mov_b32_e32 v29, 0
	ds_read_b64 v[26:27], v29 offset:24
	s_waitcnt lgkmcnt(0)
	v_readfirstlane_b32 s7, v27
	s_and_saveexec_b64 s[34:35], s[28:29]
	s_cbranch_execz .LBB95_106
; %bb.105:
	s_add_i32 s42, s6, 64
	s_mov_b32 s43, 0
	s_lshl_b64 s[48:49], s[42:43], 4
	s_add_u32 s48, s36, s48
	s_addc_u32 s49, s37, s49
	s_and_b32 s51, s7, 0xff000000
	s_mov_b32 s50, s43
	s_and_b32 s53, s7, 0xff0000
	s_mov_b32 s52, s43
	s_or_b64 s[50:51], s[52:53], s[50:51]
	s_and_b32 s53, s7, 0xff00
	s_or_b64 s[50:51], s[50:51], s[52:53]
	s_and_b32 s53, s7, 0xff
	s_or_b64 s[42:43], s[50:51], s[52:53]
	v_mov_b32_e32 v27, s43
	v_mov_b32_e32 v28, 1
	v_pk_mov_b32 v[30:31], s[48:49], s[48:49] op_sel:[0,1]
	;;#ASMSTART
	global_store_dwordx4 v[30:31], v[26:29] off	
s_waitcnt vmcnt(0)
	;;#ASMEND
.LBB95_106:
	s_or_b64 exec, exec, s[34:35]
	v_xad_u32 v34, v44, -1, s6
	v_add_u32_e32 v28, 64, v34
	v_lshlrev_b64 v[30:31], 4, v[28:29]
	v_mov_b32_e32 v27, s37
	v_add_co_u32_e32 v36, vcc, s36, v30
	v_addc_co_u32_e32 v37, vcc, v27, v31, vcc
	;;#ASMSTART
	global_load_dwordx4 v[30:33], v[36:37] off glc	
s_waitcnt vmcnt(0)
	;;#ASMEND
	v_cmp_eq_u16_sdwa s[42:43], v32, v29 src0_sel:BYTE_0 src1_sel:DWORD
	s_and_saveexec_b64 s[34:35], s[42:43]
	s_cbranch_execz .LBB95_110
; %bb.107:
	s_mov_b64 s[42:43], 0
	v_mov_b32_e32 v27, 0
.LBB95_108:                             ; =>This Inner Loop Header: Depth=1
	;;#ASMSTART
	global_load_dwordx4 v[30:33], v[36:37] off glc	
s_waitcnt vmcnt(0)
	;;#ASMEND
	v_cmp_ne_u16_sdwa s[48:49], v32, v27 src0_sel:BYTE_0 src1_sel:DWORD
	s_or_b64 s[42:43], s[48:49], s[42:43]
	s_andn2_b64 exec, exec, s[42:43]
	s_cbranch_execnz .LBB95_108
; %bb.109:
	s_or_b64 exec, exec, s[42:43]
.LBB95_110:
	s_or_b64 exec, exec, s[34:35]
	v_mov_b32_e32 v27, 2
	v_cmp_eq_u16_sdwa s[34:35], v32, v27 src0_sel:BYTE_0 src1_sel:DWORD
	v_lshlrev_b64 v[28:29], v44, -1
	v_and_b32_e32 v33, s35, v29
	v_or_b32_e32 v33, 0x80000000, v33
	v_and_b32_e32 v35, s34, v28
	v_ffbl_b32_e32 v33, v33
	v_and_b32_e32 v57, 63, v44
	v_add_u32_e32 v33, 32, v33
	v_ffbl_b32_e32 v35, v35
	v_cmp_ne_u32_e32 vcc, 63, v57
	v_min_u32_e32 v33, v35, v33
	v_addc_co_u32_e32 v35, vcc, 0, v44, vcc
	v_and_b32_e32 v37, 0xff, v31
	v_lshlrev_b32_e32 v47, 2, v35
	ds_bpermute_b32 v35, v47, v37
	ds_bpermute_b32 v49, v47, v30
	s_mov_b32 s42, 0
	v_and_b32_e32 v31, 1, v31
	v_mov_b32_e32 v36, v30
	s_mov_b32 s43, 1
	s_waitcnt lgkmcnt(1)
	v_and_b32_e32 v35, 1, v35
	v_cmp_eq_u32_e32 vcc, 1, v31
	v_add_u32_e32 v48, 1, v44
	v_cndmask_b32_e64 v31, v35, 1, vcc
	v_cmp_gt_u64_e32 vcc, s[42:43], v[36:37]
	v_and_b32_e32 v35, 0xffff, v31
	s_waitcnt lgkmcnt(0)
	v_cndmask_b32_e32 v36, 0, v49, vcc
	v_cmp_gt_u32_e32 vcc, v48, v33
	v_cndmask_b32_e32 v31, v31, v37, vcc
	v_cndmask_b32_e64 v36, v36, 0, vcc
	v_cndmask_b32_e32 v35, v35, v37, vcc
	v_cmp_gt_u32_e32 vcc, 62, v57
	v_cndmask_b32_e64 v37, 0, 1, vcc
	v_lshlrev_b32_e32 v37, 1, v37
	v_add_lshl_u32 v49, v37, v44, 2
	ds_bpermute_b32 v37, v49, v35
	v_add_u32_e32 v30, v36, v30
	ds_bpermute_b32 v36, v49, v30
	v_and_b32_e32 v51, 1, v31
	v_cmp_eq_u32_e32 vcc, 1, v51
	s_waitcnt lgkmcnt(1)
	v_and_b32_e32 v37, 1, v37
	v_add_u32_e32 v50, 2, v44
	v_cndmask_b32_e64 v37, v37, 1, vcc
	v_cmp_eq_u16_e32 vcc, 0, v31
	v_and_b32_e32 v51, 0xffff, v37
	s_waitcnt lgkmcnt(0)
	v_cndmask_b32_e32 v36, 0, v36, vcc
	v_cmp_gt_u32_e32 vcc, v50, v33
	v_cndmask_b32_e32 v31, v37, v31, vcc
	v_cndmask_b32_e64 v36, v36, 0, vcc
	v_cndmask_b32_e32 v35, v51, v35, vcc
	v_cmp_gt_u32_e32 vcc, 60, v57
	v_cndmask_b32_e64 v37, 0, 1, vcc
	v_lshlrev_b32_e32 v37, 2, v37
	v_add_lshl_u32 v51, v37, v44, 2
	ds_bpermute_b32 v37, v51, v35
	v_add_u32_e32 v30, v36, v30
	ds_bpermute_b32 v36, v51, v30
	v_and_b32_e32 v53, 1, v31
	v_cmp_eq_u32_e32 vcc, 1, v53
	s_waitcnt lgkmcnt(1)
	v_and_b32_e32 v37, 1, v37
	v_add_u32_e32 v52, 4, v44
	v_cndmask_b32_e64 v37, v37, 1, vcc
	v_cmp_eq_u16_e32 vcc, 0, v31
	;; [unrolled: 21-line block ×3, first 2 shown]
	v_and_b32_e32 v55, 0xffff, v37
	s_waitcnt lgkmcnt(0)
	v_cndmask_b32_e32 v36, 0, v36, vcc
	v_cmp_gt_u32_e32 vcc, v54, v33
	v_cndmask_b32_e32 v31, v37, v31, vcc
	v_cndmask_b32_e64 v36, v36, 0, vcc
	v_cndmask_b32_e32 v37, v55, v35, vcc
	v_cmp_gt_u32_e32 vcc, 48, v57
	v_cndmask_b32_e64 v35, 0, 1, vcc
	v_lshlrev_b32_e32 v35, 4, v35
	v_add_lshl_u32 v55, v35, v44, 2
	ds_bpermute_b32 v35, v55, v37
	v_add_u32_e32 v30, v36, v30
	ds_bpermute_b32 v36, v55, v30
	v_and_b32_e32 v58, 1, v31
	v_cmp_eq_u32_e32 vcc, 1, v58
	s_waitcnt lgkmcnt(1)
	v_and_b32_e32 v35, 1, v35
	v_cndmask_b32_e64 v58, v35, 1, vcc
	v_mov_b32_e32 v35, 0
	v_add_u32_e32 v56, 16, v44
	v_cmp_eq_u16_sdwa vcc, v31, v35 src0_sel:BYTE_0 src1_sel:DWORD
	s_waitcnt lgkmcnt(0)
	v_cndmask_b32_e32 v36, 0, v36, vcc
	v_cmp_gt_u32_e32 vcc, v56, v33
	v_cndmask_b32_e64 v36, v36, 0, vcc
	v_cmp_gt_u32_e64 s[34:35], 32, v57
	v_add_u32_e32 v30, v36, v30
	v_cndmask_b32_e64 v36, 0, 1, s[34:35]
	v_and_b32_e32 v59, 0xffff, v58
	v_lshlrev_b32_e32 v36, 5, v36
	v_cndmask_b32_e32 v31, v58, v31, vcc
	v_add_lshl_u32 v58, v36, v44, 2
	v_cndmask_b32_e32 v37, v59, v37, vcc
	ds_bpermute_b32 v36, v58, v30
	ds_bpermute_b32 v37, v58, v37
	v_add_u32_e32 v59, 32, v44
	v_cmp_eq_u16_sdwa vcc, v31, v35 src0_sel:BYTE_0 src1_sel:DWORD
	v_and_b32_e32 v44, 1, v31
	s_waitcnt lgkmcnt(1)
	v_cndmask_b32_e32 v36, 0, v36, vcc
	s_waitcnt lgkmcnt(0)
	v_and_b32_e32 v37, 1, v37
	v_cmp_eq_u32_e32 vcc, 1, v44
	v_cndmask_b32_e64 v37, v37, 1, vcc
	v_cmp_gt_u32_e32 vcc, v59, v33
	v_cndmask_b32_e64 v33, v36, 0, vcc
	v_cndmask_b32_e32 v31, v37, v31, vcc
	v_add_u32_e32 v30, v33, v30
	s_branch .LBB95_112
.LBB95_111:                             ;   in Loop: Header=BB95_112 Depth=1
	s_or_b64 exec, exec, s[34:35]
	v_cmp_eq_u16_sdwa s[34:35], v32, v27 src0_sel:BYTE_0 src1_sel:DWORD
	v_and_b32_e32 v33, s35, v29
	v_and_b32_e32 v37, 0xff, v31
	v_or_b32_e32 v33, 0x80000000, v33
	v_and_b32_e32 v60, s34, v28
	v_ffbl_b32_e32 v33, v33
	ds_bpermute_b32 v61, v47, v37
	v_add_u32_e32 v33, 32, v33
	v_ffbl_b32_e32 v60, v60
	v_min_u32_e32 v33, v60, v33
	ds_bpermute_b32 v60, v47, v30
	v_and_b32_e32 v31, 1, v31
	v_mov_b32_e32 v36, v30
	s_waitcnt lgkmcnt(1)
	v_and_b32_e32 v61, 1, v61
	v_cmp_eq_u32_e32 vcc, 1, v31
	v_cndmask_b32_e64 v31, v61, 1, vcc
	v_cmp_gt_u64_e32 vcc, s[42:43], v[36:37]
	v_and_b32_e32 v61, 0xffff, v31
	s_waitcnt lgkmcnt(0)
	v_cndmask_b32_e32 v36, 0, v60, vcc
	v_cmp_gt_u32_e32 vcc, v48, v33
	v_cndmask_b32_e32 v31, v31, v37, vcc
	v_cndmask_b32_e32 v37, v61, v37, vcc
	ds_bpermute_b32 v60, v49, v37
	v_cndmask_b32_e64 v36, v36, 0, vcc
	v_add_u32_e32 v30, v36, v30
	ds_bpermute_b32 v36, v49, v30
	v_and_b32_e32 v61, 1, v31
	s_waitcnt lgkmcnt(1)
	v_and_b32_e32 v60, 1, v60
	v_cmp_eq_u32_e32 vcc, 1, v61
	v_cndmask_b32_e64 v60, v60, 1, vcc
	v_cmp_eq_u16_e32 vcc, 0, v31
	v_and_b32_e32 v61, 0xffff, v60
	s_waitcnt lgkmcnt(0)
	v_cndmask_b32_e32 v36, 0, v36, vcc
	v_cmp_gt_u32_e32 vcc, v50, v33
	v_cndmask_b32_e32 v37, v61, v37, vcc
	v_cndmask_b32_e32 v31, v60, v31, vcc
	ds_bpermute_b32 v60, v51, v37
	v_cndmask_b32_e64 v36, v36, 0, vcc
	v_add_u32_e32 v30, v36, v30
	ds_bpermute_b32 v36, v51, v30
	v_and_b32_e32 v61, 1, v31
	s_waitcnt lgkmcnt(1)
	v_and_b32_e32 v60, 1, v60
	v_cmp_eq_u32_e32 vcc, 1, v61
	v_cndmask_b32_e64 v60, v60, 1, vcc
	v_cmp_eq_u16_e32 vcc, 0, v31
	;; [unrolled: 16-line block ×3, first 2 shown]
	v_and_b32_e32 v61, 0xffff, v60
	s_waitcnt lgkmcnt(0)
	v_cndmask_b32_e32 v36, 0, v36, vcc
	v_cmp_gt_u32_e32 vcc, v54, v33
	v_cndmask_b32_e32 v37, v61, v37, vcc
	v_cndmask_b32_e32 v31, v60, v31, vcc
	ds_bpermute_b32 v60, v55, v37
	v_cndmask_b32_e64 v36, v36, 0, vcc
	v_add_u32_e32 v30, v36, v30
	ds_bpermute_b32 v36, v55, v30
	v_and_b32_e32 v61, 1, v31
	s_waitcnt lgkmcnt(1)
	v_and_b32_e32 v60, 1, v60
	v_cmp_eq_u32_e32 vcc, 1, v61
	v_cndmask_b32_e64 v60, v60, 1, vcc
	v_cmp_eq_u16_sdwa vcc, v31, v35 src0_sel:BYTE_0 src1_sel:DWORD
	s_waitcnt lgkmcnt(0)
	v_cndmask_b32_e32 v36, 0, v36, vcc
	v_cmp_gt_u32_e32 vcc, v56, v33
	v_cndmask_b32_e64 v36, v36, 0, vcc
	v_cndmask_b32_e32 v31, v60, v31, vcc
	v_add_u32_e32 v30, v36, v30
	v_and_b32_e32 v60, 0xffff, v60
	ds_bpermute_b32 v36, v58, v30
	v_cndmask_b32_e32 v37, v60, v37, vcc
	ds_bpermute_b32 v37, v58, v37
	v_cmp_eq_u16_sdwa vcc, v31, v35 src0_sel:BYTE_0 src1_sel:DWORD
	v_and_b32_e32 v60, 1, v31
	s_waitcnt lgkmcnt(1)
	v_cndmask_b32_e32 v36, 0, v36, vcc
	v_cmp_eq_u32_e32 vcc, 1, v60
	s_waitcnt lgkmcnt(0)
	v_cndmask_b32_e64 v37, v37, 1, vcc
	v_cmp_gt_u32_e32 vcc, v59, v33
	v_cndmask_b32_e64 v33, v36, 0, vcc
	v_cndmask_b32_e32 v31, v37, v31, vcc
	v_add_u32_e32 v30, v33, v30
	v_cmp_eq_u16_sdwa vcc, v44, v35 src0_sel:BYTE_0 src1_sel:DWORD
	v_and_b32_e32 v33, 1, v44
	v_cndmask_b32_e32 v30, 0, v30, vcc
	v_and_b32_e32 v31, 1, v31
	v_cmp_eq_u32_e32 vcc, 1, v33
	v_subrev_u32_e32 v34, 64, v34
	v_add_u32_e32 v30, v30, v57
	v_cndmask_b32_e64 v31, v31, 1, vcc
.LBB95_112:                             ; =>This Loop Header: Depth=1
                                        ;     Child Loop BB95_115 Depth 2
	v_cmp_ne_u16_sdwa s[34:35], v32, v27 src0_sel:BYTE_0 src1_sel:DWORD
	v_mov_b32_e32 v44, v31
	v_cndmask_b32_e64 v31, 0, 1, s[34:35]
	;;#ASMSTART
	;;#ASMEND
	v_cmp_ne_u32_e32 vcc, 0, v31
	s_cmp_lg_u64 vcc, exec
	v_mov_b32_e32 v57, v30
	s_cbranch_scc1 .LBB95_117
; %bb.113:                              ;   in Loop: Header=BB95_112 Depth=1
	v_lshlrev_b64 v[30:31], 4, v[34:35]
	v_mov_b32_e32 v32, s37
	v_add_co_u32_e32 v36, vcc, s36, v30
	v_addc_co_u32_e32 v37, vcc, v32, v31, vcc
	;;#ASMSTART
	global_load_dwordx4 v[30:33], v[36:37] off glc	
s_waitcnt vmcnt(0)
	;;#ASMEND
	v_cmp_eq_u16_sdwa s[48:49], v32, v35 src0_sel:BYTE_0 src1_sel:DWORD
	s_and_saveexec_b64 s[34:35], s[48:49]
	s_cbranch_execz .LBB95_111
; %bb.114:                              ;   in Loop: Header=BB95_112 Depth=1
	s_mov_b64 s[48:49], 0
.LBB95_115:                             ;   Parent Loop BB95_112 Depth=1
                                        ; =>  This Inner Loop Header: Depth=2
	;;#ASMSTART
	global_load_dwordx4 v[30:33], v[36:37] off glc	
s_waitcnt vmcnt(0)
	;;#ASMEND
	v_cmp_ne_u16_sdwa s[50:51], v32, v35 src0_sel:BYTE_0 src1_sel:DWORD
	s_or_b64 s[48:49], s[50:51], s[48:49]
	s_andn2_b64 exec, exec, s[48:49]
	s_cbranch_execnz .LBB95_115
; %bb.116:                              ;   in Loop: Header=BB95_112 Depth=1
	s_or_b64 exec, exec, s[48:49]
	s_branch .LBB95_111
.LBB95_117:                             ;   in Loop: Header=BB95_112 Depth=1
                                        ; implicit-def: $vgpr31
                                        ; implicit-def: $vgpr30
                                        ; implicit-def: $vgpr32
	s_cbranch_execz .LBB95_112
; %bb.118:
	s_and_saveexec_b64 s[34:35], s[28:29]
	s_cbranch_execz .LBB95_120
; %bb.119:
	s_and_b32 s39, s7, 0xff
	s_cmp_eq_u32 s39, 0
	s_cselect_b64 vcc, -1, 0
	s_bitcmp1_b32 s7, 0
	s_mov_b32 s43, 0
	s_cselect_b64 s[48:49], -1, 0
	s_add_i32 s42, s6, 64
	s_lshl_b64 s[6:7], s[42:43], 4
	v_cndmask_b32_e32 v27, 0, v57, vcc
	s_add_u32 s6, s36, s6
	v_add_u32_e32 v26, v27, v26
	v_and_b32_e32 v27, 1, v44
	s_addc_u32 s7, s37, s7
	v_mov_b32_e32 v29, 0
	v_cndmask_b32_e64 v27, v27, 1, s[48:49]
	v_mov_b32_e32 v28, 2
	v_pk_mov_b32 v[30:31], s[6:7], s[6:7] op_sel:[0,1]
	;;#ASMSTART
	global_store_dwordx4 v[30:31], v[26:29] off	
s_waitcnt vmcnt(0)
	;;#ASMEND
.LBB95_120:
	s_or_b64 exec, exec, s[34:35]
	v_cmp_eq_u32_e32 vcc, 0, v0
	s_and_b64 exec, exec, vcc
	s_cbranch_execz .LBB95_122
; %bb.121:
	v_mov_b32_e32 v26, 0
	ds_write_b32 v26, v57 offset:24
	ds_write_b8 v26, v44 offset:28
.LBB95_122:
	s_or_b64 exec, exec, s[40:41]
	v_mov_b32_e32 v28, 0
	s_waitcnt lgkmcnt(0)
	s_barrier
	ds_read_b32 v26, v28 offset:24
	v_cndmask_b32_e64 v27, v46, v43, s[28:29]
	v_cmp_eq_u16_sdwa vcc, v27, v28 src0_sel:BYTE_0 src1_sel:DWORD
	v_cndmask_b32_e64 v29, v45, v42, s[28:29]
	s_waitcnt lgkmcnt(0)
	v_cndmask_b32_e32 v27, 0, v26, vcc
	v_add_u32_e32 v27, v27, v29
	v_cmp_eq_u32_e32 vcc, 0, v0
	v_and_b32_e32 v29, 0xff, v39
	v_cndmask_b32_e32 v26, v27, v26, vcc
	v_cmp_eq_u64_e32 vcc, 0, v[28:29]
	v_cndmask_b32_e32 v27, 0, v26, vcc
	v_add_u32_e32 v27, v27, v38
	v_cndmask_b32_e64 v28, 0, v27, s[2:3]
	v_add_u32_e32 v42, v28, v8
	v_cndmask_b32_e64 v28, 0, v42, s[30:31]
	;; [unrolled: 2-line block ×12, first 2 shown]
	v_add_u32_e32 v49, v28, v24
	s_branch .LBB95_159
.LBB95_123:
	s_or_b64 exec, exec, s[40:41]
                                        ; implicit-def: $vgpr5
	s_and_saveexec_b64 s[2:3], s[34:35]
	s_cbranch_execz .LBB95_33
.LBB95_124:
	global_load_dword v5, v[2:3], off offset:1024
	s_or_b64 exec, exec, s[2:3]
                                        ; implicit-def: $vgpr6
	s_and_saveexec_b64 s[2:3], s[8:9]
	s_cbranch_execnz .LBB95_34
.LBB95_125:
	s_or_b64 exec, exec, s[2:3]
                                        ; implicit-def: $vgpr7
	s_and_saveexec_b64 s[2:3], s[10:11]
	s_cbranch_execz .LBB95_35
.LBB95_126:
	global_load_dword v7, v[2:3], off offset:3072
	s_or_b64 exec, exec, s[2:3]
                                        ; implicit-def: $vgpr8
	s_and_saveexec_b64 s[2:3], s[12:13]
	s_cbranch_execnz .LBB95_36
.LBB95_127:
	s_or_b64 exec, exec, s[2:3]
                                        ; implicit-def: $vgpr9
	s_and_saveexec_b64 s[2:3], s[14:15]
	s_cbranch_execz .LBB95_37
.LBB95_128:
	v_add_co_u32_e32 v10, vcc, 0x1000, v2
	v_addc_co_u32_e32 v11, vcc, 0, v3, vcc
	global_load_dword v9, v[10:11], off offset:1024
	s_or_b64 exec, exec, s[2:3]
                                        ; implicit-def: $vgpr10
	s_and_saveexec_b64 s[2:3], s[16:17]
	s_cbranch_execnz .LBB95_38
.LBB95_129:
	s_or_b64 exec, exec, s[2:3]
                                        ; implicit-def: $vgpr11
	s_and_saveexec_b64 s[2:3], s[18:19]
	s_cbranch_execz .LBB95_39
.LBB95_130:
	v_add_co_u32_e32 v12, vcc, 0x1000, v2
	v_addc_co_u32_e32 v13, vcc, 0, v3, vcc
	global_load_dword v11, v[12:13], off offset:3072
	s_or_b64 exec, exec, s[2:3]
                                        ; implicit-def: $vgpr12
	s_and_saveexec_b64 s[2:3], s[20:21]
	s_cbranch_execnz .LBB95_40
.LBB95_131:
	s_or_b64 exec, exec, s[2:3]
                                        ; implicit-def: $vgpr13
	s_and_saveexec_b64 s[2:3], s[22:23]
	s_cbranch_execz .LBB95_41
.LBB95_132:
	v_add_co_u32_e32 v14, vcc, 0x2000, v2
	v_addc_co_u32_e32 v15, vcc, 0, v3, vcc
	global_load_dword v13, v[14:15], off offset:1024
	s_or_b64 exec, exec, s[2:3]
                                        ; implicit-def: $vgpr14
	s_and_saveexec_b64 s[2:3], s[24:25]
	s_cbranch_execnz .LBB95_42
.LBB95_133:
	s_or_b64 exec, exec, s[2:3]
                                        ; implicit-def: $vgpr15
	s_and_saveexec_b64 s[2:3], s[26:27]
	s_cbranch_execz .LBB95_43
.LBB95_134:
	v_add_co_u32_e32 v16, vcc, 0x2000, v2
	v_addc_co_u32_e32 v17, vcc, 0, v3, vcc
	global_load_dword v15, v[16:17], off offset:3072
	s_or_b64 exec, exec, s[2:3]
                                        ; implicit-def: $vgpr16
	s_and_saveexec_b64 s[2:3], s[28:29]
	s_cbranch_execz .LBB95_45
	s_branch .LBB95_44
.LBB95_135:
                                        ; implicit-def: $vgpr48_vgpr49
                                        ; implicit-def: $vgpr46_vgpr47
                                        ; implicit-def: $vgpr44_vgpr45
                                        ; implicit-def: $vgpr42_vgpr43
                                        ; implicit-def: $vgpr34_vgpr35_vgpr36_vgpr37
                                        ; implicit-def: $vgpr30_vgpr31_vgpr32_vgpr33
                                        ; implicit-def: $vgpr26_vgpr27_vgpr28_vgpr29
	s_cbranch_execz .LBB95_159
; %bb.136:
	s_cmp_eq_u64 s[46:47], 0
	s_cbranch_scc1 .LBB95_138
; %bb.137:
	s_load_dword s54, s[46:47], 0x0
.LBB95_138:
	s_mov_b32 s26, 0
	s_mov_b32 s27, 1
	v_cmp_gt_u64_e32 vcc, s[26:27], v[8:9]
	v_cndmask_b32_e32 v27, 0, v38, vcc
	v_add_u32_e32 v27, v27, v8
	v_cmp_gt_u64_e64 s[2:3], s[26:27], v[6:7]
	v_cndmask_b32_e64 v27, 0, v27, s[2:3]
	v_add_u32_e32 v27, v27, v6
	v_cmp_gt_u64_e64 s[6:7], s[26:27], v[4:5]
	v_cndmask_b32_e64 v27, 0, v27, s[6:7]
	;; [unrolled: 3-line block ×11, first 2 shown]
	v_mov_b32_e32 v26, 0
	v_add_u32_e32 v27, v27, v24
	v_cmp_gt_u64_e64 s[26:27], s[26:27], v[40:41]
	v_or3_b32 v7, v23, v15, v7
	v_cndmask_b32_e64 v27, 0, v27, s[26:27]
	v_or3_b32 v9, v25, v17, v9
	v_and_b32_e32 v33, 1, v7
	v_mov_b32_e32 v32, v26
	v_add_u32_e32 v34, v27, v40
	v_and_b32_e32 v27, 1, v41
	v_or3_b32 v3, v19, v11, v3
	v_and_b32_e32 v31, 1, v9
	v_mov_b32_e32 v30, v26
	v_cmp_ne_u64_e64 s[28:29], 0, v[32:33]
	v_cmp_eq_u32_e64 s[26:27], 1, v27
	v_or3_b32 v5, v21, v13, v5
	v_and_b32_e32 v27, 1, v3
	v_cndmask_b32_e64 v3, 0, 1, s[28:29]
	v_cmp_ne_u64_e64 s[28:29], 0, v[30:31]
	v_and_b32_e32 v29, 1, v5
	v_mov_b32_e32 v28, v26
	v_cndmask_b32_e64 v5, 0, 1, s[28:29]
	v_lshlrev_b16_e32 v3, 2, v3
	v_lshlrev_b16_e32 v5, 3, v5
	v_cmp_ne_u64_e64 s[28:29], 0, v[28:29]
	v_or_b32_e32 v3, v5, v3
	v_cndmask_b32_e64 v5, 0, 1, s[28:29]
	v_cmp_ne_u64_e64 s[28:29], 0, v[26:27]
	v_lshlrev_b16_e32 v5, 1, v5
	v_cndmask_b32_e64 v7, 0, 1, s[28:29]
	v_or_b32_e32 v5, v7, v5
	v_and_b32_e32 v5, 3, v5
	v_or_b32_e32 v3, v5, v3
	v_and_b32_e32 v3, 15, v3
	v_cmp_ne_u16_e64 s[28:29], 0, v3
	s_or_b64 s[26:27], s[26:27], s[28:29]
	v_cndmask_b32_e64 v5, v39, 1, s[26:27]
	v_and_b32_e32 v7, 0xff, v5
	v_mbcnt_hi_u32_b32 v1, -1, v1
	v_mov_b32_dpp v3, v34 row_shr:1 row_mask:0xf bank_mask:0xf
	v_mov_b32_dpp v9, v7 row_shr:1 row_mask:0xf bank_mask:0xf
	v_cmp_eq_u16_e64 s[26:27], 0, v7
	v_and_b32_e32 v13, 1, v5
	v_and_b32_e32 v11, 15, v1
	v_cndmask_b32_e64 v3, 0, v3, s[26:27]
	v_and_b32_e32 v9, 1, v9
	v_cmp_eq_u32_e64 s[26:27], 1, v13
	v_cndmask_b32_e64 v13, v9, 1, s[26:27]
	v_cmp_eq_u32_e64 s[26:27], 0, v11
	v_and_b32_e32 v9, 0xffff, v13
	v_cndmask_b32_e64 v3, v3, 0, s[26:27]
	v_add_u32_e32 v3, v3, v34
	v_cndmask_b32_e64 v7, v9, v7, s[26:27]
	v_cndmask_b32_e64 v5, v13, v5, s[26:27]
	v_mov_b32_dpp v15, v3 row_shr:2 row_mask:0xf bank_mask:0xf
	v_mov_b32_dpp v17, v7 row_shr:2 row_mask:0xf bank_mask:0xf
	v_cmp_lt_u32_e64 s[26:27], 1, v11
	v_mov_b32_e32 v9, v7
	s_and_saveexec_b64 s[28:29], s[26:27]
; %bb.139:
	v_and_b32_e32 v5, 1, v13
	v_and_b32_e32 v7, 1, v17
	v_cmp_eq_u32_e64 s[26:27], 1, v5
	v_cndmask_b32_e64 v5, v7, 1, s[26:27]
	v_cmp_eq_u16_e64 s[26:27], 0, v13
	v_cndmask_b32_e64 v7, 0, v15, s[26:27]
	v_and_b32_e32 v9, 0xffff, v5
	v_add_u32_e32 v3, v7, v3
	v_mov_b32_e32 v7, v5
; %bb.140:
	s_or_b64 exec, exec, s[28:29]
	v_mov_b32_dpp v13, v3 row_shr:4 row_mask:0xf bank_mask:0xf
	v_mov_b32_dpp v15, v9 row_shr:4 row_mask:0xf bank_mask:0xf
	v_cmp_lt_u32_e64 s[26:27], 3, v11
	s_and_saveexec_b64 s[28:29], s[26:27]
; %bb.141:
	v_and_b32_e32 v5, 1, v7
	v_and_b32_e32 v9, 1, v15
	v_cmp_eq_u32_e64 s[26:27], 1, v5
	v_cndmask_b32_e64 v5, v9, 1, s[26:27]
	v_cmp_eq_u16_e64 s[26:27], 0, v7
	v_cndmask_b32_e64 v7, 0, v13, s[26:27]
	v_and_b32_e32 v9, 0xffff, v5
	v_add_u32_e32 v3, v7, v3
	v_mov_b32_e32 v7, v5
; %bb.142:
	s_or_b64 exec, exec, s[28:29]
	v_mov_b32_dpp v13, v3 row_shr:8 row_mask:0xf bank_mask:0xf
	v_mov_b32_dpp v15, v9 row_shr:8 row_mask:0xf bank_mask:0xf
	v_cmp_lt_u32_e64 s[26:27], 7, v11
	s_and_saveexec_b64 s[28:29], s[26:27]
; %bb.143:
	v_and_b32_e32 v5, 1, v7
	v_and_b32_e32 v9, 1, v15
	v_cmp_eq_u32_e64 s[26:27], 1, v5
	v_cndmask_b32_e64 v5, v9, 1, s[26:27]
	v_cmp_eq_u16_e64 s[26:27], 0, v7
	v_cndmask_b32_e64 v7, 0, v13, s[26:27]
	v_and_b32_e32 v9, 0xffff, v5
	v_add_u32_e32 v3, v7, v3
	v_mov_b32_e32 v7, v5
; %bb.144:
	s_or_b64 exec, exec, s[28:29]
	v_and_b32_e32 v15, 16, v1
	v_mov_b32_dpp v11, v3 row_bcast:15 row_mask:0xf bank_mask:0xf
	v_mov_b32_dpp v13, v9 row_bcast:15 row_mask:0xf bank_mask:0xf
	v_cmp_ne_u32_e64 s[26:27], 0, v15
	s_and_saveexec_b64 s[28:29], s[26:27]
; %bb.145:
	v_and_b32_e32 v5, 1, v7
	v_and_b32_e32 v9, 1, v13
	v_cmp_eq_u32_e64 s[26:27], 1, v5
	v_cndmask_b32_e64 v5, v9, 1, s[26:27]
	v_cmp_eq_u16_e64 s[26:27], 0, v7
	v_cndmask_b32_e64 v7, 0, v11, s[26:27]
	v_and_b32_e32 v9, 0xffff, v5
	v_add_u32_e32 v3, v7, v3
	v_mov_b32_e32 v7, v5
; %bb.146:
	s_or_b64 exec, exec, s[28:29]
	v_mov_b32_e32 v13, 0
	v_mov_b32_dpp v9, v9 row_bcast:31 row_mask:0xf bank_mask:0xf
	v_cmp_eq_u16_sdwa s[28:29], v7, v13 src0_sel:BYTE_0 src1_sel:DWORD
	v_and_b32_e32 v7, 1, v7
	v_and_b32_e32 v9, 1, v9
	v_cmp_eq_u32_e64 s[26:27], 1, v7
	v_cndmask_b32_e64 v7, v9, 1, s[26:27]
	v_cmp_lt_u32_e64 s[26:27], 31, v1
	v_mov_b32_dpp v11, v3 row_bcast:31 row_mask:0xf bank_mask:0xf
	v_cndmask_b32_e64 v5, v5, v7, s[26:27]
	s_and_b64 s[26:27], s[26:27], s[28:29]
	v_cndmask_b32_e64 v7, 0, v11, s[26:27]
	v_or_b32_e32 v9, 63, v0
	v_add_u32_e32 v3, v7, v3
	v_lshrrev_b32_e32 v7, 6, v0
	v_cmp_eq_u32_e64 s[26:27], v9, v0
	s_and_saveexec_b64 s[28:29], s[26:27]
	s_cbranch_execz .LBB95_148
; %bb.147:
	v_lshlrev_b32_e32 v9, 3, v7
	ds_write_b32 v9, v3
	ds_write_b8 v9, v5 offset:4
.LBB95_148:
	s_or_b64 exec, exec, s[28:29]
	v_cmp_gt_u32_e64 s[26:27], 4, v0
	s_waitcnt lgkmcnt(0)
	s_barrier
	s_and_saveexec_b64 s[28:29], s[26:27]
	s_cbranch_execz .LBB95_154
; %bb.149:
	v_lshlrev_b32_e32 v9, 3, v0
	ds_read_b64 v[26:27], v9
	v_and_b32_e32 v11, 3, v1
	v_cmp_ne_u32_e64 s[26:27], 0, v11
	s_waitcnt lgkmcnt(0)
	v_mov_b32_dpp v15, v26 row_shr:1 row_mask:0xf bank_mask:0xf
	v_mov_b32_dpp v17, v27 row_shr:1 row_mask:0xf bank_mask:0xf
	v_mov_b32_e32 v13, v27
	s_and_saveexec_b64 s[30:31], s[26:27]
	s_cbranch_execz .LBB95_151
; %bb.150:
	v_and_b32_e32 v13, 1, v27
	v_and_b32_e32 v17, 1, v17
	v_cmp_eq_u32_e64 s[26:27], 1, v13
	v_mov_b32_e32 v13, 0
	v_cndmask_b32_e64 v17, v17, 1, s[26:27]
	v_cmp_eq_u16_sdwa s[26:27], v27, v13 src0_sel:BYTE_0 src1_sel:DWORD
	v_cndmask_b32_e64 v13, 0, v15, s[26:27]
	v_add_u32_e32 v26, v13, v26
	v_and_b32_e32 v13, 0xffff, v17
	s_movk_i32 s26, 0xff00
	v_and_or_b32 v13, v27, s26, v13
	v_mov_b32_e32 v27, v17
.LBB95_151:
	s_or_b64 exec, exec, s[30:31]
	v_mov_b32_dpp v15, v26 row_shr:2 row_mask:0xf bank_mask:0xf
	v_mov_b32_dpp v17, v13 row_shr:2 row_mask:0xf bank_mask:0xf
	v_cmp_lt_u32_e64 s[26:27], 1, v11
	s_and_saveexec_b64 s[30:31], s[26:27]
; %bb.152:
	v_and_b32_e32 v11, 1, v13
	v_and_b32_e32 v17, 1, v17
	v_cmp_eq_u32_e64 s[26:27], 1, v11
	v_mov_b32_e32 v11, 0
	v_cndmask_b32_e64 v27, v17, 1, s[26:27]
	v_cmp_eq_u32_sdwa s[26:27], v13, v11 src0_sel:BYTE_0 src1_sel:DWORD
	v_cndmask_b32_e64 v11, 0, v15, s[26:27]
	v_add_u32_e32 v26, v11, v26
; %bb.153:
	s_or_b64 exec, exec, s[30:31]
	ds_write_b32 v9, v26
	ds_write_b8 v9, v27 offset:4
.LBB95_154:
	s_or_b64 exec, exec, s[28:29]
	v_cmp_lt_u32_e64 s[26:27], 63, v0
	v_mov_b32_e32 v9, s54
	s_waitcnt lgkmcnt(0)
	s_barrier
	s_and_saveexec_b64 s[28:29], s[26:27]
	s_cbranch_execz .LBB95_156
; %bb.155:
	v_lshl_add_u32 v7, v7, 3, -8
	ds_read_u8 v9, v7 offset:4
	ds_read_b32 v7, v7
	v_mov_b32_e32 v11, s54
	s_waitcnt lgkmcnt(1)
	v_cmp_eq_u16_e64 s[26:27], 0, v9
	v_cndmask_b32_e64 v9, 0, v11, s[26:27]
	s_waitcnt lgkmcnt(0)
	v_add_u32_e32 v9, v9, v7
.LBB95_156:
	s_or_b64 exec, exec, s[28:29]
	v_mov_b32_e32 v28, 0
	v_cmp_eq_u16_sdwa s[26:27], v5, v28 src0_sel:BYTE_0 src1_sel:DWORD
	v_cndmask_b32_e64 v5, 0, v9, s[26:27]
	v_add_u32_e32 v3, v5, v3
	v_add_u32_e32 v5, -1, v1
	v_and_b32_e32 v7, 64, v1
	v_cmp_lt_i32_e64 s[26:27], v5, v7
	v_cndmask_b32_e64 v5, v5, v1, s[26:27]
	v_lshlrev_b32_e32 v5, 2, v5
	ds_bpermute_b32 v3, v5, v3
	v_cmp_eq_u32_e64 s[26:27], 0, v1
	v_mov_b32_e32 v1, s54
	v_and_b32_e32 v29, 0xff, v39
	v_cmp_eq_u64_e64 s[28:29], 0, v[28:29]
	s_waitcnt lgkmcnt(0)
	v_cndmask_b32_e64 v26, v3, v9, s[26:27]
	v_cmp_eq_u32_e64 s[26:27], 0, v0
	v_cndmask_b32_e64 v1, v26, v1, s[26:27]
	v_cndmask_b32_e64 v1, 0, v1, s[28:29]
	v_add_u32_e32 v27, v1, v38
	v_cndmask_b32_e32 v1, 0, v27, vcc
	v_add_u32_e32 v42, v1, v8
	v_cndmask_b32_e64 v1, 0, v42, s[2:3]
	v_add_u32_e32 v43, v1, v6
	v_cndmask_b32_e64 v1, 0, v43, s[6:7]
	;; [unrolled: 2-line block ×11, first 2 shown]
	v_add_u32_e32 v49, v1, v24
	s_and_saveexec_b64 s[2:3], s[26:27]
	s_cbranch_execz .LBB95_158
; %bb.157:
	ds_read_u8 v1, v28 offset:28
	ds_read_b32 v2, v28 offset:24
	v_mov_b32_e32 v4, 2
	v_mov_b32_e32 v5, v28
	;; [unrolled: 1-line block ×3, first 2 shown]
	s_waitcnt lgkmcnt(1)
	v_cmp_eq_u16_e32 vcc, 0, v1
	s_and_b64 s[6:7], vcc, exec
	s_cselect_b32 s7, s54, 0
	s_add_u32 s6, s36, 0x400
	s_waitcnt lgkmcnt(0)
	v_add_u32_e32 v2, s7, v2
	s_addc_u32 s7, s37, 0
	v_and_b32_e32 v3, 0xffff, v1
	v_pk_mov_b32 v[6:7], s[6:7], s[6:7] op_sel:[0,1]
	;;#ASMSTART
	global_store_dwordx4 v[6:7], v[2:5] off	
s_waitcnt vmcnt(0)
	;;#ASMEND
.LBB95_158:
	s_or_b64 exec, exec, s[2:3]
.LBB95_159:
	s_load_dwordx2 s[2:3], s[4:5], 0x18
	s_lshl_b64 s[4:5], s[44:45], 3
	v_mul_u32_u24_e32 v1, 14, v0
	v_lshlrev_b32_e32 v2, 2, v1
	v_lshlrev_b32_e32 v18, 3, v0
	s_waitcnt lgkmcnt(0)
	s_add_u32 s2, s2, s4
	s_addc_u32 s3, s3, s5
	s_and_b64 vcc, exec, s[0:1]
	s_cbranch_vccz .LBB95_187
; %bb.160:
	s_movk_i32 s0, 0xffcc
	v_mad_i32_i24 v3, v0, s0, v2
	s_barrier
	ds_write2_b64 v2, v[26:27], v[42:43] offset1:1
	ds_write2_b64 v2, v[30:31], v[44:45] offset0:2 offset1:3
	ds_write2_b64 v2, v[34:35], v[46:47] offset0:4 offset1:5
	ds_write_b64 v2, v[48:49] offset:48
	s_waitcnt lgkmcnt(0)
	s_barrier
	ds_read2st64_b32 v[16:17], v3 offset0:4 offset1:8
	ds_read2st64_b32 v[14:15], v3 offset0:12 offset1:16
	;; [unrolled: 1-line block ×6, first 2 shown]
	ds_read_b32 v3, v3 offset:13312
	v_mov_b32_e32 v7, s3
	v_add_co_u32_e32 v6, vcc, s2, v18
	s_add_i32 s33, s33, s38
	v_addc_co_u32_e32 v7, vcc, 0, v7, vcc
	v_mov_b32_e32 v1, 0
	v_cmp_gt_u32_e32 vcc, s33, v0
	s_and_saveexec_b64 s[0:1], vcc
	s_cbranch_execz .LBB95_162
; %bb.161:
	v_mul_i32_i24_e32 v19, 0xffffffcc, v0
	v_add_u32_e32 v19, v2, v19
	ds_read_b32 v20, v19
	s_waitcnt lgkmcnt(0)
	v_ashrrev_i32_e32 v21, 31, v20
	global_store_dwordx2 v[6:7], v[20:21], off
.LBB95_162:
	s_or_b64 exec, exec, s[0:1]
	v_or_b32_e32 v19, 0x100, v0
	v_cmp_gt_u32_e32 vcc, s33, v19
	s_and_saveexec_b64 s[0:1], vcc
	s_cbranch_execz .LBB95_164
; %bb.163:
	s_waitcnt lgkmcnt(6)
	v_ashrrev_i32_e32 v21, 31, v16
	v_mov_b32_e32 v20, v16
	global_store_dwordx2 v[6:7], v[20:21], off offset:2048
.LBB95_164:
	s_or_b64 exec, exec, s[0:1]
	s_waitcnt lgkmcnt(6)
	v_or_b32_e32 v16, 0x200, v0
	v_cmp_gt_u32_e32 vcc, s33, v16
	s_and_saveexec_b64 s[0:1], vcc
	s_cbranch_execz .LBB95_166
; %bb.165:
	v_add_co_u32_e32 v16, vcc, 0x1000, v6
	v_ashrrev_i32_e32 v21, 31, v17
	v_mov_b32_e32 v20, v17
	v_addc_co_u32_e32 v17, vcc, 0, v7, vcc
	global_store_dwordx2 v[16:17], v[20:21], off
.LBB95_166:
	s_or_b64 exec, exec, s[0:1]
	v_or_b32_e32 v16, 0x300, v0
	v_cmp_gt_u32_e32 vcc, s33, v16
	s_and_saveexec_b64 s[0:1], vcc
	s_cbranch_execz .LBB95_168
; %bb.167:
	v_add_co_u32_e32 v20, vcc, 0x1000, v6
	s_waitcnt lgkmcnt(5)
	v_ashrrev_i32_e32 v17, 31, v14
	v_mov_b32_e32 v16, v14
	v_addc_co_u32_e32 v21, vcc, 0, v7, vcc
	global_store_dwordx2 v[20:21], v[16:17], off offset:2048
.LBB95_168:
	s_or_b64 exec, exec, s[0:1]
	s_waitcnt lgkmcnt(5)
	v_or_b32_e32 v14, 0x400, v0
	v_cmp_gt_u32_e32 vcc, s33, v14
	s_and_saveexec_b64 s[0:1], vcc
	s_cbranch_execz .LBB95_170
; %bb.169:
	v_add_co_u32_e32 v14, vcc, 0x2000, v6
	v_ashrrev_i32_e32 v17, 31, v15
	v_mov_b32_e32 v16, v15
	v_addc_co_u32_e32 v15, vcc, 0, v7, vcc
	global_store_dwordx2 v[14:15], v[16:17], off
.LBB95_170:
	s_or_b64 exec, exec, s[0:1]
	v_or_b32_e32 v14, 0x500, v0
	v_cmp_gt_u32_e32 vcc, s33, v14
	s_and_saveexec_b64 s[0:1], vcc
	s_cbranch_execz .LBB95_172
; %bb.171:
	v_add_co_u32_e32 v16, vcc, 0x2000, v6
	s_waitcnt lgkmcnt(4)
	v_ashrrev_i32_e32 v15, 31, v12
	v_mov_b32_e32 v14, v12
	v_addc_co_u32_e32 v17, vcc, 0, v7, vcc
	global_store_dwordx2 v[16:17], v[14:15], off offset:2048
.LBB95_172:
	s_or_b64 exec, exec, s[0:1]
	s_waitcnt lgkmcnt(4)
	v_or_b32_e32 v12, 0x600, v0
	v_cmp_gt_u32_e32 vcc, s33, v12
	s_and_saveexec_b64 s[0:1], vcc
	s_cbranch_execz .LBB95_174
; %bb.173:
	v_add_co_u32_e32 v12, vcc, 0x3000, v6
	v_ashrrev_i32_e32 v15, 31, v13
	v_mov_b32_e32 v14, v13
	v_addc_co_u32_e32 v13, vcc, 0, v7, vcc
	global_store_dwordx2 v[12:13], v[14:15], off
.LBB95_174:
	s_or_b64 exec, exec, s[0:1]
	v_or_b32_e32 v12, 0x700, v0
	v_cmp_gt_u32_e32 vcc, s33, v12
	s_and_saveexec_b64 s[0:1], vcc
	s_cbranch_execz .LBB95_176
; %bb.175:
	v_add_co_u32_e32 v14, vcc, 0x3000, v6
	s_waitcnt lgkmcnt(3)
	v_ashrrev_i32_e32 v13, 31, v10
	v_mov_b32_e32 v12, v10
	v_addc_co_u32_e32 v15, vcc, 0, v7, vcc
	global_store_dwordx2 v[14:15], v[12:13], off offset:2048
.LBB95_176:
	s_or_b64 exec, exec, s[0:1]
	s_waitcnt lgkmcnt(3)
	v_or_b32_e32 v10, 0x800, v0
	v_cmp_gt_u32_e32 vcc, s33, v10
	s_and_saveexec_b64 s[0:1], vcc
	s_cbranch_execz .LBB95_178
; %bb.177:
	v_add_co_u32_e32 v10, vcc, 0x4000, v6
	v_ashrrev_i32_e32 v13, 31, v11
	v_mov_b32_e32 v12, v11
	v_addc_co_u32_e32 v11, vcc, 0, v7, vcc
	global_store_dwordx2 v[10:11], v[12:13], off
.LBB95_178:
	s_or_b64 exec, exec, s[0:1]
	v_or_b32_e32 v10, 0x900, v0
	v_cmp_gt_u32_e32 vcc, s33, v10
	s_and_saveexec_b64 s[0:1], vcc
	s_cbranch_execz .LBB95_180
; %bb.179:
	v_add_co_u32_e32 v12, vcc, 0x4000, v6
	s_waitcnt lgkmcnt(2)
	v_ashrrev_i32_e32 v11, 31, v8
	v_mov_b32_e32 v10, v8
	v_addc_co_u32_e32 v13, vcc, 0, v7, vcc
	global_store_dwordx2 v[12:13], v[10:11], off offset:2048
.LBB95_180:
	s_or_b64 exec, exec, s[0:1]
	s_waitcnt lgkmcnt(2)
	v_or_b32_e32 v8, 0xa00, v0
	v_cmp_gt_u32_e32 vcc, s33, v8
	s_and_saveexec_b64 s[0:1], vcc
	s_cbranch_execz .LBB95_182
; %bb.181:
	v_add_co_u32_e32 v8, vcc, 0x5000, v6
	v_ashrrev_i32_e32 v11, 31, v9
	v_mov_b32_e32 v10, v9
	v_addc_co_u32_e32 v9, vcc, 0, v7, vcc
	global_store_dwordx2 v[8:9], v[10:11], off
.LBB95_182:
	s_or_b64 exec, exec, s[0:1]
	v_or_b32_e32 v8, 0xb00, v0
	v_cmp_gt_u32_e32 vcc, s33, v8
	s_and_saveexec_b64 s[0:1], vcc
	s_cbranch_execz .LBB95_184
; %bb.183:
	v_add_co_u32_e32 v10, vcc, 0x5000, v6
	s_waitcnt lgkmcnt(1)
	v_ashrrev_i32_e32 v9, 31, v4
	v_mov_b32_e32 v8, v4
	v_addc_co_u32_e32 v11, vcc, 0, v7, vcc
	global_store_dwordx2 v[10:11], v[8:9], off offset:2048
.LBB95_184:
	s_or_b64 exec, exec, s[0:1]
	s_waitcnt lgkmcnt(1)
	v_or_b32_e32 v4, 0xc00, v0
	v_cmp_gt_u32_e32 vcc, s33, v4
	s_and_saveexec_b64 s[0:1], vcc
	s_cbranch_execz .LBB95_186
; %bb.185:
	v_add_co_u32_e32 v4, vcc, 0x6000, v6
	v_ashrrev_i32_e32 v9, 31, v5
	v_mov_b32_e32 v8, v5
	v_addc_co_u32_e32 v5, vcc, 0, v7, vcc
	global_store_dwordx2 v[4:5], v[8:9], off
.LBB95_186:
	s_or_b64 exec, exec, s[0:1]
	v_or_b32_e32 v4, 0xd00, v0
	v_cmp_gt_u32_e64 s[0:1], s33, v4
	s_branch .LBB95_189
.LBB95_187:
	s_mov_b64 s[0:1], 0
                                        ; implicit-def: $vgpr3
	s_cbranch_execz .LBB95_189
; %bb.188:
	s_movk_i32 s4, 0xffcc
	v_mad_i32_i24 v19, v0, s4, v2
	s_waitcnt lgkmcnt(0)
	s_barrier
	ds_write2_b64 v2, v[26:27], v[42:43] offset1:1
	ds_write2_b64 v2, v[30:31], v[44:45] offset0:2 offset1:3
	ds_write2_b64 v2, v[34:35], v[46:47] offset0:4 offset1:5
	ds_write_b64 v2, v[48:49] offset:48
	s_waitcnt lgkmcnt(0)
	s_barrier
	ds_read2st64_b32 v[2:3], v19 offset1:4
	ds_read2st64_b32 v[6:7], v19 offset0:8 offset1:12
	ds_read2st64_b32 v[14:15], v19 offset0:24 offset1:28
	;; [unrolled: 1-line block ×3, first 2 shown]
	s_movk_i32 s4, 0x1000
	s_waitcnt lgkmcnt(3)
	v_ashrrev_i32_e32 v5, 31, v2
	v_mov_b32_e32 v4, v2
	v_ashrrev_i32_e32 v9, 31, v3
	v_mov_b32_e32 v8, v3
	ds_read2st64_b32 v[2:3], v19 offset0:16 offset1:20
	s_waitcnt lgkmcnt(3)
	v_ashrrev_i32_e32 v11, 31, v6
	v_mov_b32_e32 v10, v6
	v_ashrrev_i32_e32 v13, 31, v7
	v_mov_b32_e32 v12, v7
	s_waitcnt lgkmcnt(0)
	v_ashrrev_i32_e32 v7, 31, v2
	v_mov_b32_e32 v6, v2
	v_ashrrev_i32_e32 v17, 31, v3
	v_mov_b32_e32 v16, v3
	ds_read2st64_b32 v[2:3], v19 offset0:32 offset1:36
	v_ashrrev_i32_e32 v21, 31, v14
	v_mov_b32_e32 v20, v14
	v_ashrrev_i32_e32 v23, 31, v15
	v_mov_b32_e32 v22, v15
	s_waitcnt lgkmcnt(0)
	v_ashrrev_i32_e32 v15, 31, v2
	v_mov_b32_e32 v14, v2
	v_ashrrev_i32_e32 v27, 31, v3
	v_mov_b32_e32 v26, v3
	ds_read2st64_b32 v[2:3], v19 offset0:48 offset1:52
	v_ashrrev_i32_e32 v29, 31, v24
	v_mov_b32_e32 v28, v24
	v_ashrrev_i32_e32 v31, 31, v25
	v_mov_b32_e32 v30, v25
	s_waitcnt lgkmcnt(0)
	v_ashrrev_i32_e32 v25, 31, v2
	v_mov_b32_e32 v24, v2
	v_mov_b32_e32 v2, s3
	v_add_co_u32_e32 v19, vcc, s2, v18
	v_addc_co_u32_e32 v2, vcc, 0, v2, vcc
	global_store_dwordx2 v18, v[4:5], s[2:3]
	global_store_dwordx2 v18, v[8:9], s[2:3] offset:2048
	v_add_co_u32_e32 v4, vcc, s4, v19
	v_addc_co_u32_e32 v5, vcc, 0, v2, vcc
	s_movk_i32 s4, 0x2000
	v_add_co_u32_e32 v8, vcc, s4, v19
	v_addc_co_u32_e32 v9, vcc, 0, v2, vcc
	s_movk_i32 s4, 0x3000
	global_store_dwordx2 v[8:9], v[10:11], off offset:-4096
	global_store_dwordx2 v[4:5], v[12:13], off offset:2048
	global_store_dwordx2 v[8:9], v[6:7], off
	global_store_dwordx2 v[8:9], v[16:17], off offset:2048
	v_add_co_u32_e32 v4, vcc, s4, v19
	v_addc_co_u32_e32 v5, vcc, 0, v2, vcc
	s_movk_i32 s4, 0x4000
	v_add_co_u32_e32 v6, vcc, s4, v19
	v_addc_co_u32_e32 v7, vcc, 0, v2, vcc
	global_store_dwordx2 v[6:7], v[20:21], off offset:-4096
	global_store_dwordx2 v[4:5], v[22:23], off offset:2048
	global_store_dwordx2 v[6:7], v[14:15], off
	global_store_dwordx2 v[6:7], v[26:27], off offset:2048
	v_add_co_u32_e32 v4, vcc, 0x5000, v19
	v_addc_co_u32_e32 v5, vcc, 0, v2, vcc
	global_store_dwordx2 v[4:5], v[28:29], off
	global_store_dwordx2 v[4:5], v[30:31], off offset:2048
	v_add_co_u32_e32 v4, vcc, 0x6000, v19
	v_mov_b32_e32 v1, 0
	v_addc_co_u32_e32 v5, vcc, 0, v2, vcc
	s_or_b64 s[0:1], s[0:1], exec
	global_store_dwordx2 v[4:5], v[24:25], off
.LBB95_189:
	s_and_saveexec_b64 s[4:5], s[0:1]
	s_cbranch_execz .LBB95_191
; %bb.190:
	v_lshlrev_b64 v[0:1], 3, v[0:1]
	v_mov_b32_e32 v2, s3
	v_add_co_u32_e32 v4, vcc, s2, v0
	v_addc_co_u32_e32 v5, vcc, v2, v1, vcc
	v_add_co_u32_e32 v2, vcc, 0x6000, v4
	s_waitcnt lgkmcnt(0)
	v_ashrrev_i32_e32 v1, 31, v3
	v_mov_b32_e32 v0, v3
	v_addc_co_u32_e32 v3, vcc, 0, v5, vcc
	global_store_dwordx2 v[2:3], v[0:1], off offset:2048
	s_endpgm
.LBB95_191:
	s_endpgm
	.section	.rodata,"a",@progbits
	.p2align	6, 0x0
	.amdhsa_kernel _ZN7rocprim6detail25device_scan_by_key_kernelILNS0_25lookback_scan_determinismE0ELb1ENS0_26wrapped_scan_by_key_configINS_14default_configEiiEEPiN6hipcub22TransformInputIteratorIiNS7_6CastOpIiEES6_lEEPliNS7_8EqualityENS7_3SumENS0_19lookback_scan_stateINS_5tupleIJibEEELb0ELb1EEEiEEvT2_T3_T4_T5_T6_T7_T8_mmmPKNSG_IJT9_bEEE
		.amdhsa_group_segment_fixed_size 16384
		.amdhsa_private_segment_fixed_size 0
		.amdhsa_kernarg_size 80
		.amdhsa_user_sgpr_count 6
		.amdhsa_user_sgpr_private_segment_buffer 1
		.amdhsa_user_sgpr_dispatch_ptr 0
		.amdhsa_user_sgpr_queue_ptr 0
		.amdhsa_user_sgpr_kernarg_segment_ptr 1
		.amdhsa_user_sgpr_dispatch_id 0
		.amdhsa_user_sgpr_flat_scratch_init 0
		.amdhsa_user_sgpr_kernarg_preload_length 0
		.amdhsa_user_sgpr_kernarg_preload_offset 0
		.amdhsa_user_sgpr_private_segment_size 0
		.amdhsa_uses_dynamic_stack 0
		.amdhsa_system_sgpr_private_segment_wavefront_offset 0
		.amdhsa_system_sgpr_workgroup_id_x 1
		.amdhsa_system_sgpr_workgroup_id_y 0
		.amdhsa_system_sgpr_workgroup_id_z 0
		.amdhsa_system_sgpr_workgroup_info 0
		.amdhsa_system_vgpr_workitem_id 0
		.amdhsa_next_free_vgpr 62
		.amdhsa_next_free_sgpr 55
		.amdhsa_accum_offset 64
		.amdhsa_reserve_vcc 1
		.amdhsa_reserve_flat_scratch 0
		.amdhsa_float_round_mode_32 0
		.amdhsa_float_round_mode_16_64 0
		.amdhsa_float_denorm_mode_32 3
		.amdhsa_float_denorm_mode_16_64 3
		.amdhsa_dx10_clamp 1
		.amdhsa_ieee_mode 1
		.amdhsa_fp16_overflow 0
		.amdhsa_tg_split 0
		.amdhsa_exception_fp_ieee_invalid_op 0
		.amdhsa_exception_fp_denorm_src 0
		.amdhsa_exception_fp_ieee_div_zero 0
		.amdhsa_exception_fp_ieee_overflow 0
		.amdhsa_exception_fp_ieee_underflow 0
		.amdhsa_exception_fp_ieee_inexact 0
		.amdhsa_exception_int_div_zero 0
	.end_amdhsa_kernel
	.section	.text._ZN7rocprim6detail25device_scan_by_key_kernelILNS0_25lookback_scan_determinismE0ELb1ENS0_26wrapped_scan_by_key_configINS_14default_configEiiEEPiN6hipcub22TransformInputIteratorIiNS7_6CastOpIiEES6_lEEPliNS7_8EqualityENS7_3SumENS0_19lookback_scan_stateINS_5tupleIJibEEELb0ELb1EEEiEEvT2_T3_T4_T5_T6_T7_T8_mmmPKNSG_IJT9_bEEE,"axG",@progbits,_ZN7rocprim6detail25device_scan_by_key_kernelILNS0_25lookback_scan_determinismE0ELb1ENS0_26wrapped_scan_by_key_configINS_14default_configEiiEEPiN6hipcub22TransformInputIteratorIiNS7_6CastOpIiEES6_lEEPliNS7_8EqualityENS7_3SumENS0_19lookback_scan_stateINS_5tupleIJibEEELb0ELb1EEEiEEvT2_T3_T4_T5_T6_T7_T8_mmmPKNSG_IJT9_bEEE,comdat
.Lfunc_end95:
	.size	_ZN7rocprim6detail25device_scan_by_key_kernelILNS0_25lookback_scan_determinismE0ELb1ENS0_26wrapped_scan_by_key_configINS_14default_configEiiEEPiN6hipcub22TransformInputIteratorIiNS7_6CastOpIiEES6_lEEPliNS7_8EqualityENS7_3SumENS0_19lookback_scan_stateINS_5tupleIJibEEELb0ELb1EEEiEEvT2_T3_T4_T5_T6_T7_T8_mmmPKNSG_IJT9_bEEE, .Lfunc_end95-_ZN7rocprim6detail25device_scan_by_key_kernelILNS0_25lookback_scan_determinismE0ELb1ENS0_26wrapped_scan_by_key_configINS_14default_configEiiEEPiN6hipcub22TransformInputIteratorIiNS7_6CastOpIiEES6_lEEPliNS7_8EqualityENS7_3SumENS0_19lookback_scan_stateINS_5tupleIJibEEELb0ELb1EEEiEEvT2_T3_T4_T5_T6_T7_T8_mmmPKNSG_IJT9_bEEE
                                        ; -- End function
	.section	.AMDGPU.csdata,"",@progbits
; Kernel info:
; codeLenInByte = 11048
; NumSgprs: 59
; NumVgprs: 62
; NumAgprs: 0
; TotalNumVgprs: 62
; ScratchSize: 0
; MemoryBound: 0
; FloatMode: 240
; IeeeMode: 1
; LDSByteSize: 16384 bytes/workgroup (compile time only)
; SGPRBlocks: 7
; VGPRBlocks: 7
; NumSGPRsForWavesPerEU: 59
; NumVGPRsForWavesPerEU: 62
; AccumOffset: 64
; Occupancy: 4
; WaveLimiterHint : 1
; COMPUTE_PGM_RSRC2:SCRATCH_EN: 0
; COMPUTE_PGM_RSRC2:USER_SGPR: 6
; COMPUTE_PGM_RSRC2:TRAP_HANDLER: 0
; COMPUTE_PGM_RSRC2:TGID_X_EN: 1
; COMPUTE_PGM_RSRC2:TGID_Y_EN: 0
; COMPUTE_PGM_RSRC2:TGID_Z_EN: 0
; COMPUTE_PGM_RSRC2:TIDIG_COMP_CNT: 0
; COMPUTE_PGM_RSRC3_GFX90A:ACCUM_OFFSET: 15
; COMPUTE_PGM_RSRC3_GFX90A:TG_SPLIT: 0
	.section	.text._ZN7rocprim6detail25device_scan_by_key_kernelILNS0_25lookback_scan_determinismE0ELb1ENS0_26wrapped_scan_by_key_configINS_14default_configEi6__halfEEPiN6hipcub22TransformInputIteratorIS5_NS8_6CastOpIS5_EEPS5_lEESC_S5_NS8_8EqualityENS8_3SumENS0_19lookback_scan_stateINS_5tupleIJS5_bEEELb1ELb1EEES5_EEvT2_T3_T4_T5_T6_T7_T8_mmmPKNSH_IJT9_bEEE,"axG",@progbits,_ZN7rocprim6detail25device_scan_by_key_kernelILNS0_25lookback_scan_determinismE0ELb1ENS0_26wrapped_scan_by_key_configINS_14default_configEi6__halfEEPiN6hipcub22TransformInputIteratorIS5_NS8_6CastOpIS5_EEPS5_lEESC_S5_NS8_8EqualityENS8_3SumENS0_19lookback_scan_stateINS_5tupleIJS5_bEEELb1ELb1EEES5_EEvT2_T3_T4_T5_T6_T7_T8_mmmPKNSH_IJT9_bEEE,comdat
	.protected	_ZN7rocprim6detail25device_scan_by_key_kernelILNS0_25lookback_scan_determinismE0ELb1ENS0_26wrapped_scan_by_key_configINS_14default_configEi6__halfEEPiN6hipcub22TransformInputIteratorIS5_NS8_6CastOpIS5_EEPS5_lEESC_S5_NS8_8EqualityENS8_3SumENS0_19lookback_scan_stateINS_5tupleIJS5_bEEELb1ELb1EEES5_EEvT2_T3_T4_T5_T6_T7_T8_mmmPKNSH_IJT9_bEEE ; -- Begin function _ZN7rocprim6detail25device_scan_by_key_kernelILNS0_25lookback_scan_determinismE0ELb1ENS0_26wrapped_scan_by_key_configINS_14default_configEi6__halfEEPiN6hipcub22TransformInputIteratorIS5_NS8_6CastOpIS5_EEPS5_lEESC_S5_NS8_8EqualityENS8_3SumENS0_19lookback_scan_stateINS_5tupleIJS5_bEEELb1ELb1EEES5_EEvT2_T3_T4_T5_T6_T7_T8_mmmPKNSH_IJT9_bEEE
	.globl	_ZN7rocprim6detail25device_scan_by_key_kernelILNS0_25lookback_scan_determinismE0ELb1ENS0_26wrapped_scan_by_key_configINS_14default_configEi6__halfEEPiN6hipcub22TransformInputIteratorIS5_NS8_6CastOpIS5_EEPS5_lEESC_S5_NS8_8EqualityENS8_3SumENS0_19lookback_scan_stateINS_5tupleIJS5_bEEELb1ELb1EEES5_EEvT2_T3_T4_T5_T6_T7_T8_mmmPKNSH_IJT9_bEEE
	.p2align	8
	.type	_ZN7rocprim6detail25device_scan_by_key_kernelILNS0_25lookback_scan_determinismE0ELb1ENS0_26wrapped_scan_by_key_configINS_14default_configEi6__halfEEPiN6hipcub22TransformInputIteratorIS5_NS8_6CastOpIS5_EEPS5_lEESC_S5_NS8_8EqualityENS8_3SumENS0_19lookback_scan_stateINS_5tupleIJS5_bEEELb1ELb1EEES5_EEvT2_T3_T4_T5_T6_T7_T8_mmmPKNSH_IJT9_bEEE,@function
_ZN7rocprim6detail25device_scan_by_key_kernelILNS0_25lookback_scan_determinismE0ELb1ENS0_26wrapped_scan_by_key_configINS_14default_configEi6__halfEEPiN6hipcub22TransformInputIteratorIS5_NS8_6CastOpIS5_EEPS5_lEESC_S5_NS8_8EqualityENS8_3SumENS0_19lookback_scan_stateINS_5tupleIJS5_bEEELb1ELb1EEES5_EEvT2_T3_T4_T5_T6_T7_T8_mmmPKNSH_IJT9_bEEE: ; @_ZN7rocprim6detail25device_scan_by_key_kernelILNS0_25lookback_scan_determinismE0ELb1ENS0_26wrapped_scan_by_key_configINS_14default_configEi6__halfEEPiN6hipcub22TransformInputIteratorIS5_NS8_6CastOpIS5_EEPS5_lEESC_S5_NS8_8EqualityENS8_3SumENS0_19lookback_scan_stateINS_5tupleIJS5_bEEELb1ELb1EEES5_EEvT2_T3_T4_T5_T6_T7_T8_mmmPKNSH_IJT9_bEEE
; %bb.0:
	s_endpgm
	.section	.rodata,"a",@progbits
	.p2align	6, 0x0
	.amdhsa_kernel _ZN7rocprim6detail25device_scan_by_key_kernelILNS0_25lookback_scan_determinismE0ELb1ENS0_26wrapped_scan_by_key_configINS_14default_configEi6__halfEEPiN6hipcub22TransformInputIteratorIS5_NS8_6CastOpIS5_EEPS5_lEESC_S5_NS8_8EqualityENS8_3SumENS0_19lookback_scan_stateINS_5tupleIJS5_bEEELb1ELb1EEES5_EEvT2_T3_T4_T5_T6_T7_T8_mmmPKNSH_IJT9_bEEE
		.amdhsa_group_segment_fixed_size 0
		.amdhsa_private_segment_fixed_size 0
		.amdhsa_kernarg_size 80
		.amdhsa_user_sgpr_count 6
		.amdhsa_user_sgpr_private_segment_buffer 1
		.amdhsa_user_sgpr_dispatch_ptr 0
		.amdhsa_user_sgpr_queue_ptr 0
		.amdhsa_user_sgpr_kernarg_segment_ptr 1
		.amdhsa_user_sgpr_dispatch_id 0
		.amdhsa_user_sgpr_flat_scratch_init 0
		.amdhsa_user_sgpr_kernarg_preload_length 0
		.amdhsa_user_sgpr_kernarg_preload_offset 0
		.amdhsa_user_sgpr_private_segment_size 0
		.amdhsa_uses_dynamic_stack 0
		.amdhsa_system_sgpr_private_segment_wavefront_offset 0
		.amdhsa_system_sgpr_workgroup_id_x 1
		.amdhsa_system_sgpr_workgroup_id_y 0
		.amdhsa_system_sgpr_workgroup_id_z 0
		.amdhsa_system_sgpr_workgroup_info 0
		.amdhsa_system_vgpr_workitem_id 0
		.amdhsa_next_free_vgpr 1
		.amdhsa_next_free_sgpr 0
		.amdhsa_accum_offset 4
		.amdhsa_reserve_vcc 0
		.amdhsa_reserve_flat_scratch 0
		.amdhsa_float_round_mode_32 0
		.amdhsa_float_round_mode_16_64 0
		.amdhsa_float_denorm_mode_32 3
		.amdhsa_float_denorm_mode_16_64 3
		.amdhsa_dx10_clamp 1
		.amdhsa_ieee_mode 1
		.amdhsa_fp16_overflow 0
		.amdhsa_tg_split 0
		.amdhsa_exception_fp_ieee_invalid_op 0
		.amdhsa_exception_fp_denorm_src 0
		.amdhsa_exception_fp_ieee_div_zero 0
		.amdhsa_exception_fp_ieee_overflow 0
		.amdhsa_exception_fp_ieee_underflow 0
		.amdhsa_exception_fp_ieee_inexact 0
		.amdhsa_exception_int_div_zero 0
	.end_amdhsa_kernel
	.section	.text._ZN7rocprim6detail25device_scan_by_key_kernelILNS0_25lookback_scan_determinismE0ELb1ENS0_26wrapped_scan_by_key_configINS_14default_configEi6__halfEEPiN6hipcub22TransformInputIteratorIS5_NS8_6CastOpIS5_EEPS5_lEESC_S5_NS8_8EqualityENS8_3SumENS0_19lookback_scan_stateINS_5tupleIJS5_bEEELb1ELb1EEES5_EEvT2_T3_T4_T5_T6_T7_T8_mmmPKNSH_IJT9_bEEE,"axG",@progbits,_ZN7rocprim6detail25device_scan_by_key_kernelILNS0_25lookback_scan_determinismE0ELb1ENS0_26wrapped_scan_by_key_configINS_14default_configEi6__halfEEPiN6hipcub22TransformInputIteratorIS5_NS8_6CastOpIS5_EEPS5_lEESC_S5_NS8_8EqualityENS8_3SumENS0_19lookback_scan_stateINS_5tupleIJS5_bEEELb1ELb1EEES5_EEvT2_T3_T4_T5_T6_T7_T8_mmmPKNSH_IJT9_bEEE,comdat
.Lfunc_end96:
	.size	_ZN7rocprim6detail25device_scan_by_key_kernelILNS0_25lookback_scan_determinismE0ELb1ENS0_26wrapped_scan_by_key_configINS_14default_configEi6__halfEEPiN6hipcub22TransformInputIteratorIS5_NS8_6CastOpIS5_EEPS5_lEESC_S5_NS8_8EqualityENS8_3SumENS0_19lookback_scan_stateINS_5tupleIJS5_bEEELb1ELb1EEES5_EEvT2_T3_T4_T5_T6_T7_T8_mmmPKNSH_IJT9_bEEE, .Lfunc_end96-_ZN7rocprim6detail25device_scan_by_key_kernelILNS0_25lookback_scan_determinismE0ELb1ENS0_26wrapped_scan_by_key_configINS_14default_configEi6__halfEEPiN6hipcub22TransformInputIteratorIS5_NS8_6CastOpIS5_EEPS5_lEESC_S5_NS8_8EqualityENS8_3SumENS0_19lookback_scan_stateINS_5tupleIJS5_bEEELb1ELb1EEES5_EEvT2_T3_T4_T5_T6_T7_T8_mmmPKNSH_IJT9_bEEE
                                        ; -- End function
	.section	.AMDGPU.csdata,"",@progbits
; Kernel info:
; codeLenInByte = 4
; NumSgprs: 4
; NumVgprs: 0
; NumAgprs: 0
; TotalNumVgprs: 0
; ScratchSize: 0
; MemoryBound: 0
; FloatMode: 240
; IeeeMode: 1
; LDSByteSize: 0 bytes/workgroup (compile time only)
; SGPRBlocks: 0
; VGPRBlocks: 0
; NumSGPRsForWavesPerEU: 4
; NumVGPRsForWavesPerEU: 1
; AccumOffset: 4
; Occupancy: 8
; WaveLimiterHint : 0
; COMPUTE_PGM_RSRC2:SCRATCH_EN: 0
; COMPUTE_PGM_RSRC2:USER_SGPR: 6
; COMPUTE_PGM_RSRC2:TRAP_HANDLER: 0
; COMPUTE_PGM_RSRC2:TGID_X_EN: 1
; COMPUTE_PGM_RSRC2:TGID_Y_EN: 0
; COMPUTE_PGM_RSRC2:TGID_Z_EN: 0
; COMPUTE_PGM_RSRC2:TIDIG_COMP_CNT: 0
; COMPUTE_PGM_RSRC3_GFX90A:ACCUM_OFFSET: 0
; COMPUTE_PGM_RSRC3_GFX90A:TG_SPLIT: 0
	.section	.text._ZN7rocprim6detail25device_scan_by_key_kernelILNS0_25lookback_scan_determinismE0ELb1ENS0_26wrapped_scan_by_key_configINS_14default_configEi6__halfEEPiN6hipcub22TransformInputIteratorIS5_NS8_6CastOpIS5_EEPS5_lEESC_S5_NS8_8EqualityENS8_3SumENS0_19lookback_scan_stateINS_5tupleIJS5_bEEELb0ELb1EEES5_EEvT2_T3_T4_T5_T6_T7_T8_mmmPKNSH_IJT9_bEEE,"axG",@progbits,_ZN7rocprim6detail25device_scan_by_key_kernelILNS0_25lookback_scan_determinismE0ELb1ENS0_26wrapped_scan_by_key_configINS_14default_configEi6__halfEEPiN6hipcub22TransformInputIteratorIS5_NS8_6CastOpIS5_EEPS5_lEESC_S5_NS8_8EqualityENS8_3SumENS0_19lookback_scan_stateINS_5tupleIJS5_bEEELb0ELb1EEES5_EEvT2_T3_T4_T5_T6_T7_T8_mmmPKNSH_IJT9_bEEE,comdat
	.protected	_ZN7rocprim6detail25device_scan_by_key_kernelILNS0_25lookback_scan_determinismE0ELb1ENS0_26wrapped_scan_by_key_configINS_14default_configEi6__halfEEPiN6hipcub22TransformInputIteratorIS5_NS8_6CastOpIS5_EEPS5_lEESC_S5_NS8_8EqualityENS8_3SumENS0_19lookback_scan_stateINS_5tupleIJS5_bEEELb0ELb1EEES5_EEvT2_T3_T4_T5_T6_T7_T8_mmmPKNSH_IJT9_bEEE ; -- Begin function _ZN7rocprim6detail25device_scan_by_key_kernelILNS0_25lookback_scan_determinismE0ELb1ENS0_26wrapped_scan_by_key_configINS_14default_configEi6__halfEEPiN6hipcub22TransformInputIteratorIS5_NS8_6CastOpIS5_EEPS5_lEESC_S5_NS8_8EqualityENS8_3SumENS0_19lookback_scan_stateINS_5tupleIJS5_bEEELb0ELb1EEES5_EEvT2_T3_T4_T5_T6_T7_T8_mmmPKNSH_IJT9_bEEE
	.globl	_ZN7rocprim6detail25device_scan_by_key_kernelILNS0_25lookback_scan_determinismE0ELb1ENS0_26wrapped_scan_by_key_configINS_14default_configEi6__halfEEPiN6hipcub22TransformInputIteratorIS5_NS8_6CastOpIS5_EEPS5_lEESC_S5_NS8_8EqualityENS8_3SumENS0_19lookback_scan_stateINS_5tupleIJS5_bEEELb0ELb1EEES5_EEvT2_T3_T4_T5_T6_T7_T8_mmmPKNSH_IJT9_bEEE
	.p2align	8
	.type	_ZN7rocprim6detail25device_scan_by_key_kernelILNS0_25lookback_scan_determinismE0ELb1ENS0_26wrapped_scan_by_key_configINS_14default_configEi6__halfEEPiN6hipcub22TransformInputIteratorIS5_NS8_6CastOpIS5_EEPS5_lEESC_S5_NS8_8EqualityENS8_3SumENS0_19lookback_scan_stateINS_5tupleIJS5_bEEELb0ELb1EEES5_EEvT2_T3_T4_T5_T6_T7_T8_mmmPKNSH_IJT9_bEEE,@function
_ZN7rocprim6detail25device_scan_by_key_kernelILNS0_25lookback_scan_determinismE0ELb1ENS0_26wrapped_scan_by_key_configINS_14default_configEi6__halfEEPiN6hipcub22TransformInputIteratorIS5_NS8_6CastOpIS5_EEPS5_lEESC_S5_NS8_8EqualityENS8_3SumENS0_19lookback_scan_stateINS_5tupleIJS5_bEEELb0ELb1EEES5_EEvT2_T3_T4_T5_T6_T7_T8_mmmPKNSH_IJT9_bEEE: ; @_ZN7rocprim6detail25device_scan_by_key_kernelILNS0_25lookback_scan_determinismE0ELb1ENS0_26wrapped_scan_by_key_configINS_14default_configEi6__halfEEPiN6hipcub22TransformInputIteratorIS5_NS8_6CastOpIS5_EEPS5_lEESC_S5_NS8_8EqualityENS8_3SumENS0_19lookback_scan_stateINS_5tupleIJS5_bEEELb0ELb1EEES5_EEvT2_T3_T4_T5_T6_T7_T8_mmmPKNSH_IJT9_bEEE
; %bb.0:
	s_load_dwordx4 s[0:3], s[4:5], 0x0
	s_load_dword s7, s[4:5], 0x20
	s_load_dwordx8 s[56:63], s[4:5], 0x28
	s_load_dwordx2 s[66:67], s[4:5], 0x48
	s_mul_i32 s8, s6, 0x600
	s_mov_b32 s9, 0
	s_lshl_b64 s[10:11], s[8:9], 2
	s_waitcnt lgkmcnt(0)
	s_add_u32 s70, s0, s10
	s_addc_u32 s71, s1, s11
	s_lshl_b64 s[64:65], s[8:9], 1
	s_add_u32 s68, s2, s64
	s_addc_u32 s69, s3, s65
	s_add_u32 s0, s6, s60
	s_addc_u32 s1, 0, s61
	s_add_u32 s8, s62, -1
	s_addc_u32 s9, s63, -1
	v_pk_mov_b32 v[2:3], s[8:9], s[8:9] op_sel:[0,1]
	v_cmp_ge_u64_e64 s[0:1], s[0:1], v[2:3]
	s_mov_b64 s[2:3], -1
	s_and_b64 vcc, exec, s[0:1]
	s_mul_i32 s33, s8, 0xfffffa00
	v_lshlrev_b32_e32 v34, 2, v0
	s_cbranch_vccz .LBB97_126
; %bb.1:
	s_load_dword s59, s[70:71], 0x0
	s_add_i32 s74, s33, s58
	v_mov_b32_e32 v1, s71
	v_add_co_u32_e32 v2, vcc, s70, v34
	v_addc_co_u32_e32 v3, vcc, 0, v1, vcc
	v_cmp_gt_u32_e64 s[2:3], s74, v0
	s_waitcnt lgkmcnt(0)
	v_mov_b32_e32 v1, s59
	s_and_saveexec_b64 s[8:9], s[2:3]
	s_cbranch_execz .LBB97_3
; %bb.2:
	global_load_dword v1, v[2:3], off
.LBB97_3:
	s_or_b64 exec, exec, s[8:9]
	v_or_b32_e32 v4, 64, v0
	v_cmp_gt_u32_e64 s[54:55], s74, v4
	v_mov_b32_e32 v4, s59
	s_and_saveexec_b64 s[8:9], s[54:55]
	s_cbranch_execz .LBB97_5
; %bb.4:
	global_load_dword v4, v[2:3], off offset:256
.LBB97_5:
	s_or_b64 exec, exec, s[8:9]
	v_or_b32_e32 v5, 0x80, v0
	v_cmp_gt_u32_e64 s[8:9], s74, v5
	v_mov_b32_e32 v5, s59
	s_and_saveexec_b64 s[10:11], s[8:9]
	s_cbranch_execz .LBB97_7
; %bb.6:
	global_load_dword v5, v[2:3], off offset:512
.LBB97_7:
	;; [unrolled: 9-line block ×15, first 2 shown]
	s_or_b64 exec, exec, s[38:39]
	v_or_b32_e32 v19, 0x400, v0
	v_cmp_gt_u32_e64 s[38:39], s74, v19
	v_mov_b32_e32 v19, s59
	s_and_saveexec_b64 s[40:41], s[38:39]
	s_cbranch_execz .LBB97_35
; %bb.34:
	v_add_co_u32_e32 v20, vcc, 0x1000, v2
	v_addc_co_u32_e32 v21, vcc, 0, v3, vcc
	global_load_dword v19, v[20:21], off
.LBB97_35:
	s_or_b64 exec, exec, s[40:41]
	v_or_b32_e32 v20, 0x440, v0
	v_cmp_gt_u32_e64 s[40:41], s74, v20
	v_mov_b32_e32 v20, s59
	s_and_saveexec_b64 s[42:43], s[40:41]
	s_cbranch_execz .LBB97_37
; %bb.36:
	v_add_co_u32_e32 v20, vcc, 0x1000, v2
	v_addc_co_u32_e32 v21, vcc, 0, v3, vcc
	global_load_dword v20, v[20:21], off offset:256
.LBB97_37:
	s_or_b64 exec, exec, s[42:43]
	v_or_b32_e32 v21, 0x480, v0
	v_cmp_gt_u32_e64 s[42:43], s74, v21
	v_mov_b32_e32 v21, s59
	s_and_saveexec_b64 s[44:45], s[42:43]
	s_cbranch_execz .LBB97_39
; %bb.38:
	v_add_co_u32_e32 v22, vcc, 0x1000, v2
	v_addc_co_u32_e32 v23, vcc, 0, v3, vcc
	global_load_dword v21, v[22:23], off offset:512
.LBB97_39:
	;; [unrolled: 11-line block ×7, first 2 shown]
	s_or_b64 exec, exec, s[60:61]
	s_movk_i32 s59, 0x5c
	s_waitcnt vmcnt(0)
	ds_write2st64_b32 v34, v1, v4 offset1:1
	ds_write2st64_b32 v34, v5, v6 offset0:2 offset1:3
	ds_write2st64_b32 v34, v7, v8 offset0:4 offset1:5
	;; [unrolled: 1-line block ×11, first 2 shown]
	v_mad_u32_u24 v1, v0, s59, v34
	s_waitcnt lgkmcnt(0)
	; wave barrier
	s_waitcnt lgkmcnt(0)
	ds_read_b128 v[22:25], v1
	ds_read_b128 v[18:21], v1 offset:16
	ds_read_b128 v[14:17], v1 offset:32
	;; [unrolled: 1-line block ×5, first 2 shown]
	s_load_dword s59, s[70:71], 0x0
	s_movk_i32 s60, 0xffa4
	v_mad_i32_i24 v1, v0, s60, v1
	v_cmp_ne_u32_e32 vcc, 63, v0
	s_waitcnt lgkmcnt(0)
	ds_write_b32 v1, v22 offset:6400
	v_mov_b32_e32 v77, s59
	s_waitcnt lgkmcnt(0)
	; wave barrier
	s_waitcnt lgkmcnt(0)
	s_and_saveexec_b64 s[60:61], vcc
	s_cbranch_execz .LBB97_51
; %bb.50:
	ds_read_b32 v77, v34 offset:6404
.LBB97_51:
	s_or_b64 exec, exec, s[60:61]
	v_lshlrev_b32_e32 v28, 1, v0
	v_mov_b32_e32 v27, s69
	v_add_co_u32_e32 v26, vcc, s68, v28
	v_addc_co_u32_e32 v27, vcc, 0, v27, vcc
	s_waitcnt lgkmcnt(0)
	; wave barrier
	s_waitcnt lgkmcnt(0)
                                        ; implicit-def: $vgpr29
	s_and_saveexec_b64 s[60:61], s[2:3]
	s_cbranch_execz .LBB97_193
; %bb.52:
	global_load_ushort v29, v[26:27], off
	s_or_b64 exec, exec, s[60:61]
                                        ; implicit-def: $vgpr30
	s_and_saveexec_b64 s[2:3], s[54:55]
	s_cbranch_execnz .LBB97_194
.LBB97_53:
	s_or_b64 exec, exec, s[2:3]
                                        ; implicit-def: $vgpr31
	s_and_saveexec_b64 s[2:3], s[8:9]
	s_cbranch_execz .LBB97_195
.LBB97_54:
	global_load_ushort v31, v[26:27], off offset:256
	s_or_b64 exec, exec, s[2:3]
                                        ; implicit-def: $vgpr32
	s_and_saveexec_b64 s[2:3], s[10:11]
	s_cbranch_execnz .LBB97_196
.LBB97_55:
	s_or_b64 exec, exec, s[2:3]
                                        ; implicit-def: $vgpr33
	s_and_saveexec_b64 s[2:3], s[12:13]
	s_cbranch_execz .LBB97_197
.LBB97_56:
	global_load_ushort v33, v[26:27], off offset:512
	s_or_b64 exec, exec, s[2:3]
                                        ; implicit-def: $vgpr35
	s_and_saveexec_b64 s[2:3], s[14:15]
	s_cbranch_execnz .LBB97_198
.LBB97_57:
	s_or_b64 exec, exec, s[2:3]
                                        ; implicit-def: $vgpr36
	s_and_saveexec_b64 s[2:3], s[16:17]
	s_cbranch_execz .LBB97_199
.LBB97_58:
	global_load_ushort v36, v[26:27], off offset:768
	s_or_b64 exec, exec, s[2:3]
                                        ; implicit-def: $vgpr37
	s_and_saveexec_b64 s[2:3], s[18:19]
	s_cbranch_execnz .LBB97_200
.LBB97_59:
	s_or_b64 exec, exec, s[2:3]
                                        ; implicit-def: $vgpr38
	s_and_saveexec_b64 s[2:3], s[20:21]
	s_cbranch_execz .LBB97_201
.LBB97_60:
	global_load_ushort v38, v[26:27], off offset:1024
	s_or_b64 exec, exec, s[2:3]
                                        ; implicit-def: $vgpr39
	s_and_saveexec_b64 s[2:3], s[22:23]
	s_cbranch_execnz .LBB97_202
.LBB97_61:
	s_or_b64 exec, exec, s[2:3]
                                        ; implicit-def: $vgpr40
	s_and_saveexec_b64 s[2:3], s[24:25]
	s_cbranch_execz .LBB97_203
.LBB97_62:
	global_load_ushort v40, v[26:27], off offset:1280
	s_or_b64 exec, exec, s[2:3]
                                        ; implicit-def: $vgpr41
	s_and_saveexec_b64 s[2:3], s[26:27]
	s_cbranch_execnz .LBB97_204
.LBB97_63:
	s_or_b64 exec, exec, s[2:3]
                                        ; implicit-def: $vgpr42
	s_and_saveexec_b64 s[2:3], s[28:29]
	s_cbranch_execz .LBB97_205
.LBB97_64:
	global_load_ushort v42, v[26:27], off offset:1536
	s_or_b64 exec, exec, s[2:3]
                                        ; implicit-def: $vgpr43
	s_and_saveexec_b64 s[2:3], s[30:31]
	s_cbranch_execnz .LBB97_206
.LBB97_65:
	s_or_b64 exec, exec, s[2:3]
                                        ; implicit-def: $vgpr44
	s_and_saveexec_b64 s[2:3], s[34:35]
	s_cbranch_execz .LBB97_207
.LBB97_66:
	global_load_ushort v44, v[26:27], off offset:1792
	s_or_b64 exec, exec, s[2:3]
                                        ; implicit-def: $vgpr45
	s_and_saveexec_b64 s[2:3], s[36:37]
	s_cbranch_execnz .LBB97_208
.LBB97_67:
	s_or_b64 exec, exec, s[2:3]
                                        ; implicit-def: $vgpr46
	s_and_saveexec_b64 s[2:3], s[38:39]
	s_cbranch_execz .LBB97_209
.LBB97_68:
	global_load_ushort v46, v[26:27], off offset:2048
	s_or_b64 exec, exec, s[2:3]
                                        ; implicit-def: $vgpr47
	s_and_saveexec_b64 s[2:3], s[40:41]
	s_cbranch_execnz .LBB97_210
.LBB97_69:
	s_or_b64 exec, exec, s[2:3]
                                        ; implicit-def: $vgpr48
	s_and_saveexec_b64 s[2:3], s[42:43]
	s_cbranch_execz .LBB97_211
.LBB97_70:
	global_load_ushort v48, v[26:27], off offset:2304
	s_or_b64 exec, exec, s[2:3]
                                        ; implicit-def: $vgpr49
	s_and_saveexec_b64 s[2:3], s[44:45]
	s_cbranch_execnz .LBB97_212
.LBB97_71:
	s_or_b64 exec, exec, s[2:3]
                                        ; implicit-def: $vgpr50
	s_and_saveexec_b64 s[2:3], s[46:47]
	s_cbranch_execz .LBB97_213
.LBB97_72:
	global_load_ushort v50, v[26:27], off offset:2560
	s_or_b64 exec, exec, s[2:3]
                                        ; implicit-def: $vgpr51
	s_and_saveexec_b64 s[2:3], s[48:49]
	s_cbranch_execnz .LBB97_214
.LBB97_73:
	s_or_b64 exec, exec, s[2:3]
                                        ; implicit-def: $vgpr52
	s_and_saveexec_b64 s[2:3], s[50:51]
	s_cbranch_execz .LBB97_75
.LBB97_74:
	global_load_ushort v52, v[26:27], off offset:2816
.LBB97_75:
	s_or_b64 exec, exec, s[2:3]
	v_mul_u32_u24_e32 v78, 24, v0
                                        ; implicit-def: $vgpr53
	s_and_saveexec_b64 s[2:3], s[52:53]
	s_cbranch_execz .LBB97_77
; %bb.76:
	global_load_ushort v53, v[26:27], off offset:2944
.LBB97_77:
	s_or_b64 exec, exec, s[2:3]
	v_sub_u32_e32 v26, v1, v28
	s_waitcnt vmcnt(0)
	ds_write_b16 v26, v29
	ds_write_b16 v26, v30 offset:128
	ds_write_b16 v26, v31 offset:256
	;; [unrolled: 1-line block ×23, first 2 shown]
	v_cmp_gt_u32_e32 vcc, s74, v78
	s_mov_b64 s[2:3], 0
	s_mov_b32 s59, 0
	v_mov_b32_e32 v37, 0
	v_mov_b32_e32 v31, 0
	;; [unrolled: 1-line block ×24, first 2 shown]
	s_mov_b64 s[12:13], 0
	v_mov_b32_e32 v47, 0
	v_mov_b32_e32 v49, 0
	v_mov_b32_e32 v40, 0
	v_mov_b32_e32 v50, 0
	v_mov_b32_e32 v51, 0
	v_mov_b32_e32 v41, 0
	v_mov_b32_e32 v53, 0
	v_mov_b32_e32 v55, 0
	v_mov_b32_e32 v42, 0
	v_mov_b32_e32 v57, 0
	v_mov_b32_e32 v59, 0
	v_mov_b32_e32 v43, 0
	v_mov_b32_e32 v62, 0
	v_mov_b32_e32 v60, 0
	v_mov_b32_e32 v45, 0
	v_mov_b32_e32 v61, 0
	v_mov_b32_e32 v58, 0
	v_mov_b32_e32 v46, 0
	v_mov_b32_e32 v56, 0
	v_mov_b32_e32 v54, 0
	v_mov_b32_e32 v48, 0
	v_mov_b32_e32 v52, 0
	s_waitcnt lgkmcnt(0)
	; wave barrier
	s_waitcnt lgkmcnt(0)
                                        ; implicit-def: $sgpr10_sgpr11
                                        ; implicit-def: $vgpr76
	s_and_saveexec_b64 s[8:9], vcc
	s_cbranch_execz .LBB97_125
; %bb.78:
	v_mad_u32_u24 v1, v0, 46, v26
	ds_read_u16 v1, v1
	v_or_b32_e32 v27, 1, v78
	v_cmp_ne_u32_e32 vcc, v22, v23
	v_mov_b32_e32 v22, s7
	v_cndmask_b32_e64 v37, 0, 1, vcc
	s_waitcnt lgkmcnt(0)
	v_cndmask_b32_e32 v1, v1, v22, vcc
	v_cmp_gt_u32_e32 vcc, s74, v27
	v_mov_b32_e32 v31, 0
	v_mov_b32_e32 v47, 0
	;; [unrolled: 1-line block ×44, first 2 shown]
                                        ; implicit-def: $sgpr16_sgpr17
                                        ; implicit-def: $vgpr76
	s_and_saveexec_b64 s[10:11], vcc
	s_cbranch_execz .LBB97_124
; %bb.79:
	v_mul_u32_u24_e32 v22, 46, v0
	v_add_u32_e32 v22, v26, v22
	ds_read_b128 v[26:29], v22 offset:2
	v_or_b32_e32 v31, 2, v78
	v_cmp_ne_u32_e32 vcc, v23, v24
	v_mov_b32_e32 v23, s7
	v_cndmask_b32_e64 v40, 0, 1, vcc
	s_waitcnt lgkmcnt(0)
	v_cndmask_b32_e32 v30, v26, v23, vcc
	v_cmp_gt_u32_e32 vcc, s74, v31
	s_mov_b64 s[14:15], 0
	v_mov_b32_e32 v31, 0
	v_mov_b32_e32 v47, 0
	;; [unrolled: 1-line block ×42, first 2 shown]
                                        ; implicit-def: $sgpr18_sgpr19
                                        ; implicit-def: $vgpr76
	s_and_saveexec_b64 s[12:13], vcc
	s_cbranch_execz .LBB97_123
; %bb.80:
	v_lshrrev_b32_e32 v23, 16, v26
	v_or_b32_e32 v26, 3, v78
	v_cmp_ne_u32_e32 vcc, v24, v25
	v_mov_b32_e32 v24, s7
	v_cndmask_b32_e64 v41, 0, 1, vcc
	v_cndmask_b32_e32 v38, v23, v24, vcc
	v_cmp_gt_u32_e32 vcc, s74, v26
	s_mov_b64 s[16:17], 0
	v_mov_b32_e32 v31, 0
	v_mov_b32_e32 v47, 0
	;; [unrolled: 1-line block ×40, first 2 shown]
                                        ; implicit-def: $sgpr20_sgpr21
                                        ; implicit-def: $vgpr76
	s_and_saveexec_b64 s[14:15], vcc
	s_cbranch_execz .LBB97_122
; %bb.81:
	v_or_b32_e32 v23, 4, v78
	v_cmp_ne_u32_e32 vcc, v25, v18
	v_mov_b32_e32 v24, s7
	v_cndmask_b32_e64 v42, 0, 1, vcc
	v_cndmask_b32_e32 v39, v27, v24, vcc
	v_cmp_gt_u32_e32 vcc, s74, v23
	s_mov_b64 s[18:19], 0
	v_mov_b32_e32 v31, 0
	v_mov_b32_e32 v47, 0
	;; [unrolled: 1-line block ×38, first 2 shown]
                                        ; implicit-def: $sgpr22_sgpr23
                                        ; implicit-def: $vgpr76
	s_and_saveexec_b64 s[16:17], vcc
	s_cbranch_execz .LBB97_121
; %bb.82:
	v_lshrrev_b32_e32 v23, 16, v27
	v_or_b32_e32 v24, 5, v78
	v_cmp_ne_u32_e32 vcc, v18, v19
	v_mov_b32_e32 v18, s7
	v_cndmask_b32_e64 v43, 0, 1, vcc
	v_cndmask_b32_e32 v44, v23, v18, vcc
	v_cmp_gt_u32_e32 vcc, s74, v24
	s_mov_b64 s[20:21], 0
	v_mov_b32_e32 v31, 0
	v_mov_b32_e32 v47, 0
	;; [unrolled: 1-line block ×36, first 2 shown]
                                        ; implicit-def: $sgpr24_sgpr25
                                        ; implicit-def: $vgpr76
	s_and_saveexec_b64 s[18:19], vcc
	s_cbranch_execz .LBB97_120
; %bb.83:
	v_or_b32_e32 v18, 6, v78
	v_cmp_ne_u32_e32 vcc, v19, v20
	v_mov_b32_e32 v19, s7
	v_cndmask_b32_e64 v45, 0, 1, vcc
	v_cndmask_b32_e32 v32, v28, v19, vcc
	v_cmp_gt_u32_e32 vcc, s74, v18
	s_mov_b64 s[22:23], 0
	v_mov_b32_e32 v31, 0
	v_mov_b32_e32 v47, 0
	;; [unrolled: 1-line block ×34, first 2 shown]
                                        ; implicit-def: $sgpr26_sgpr27
                                        ; implicit-def: $vgpr76
	s_and_saveexec_b64 s[20:21], vcc
	s_cbranch_execz .LBB97_119
; %bb.84:
	v_lshrrev_b32_e32 v18, 16, v28
	v_or_b32_e32 v19, 7, v78
	v_cmp_ne_u32_e32 vcc, v20, v21
	v_mov_b32_e32 v20, s7
	v_cndmask_b32_e64 v46, 0, 1, vcc
	v_cndmask_b32_e32 v63, v18, v20, vcc
	v_cmp_gt_u32_e32 vcc, s74, v19
	s_mov_b64 s[24:25], 0
	v_mov_b32_e32 v31, 0
	v_mov_b32_e32 v47, 0
	;; [unrolled: 1-line block ×32, first 2 shown]
                                        ; implicit-def: $sgpr28_sgpr29
                                        ; implicit-def: $vgpr76
	s_and_saveexec_b64 s[22:23], vcc
	s_cbranch_execz .LBB97_118
; %bb.85:
	v_add_u32_e32 v18, 8, v78
	v_cmp_ne_u32_e32 vcc, v21, v14
	v_mov_b32_e32 v19, s7
	v_cndmask_b32_e64 v48, 0, 1, vcc
	v_cndmask_b32_e32 v33, v29, v19, vcc
	v_cmp_gt_u32_e32 vcc, s74, v18
	s_mov_b64 s[26:27], 0
	v_mov_b32_e32 v31, 0
	v_mov_b32_e32 v47, 0
	;; [unrolled: 1-line block ×30, first 2 shown]
                                        ; implicit-def: $sgpr30_sgpr31
                                        ; implicit-def: $vgpr76
	s_and_saveexec_b64 s[24:25], vcc
	s_cbranch_execz .LBB97_117
; %bb.86:
	v_lshrrev_b32_e32 v18, 16, v29
	v_add_u32_e32 v19, 9, v78
	v_cmp_ne_u32_e32 vcc, v14, v15
	v_mov_b32_e32 v14, s7
	v_cndmask_b32_e64 v52, 0, 1, vcc
	v_cndmask_b32_e32 v64, v18, v14, vcc
	v_cmp_gt_u32_e32 vcc, s74, v19
	s_mov_b64 s[28:29], 0
	v_mov_b32_e32 v31, 0
	v_mov_b32_e32 v47, 0
	;; [unrolled: 1-line block ×28, first 2 shown]
                                        ; implicit-def: $sgpr34_sgpr35
                                        ; implicit-def: $vgpr76
	s_and_saveexec_b64 s[26:27], vcc
	s_cbranch_execz .LBB97_116
; %bb.87:
	ds_read_b128 v[18:21], v22 offset:18
	v_add_u32_e32 v14, 10, v78
	v_cmp_ne_u32_e32 vcc, v15, v16
	v_mov_b32_e32 v15, s7
	v_cndmask_b32_e64 v54, 0, 1, vcc
	s_waitcnt lgkmcnt(0)
	v_cndmask_b32_e32 v65, v18, v15, vcc
	v_cmp_gt_u32_e32 vcc, s74, v14
	s_mov_b64 s[30:31], 0
	v_mov_b32_e32 v31, 0
	v_mov_b32_e32 v47, 0
	;; [unrolled: 1-line block ×26, first 2 shown]
                                        ; implicit-def: $sgpr36_sgpr37
                                        ; implicit-def: $vgpr76
	s_and_saveexec_b64 s[28:29], vcc
	s_cbranch_execz .LBB97_115
; %bb.88:
	v_lshrrev_b32_e32 v14, 16, v18
	v_add_u32_e32 v15, 11, v78
	v_cmp_ne_u32_e32 vcc, v16, v17
	v_mov_b32_e32 v16, s7
	v_cndmask_b32_e64 v56, 0, 1, vcc
	v_cndmask_b32_e32 v66, v14, v16, vcc
	v_cmp_gt_u32_e32 vcc, s74, v15
	s_mov_b64 s[34:35], 0
	v_mov_b32_e32 v31, 0
	v_mov_b32_e32 v47, 0
	;; [unrolled: 1-line block ×24, first 2 shown]
                                        ; implicit-def: $sgpr38_sgpr39
                                        ; implicit-def: $vgpr76
	s_and_saveexec_b64 s[30:31], vcc
	s_cbranch_execz .LBB97_114
; %bb.89:
	v_add_u32_e32 v14, 12, v78
	v_cmp_ne_u32_e32 vcc, v17, v10
	v_mov_b32_e32 v15, s7
	v_cndmask_b32_e64 v58, 0, 1, vcc
	v_cndmask_b32_e32 v67, v19, v15, vcc
	v_cmp_gt_u32_e32 vcc, s74, v14
	s_mov_b64 s[36:37], 0
	v_mov_b32_e32 v31, 0
	v_mov_b32_e32 v47, 0
	;; [unrolled: 1-line block ×22, first 2 shown]
                                        ; implicit-def: $sgpr40_sgpr41
                                        ; implicit-def: $vgpr76
	s_and_saveexec_b64 s[34:35], vcc
	s_cbranch_execz .LBB97_113
; %bb.90:
	v_lshrrev_b32_e32 v14, 16, v19
	v_add_u32_e32 v15, 13, v78
	v_cmp_ne_u32_e32 vcc, v10, v11
	v_mov_b32_e32 v10, s7
	v_cndmask_b32_e64 v61, 0, 1, vcc
	v_cndmask_b32_e32 v68, v14, v10, vcc
	v_cmp_gt_u32_e32 vcc, s74, v15
	s_mov_b64 s[38:39], 0
	v_mov_b32_e32 v31, 0
	v_mov_b32_e32 v47, 0
	;; [unrolled: 1-line block ×20, first 2 shown]
                                        ; implicit-def: $sgpr42_sgpr43
                                        ; implicit-def: $vgpr76
	s_and_saveexec_b64 s[36:37], vcc
	s_cbranch_execz .LBB97_112
; %bb.91:
	v_add_u32_e32 v10, 14, v78
	v_cmp_ne_u32_e32 vcc, v11, v12
	v_mov_b32_e32 v11, s7
	v_cndmask_b32_e64 v60, 0, 1, vcc
	v_cndmask_b32_e32 v69, v20, v11, vcc
	v_cmp_gt_u32_e32 vcc, s74, v10
	s_mov_b64 s[40:41], 0
	v_mov_b32_e32 v31, 0
	v_mov_b32_e32 v47, 0
	;; [unrolled: 1-line block ×18, first 2 shown]
                                        ; implicit-def: $sgpr44_sgpr45
                                        ; implicit-def: $vgpr76
	s_and_saveexec_b64 s[38:39], vcc
	s_cbranch_execz .LBB97_111
; %bb.92:
	v_lshrrev_b32_e32 v10, 16, v20
	v_add_u32_e32 v11, 15, v78
	v_cmp_ne_u32_e32 vcc, v12, v13
	v_mov_b32_e32 v12, s7
	v_cndmask_b32_e64 v62, 0, 1, vcc
	v_cndmask_b32_e32 v70, v10, v12, vcc
	v_cmp_gt_u32_e32 vcc, s74, v11
	s_mov_b64 s[42:43], 0
	v_mov_b32_e32 v31, 0
	v_mov_b32_e32 v47, 0
	v_mov_b32_e32 v49, 0
	v_mov_b32_e32 v50, 0
	v_mov_b32_e32 v51, 0
	v_mov_b32_e32 v53, 0
	v_mov_b32_e32 v55, 0
	v_mov_b32_e32 v57, 0
	v_mov_b32_e32 v59, 0
	v_mov_b32_e32 v36, 0
	v_mov_b32_e32 v75, 0
	v_mov_b32_e32 v35, 0
	v_mov_b32_e32 v74, 0
	v_mov_b32_e32 v73, 0
	v_mov_b32_e32 v72, 0
	v_mov_b32_e32 v71, 0
                                        ; implicit-def: $sgpr46_sgpr47
                                        ; implicit-def: $vgpr76
	s_and_saveexec_b64 s[40:41], vcc
	s_cbranch_execz .LBB97_110
; %bb.93:
	v_add_u32_e32 v10, 16, v78
	v_cmp_ne_u32_e32 vcc, v13, v6
	v_mov_b32_e32 v11, s7
	v_cndmask_b32_e64 v59, 0, 1, vcc
	v_cndmask_b32_e32 v71, v21, v11, vcc
	v_cmp_gt_u32_e32 vcc, s74, v10
	s_mov_b64 s[44:45], 0
	v_mov_b32_e32 v31, 0
	v_mov_b32_e32 v47, 0
	;; [unrolled: 1-line block ×14, first 2 shown]
                                        ; implicit-def: $sgpr48_sgpr49
                                        ; implicit-def: $vgpr76
	s_and_saveexec_b64 s[42:43], vcc
	s_cbranch_execz .LBB97_109
; %bb.94:
	v_lshrrev_b32_e32 v10, 16, v21
	v_add_u32_e32 v11, 17, v78
	v_cmp_ne_u32_e32 vcc, v6, v7
	v_mov_b32_e32 v6, s7
	v_cndmask_b32_e64 v57, 0, 1, vcc
	v_cndmask_b32_e32 v72, v10, v6, vcc
	v_cmp_gt_u32_e32 vcc, s74, v11
	s_mov_b64 s[46:47], 0
	v_mov_b32_e32 v31, 0
	v_mov_b32_e32 v47, 0
	;; [unrolled: 1-line block ×12, first 2 shown]
                                        ; implicit-def: $sgpr50_sgpr51
                                        ; implicit-def: $vgpr76
	s_and_saveexec_b64 s[44:45], vcc
	s_cbranch_execz .LBB97_108
; %bb.95:
	ds_read_b96 v[10:12], v22 offset:34
	v_add_u32_e32 v6, 18, v78
	v_cmp_ne_u32_e32 vcc, v7, v8
	v_mov_b32_e32 v7, s7
	v_cndmask_b32_e64 v55, 0, 1, vcc
	s_waitcnt lgkmcnt(0)
	v_cndmask_b32_e32 v73, v10, v7, vcc
	v_cmp_gt_u32_e32 vcc, s74, v6
	s_mov_b64 s[48:49], 0
	v_mov_b32_e32 v31, 0
	v_mov_b32_e32 v47, 0
	;; [unrolled: 1-line block ×10, first 2 shown]
                                        ; implicit-def: $sgpr52_sgpr53
                                        ; implicit-def: $vgpr76
	s_and_saveexec_b64 s[46:47], vcc
	s_cbranch_execz .LBB97_107
; %bb.96:
	v_lshrrev_b32_e32 v6, 16, v10
	v_add_u32_e32 v7, 19, v78
	v_cmp_ne_u32_e32 vcc, v8, v9
	v_mov_b32_e32 v8, s7
	v_cndmask_b32_e64 v53, 0, 1, vcc
	v_cndmask_b32_e32 v74, v6, v8, vcc
	v_cmp_gt_u32_e32 vcc, s74, v7
	s_mov_b64 s[50:51], 0
	v_mov_b32_e32 v31, 0
	v_mov_b32_e32 v47, 0
	;; [unrolled: 1-line block ×8, first 2 shown]
                                        ; implicit-def: $sgpr52_sgpr53
                                        ; implicit-def: $vgpr76
	s_and_saveexec_b64 s[48:49], vcc
	s_cbranch_execz .LBB97_106
; %bb.97:
	v_add_u32_e32 v6, 20, v78
	v_cmp_ne_u32_e32 vcc, v9, v2
	v_mov_b32_e32 v7, s7
	v_cndmask_b32_e64 v51, 0, 1, vcc
	v_cndmask_b32_e32 v35, v11, v7, vcc
	v_cmp_gt_u32_e32 vcc, s74, v6
	s_mov_b64 s[54:55], 0
	v_mov_b32_e32 v31, 0
	v_mov_b32_e32 v47, 0
	;; [unrolled: 1-line block ×6, first 2 shown]
                                        ; implicit-def: $sgpr52_sgpr53
                                        ; implicit-def: $vgpr76
	s_and_saveexec_b64 s[50:51], vcc
	s_cbranch_execz .LBB97_105
; %bb.98:
	v_lshrrev_b32_e32 v6, 16, v11
	v_add_u32_e32 v7, 21, v78
	v_cmp_ne_u32_e32 vcc, v2, v3
	v_mov_b32_e32 v2, s7
	v_cndmask_b32_e64 v50, 0, 1, vcc
	v_cndmask_b32_e32 v75, v6, v2, vcc
	v_cmp_gt_u32_e32 vcc, s74, v7
	v_mov_b32_e32 v31, 0
	v_mov_b32_e32 v47, 0
	;; [unrolled: 1-line block ×4, first 2 shown]
                                        ; implicit-def: $sgpr60_sgpr61
                                        ; implicit-def: $vgpr76
	s_and_saveexec_b64 s[52:53], vcc
	s_cbranch_execz .LBB97_104
; %bb.99:
	v_add_u32_e32 v2, 22, v78
	v_cmp_ne_u32_e32 vcc, v3, v4
	v_mov_b32_e32 v3, s7
	v_cndmask_b32_e64 v49, 0, 1, vcc
	v_cndmask_b32_e32 v36, v12, v3, vcc
	v_cmp_gt_u32_e32 vcc, s74, v2
	s_mov_b64 s[62:63], 0
	v_mov_b32_e32 v31, 0
	v_mov_b32_e32 v47, 0
                                        ; implicit-def: $sgpr72_sgpr73
                                        ; implicit-def: $vgpr76
	s_and_saveexec_b64 s[54:55], vcc
	s_cbranch_execz .LBB97_103
; %bb.100:
	v_lshrrev_b32_e32 v2, 16, v12
	v_add_u32_e32 v3, 23, v78
	v_cmp_ne_u32_e32 vcc, v4, v5
	v_mov_b32_e32 v4, s7
	v_cndmask_b32_e64 v47, 0, 1, vcc
	v_cndmask_b32_e32 v31, v2, v4, vcc
	v_cmp_gt_u32_e32 vcc, s74, v3
	s_mov_b64 s[60:61], 0
                                        ; implicit-def: $sgpr62_sgpr63
                                        ; implicit-def: $vgpr76
	s_and_saveexec_b64 s[72:73], vcc
	s_xor_b64 s[72:73], exec, s[72:73]
	s_cbranch_execz .LBB97_102
; %bb.101:
	ds_read_u16 v2, v22 offset:46
	v_mov_b32_e32 v3, s7
	v_cmp_ne_u32_e32 vcc, v5, v77
	s_mov_b64 s[60:61], exec
	s_and_b64 s[62:63], vcc, exec
	s_waitcnt lgkmcnt(0)
	v_cndmask_b32_e32 v76, v2, v3, vcc
.LBB97_102:
	s_or_b64 exec, exec, s[72:73]
	s_and_b64 s[72:73], s[62:63], exec
	s_and_b64 s[62:63], s[60:61], exec
.LBB97_103:
	s_or_b64 exec, exec, s[54:55]
	s_and_b64 s[60:61], s[72:73], exec
	s_and_b64 s[54:55], s[62:63], exec
.LBB97_104:
	s_or_b64 exec, exec, s[52:53]
	s_and_b64 s[52:53], s[60:61], exec
	s_and_b64 s[54:55], s[54:55], exec
.LBB97_105:
	s_or_b64 exec, exec, s[50:51]
	s_and_b64 s[52:53], s[52:53], exec
	s_and_b64 s[50:51], s[54:55], exec
.LBB97_106:
	s_or_b64 exec, exec, s[48:49]
	s_and_b64 s[52:53], s[52:53], exec
	s_and_b64 s[48:49], s[50:51], exec
.LBB97_107:
	s_or_b64 exec, exec, s[46:47]
	s_and_b64 s[50:51], s[52:53], exec
	s_and_b64 s[46:47], s[48:49], exec
.LBB97_108:
	s_or_b64 exec, exec, s[44:45]
	s_and_b64 s[48:49], s[50:51], exec
	s_and_b64 s[44:45], s[46:47], exec
.LBB97_109:
	s_or_b64 exec, exec, s[42:43]
	s_and_b64 s[46:47], s[48:49], exec
	s_and_b64 s[42:43], s[44:45], exec
.LBB97_110:
	s_or_b64 exec, exec, s[40:41]
	s_and_b64 s[44:45], s[46:47], exec
	s_and_b64 s[40:41], s[42:43], exec
.LBB97_111:
	s_or_b64 exec, exec, s[38:39]
	s_and_b64 s[42:43], s[44:45], exec
	s_and_b64 s[38:39], s[40:41], exec
.LBB97_112:
	s_or_b64 exec, exec, s[36:37]
	s_and_b64 s[40:41], s[42:43], exec
	s_and_b64 s[36:37], s[38:39], exec
.LBB97_113:
	s_or_b64 exec, exec, s[34:35]
	s_and_b64 s[38:39], s[40:41], exec
	s_and_b64 s[34:35], s[36:37], exec
.LBB97_114:
	s_or_b64 exec, exec, s[30:31]
	s_and_b64 s[36:37], s[38:39], exec
	s_and_b64 s[30:31], s[34:35], exec
.LBB97_115:
	s_or_b64 exec, exec, s[28:29]
	s_and_b64 s[34:35], s[36:37], exec
	s_and_b64 s[28:29], s[30:31], exec
.LBB97_116:
	s_or_b64 exec, exec, s[26:27]
	s_and_b64 s[30:31], s[34:35], exec
	s_and_b64 s[26:27], s[28:29], exec
.LBB97_117:
	s_or_b64 exec, exec, s[24:25]
	s_and_b64 s[28:29], s[30:31], exec
	s_and_b64 s[24:25], s[26:27], exec
.LBB97_118:
	s_or_b64 exec, exec, s[22:23]
	s_and_b64 s[26:27], s[28:29], exec
	s_and_b64 s[22:23], s[24:25], exec
.LBB97_119:
	s_or_b64 exec, exec, s[20:21]
	s_and_b64 s[24:25], s[26:27], exec
	s_and_b64 s[20:21], s[22:23], exec
.LBB97_120:
	s_or_b64 exec, exec, s[18:19]
	s_and_b64 s[22:23], s[24:25], exec
	s_and_b64 s[18:19], s[20:21], exec
.LBB97_121:
	s_or_b64 exec, exec, s[16:17]
	s_and_b64 s[20:21], s[22:23], exec
	s_and_b64 s[16:17], s[18:19], exec
.LBB97_122:
	s_or_b64 exec, exec, s[14:15]
	s_and_b64 s[18:19], s[20:21], exec
	s_and_b64 s[14:15], s[16:17], exec
.LBB97_123:
	s_or_b64 exec, exec, s[12:13]
	s_and_b64 s[16:17], s[18:19], exec
	s_and_b64 s[12:13], s[14:15], exec
.LBB97_124:
	s_or_b64 exec, exec, s[10:11]
	s_and_b64 s[10:11], s[16:17], exec
	s_and_b64 s[12:13], s[12:13], exec
.LBB97_125:
	s_or_b64 exec, exec, s[8:9]
	s_mov_b32 s8, 0
	s_and_b64 vcc, exec, s[2:3]
	s_cbranch_vccnz .LBB97_127
	s_branch .LBB97_132
.LBB97_126:
	s_mov_b64 s[12:13], 0
                                        ; implicit-def: $sgpr10_sgpr11
                                        ; implicit-def: $vgpr76
                                        ; implicit-def: $vgpr37
                                        ; implicit-def: $vgpr31
                                        ; implicit-def: $vgpr47
                                        ; implicit-def: $vgpr1
                                        ; implicit-def: $vgpr36
                                        ; implicit-def: $vgpr49
                                        ; implicit-def: $vgpr40
                                        ; implicit-def: $vgpr75
                                        ; implicit-def: $vgpr50
                                        ; implicit-def: $vgpr30
                                        ; implicit-def: $vgpr35
                                        ; implicit-def: $vgpr51
                                        ; implicit-def: $vgpr41
                                        ; implicit-def: $vgpr74
                                        ; implicit-def: $vgpr53
                                        ; implicit-def: $vgpr38
                                        ; implicit-def: $vgpr73
                                        ; implicit-def: $vgpr55
                                        ; implicit-def: $vgpr42
                                        ; implicit-def: $vgpr72
                                        ; implicit-def: $vgpr57
                                        ; implicit-def: $vgpr39
                                        ; implicit-def: $vgpr71
                                        ; implicit-def: $vgpr59
                                        ; implicit-def: $vgpr43
                                        ; implicit-def: $vgpr70
                                        ; implicit-def: $vgpr62
                                        ; implicit-def: $vgpr44
                                        ; implicit-def: $vgpr69
                                        ; implicit-def: $vgpr60
                                        ; implicit-def: $vgpr45
                                        ; implicit-def: $vgpr68
                                        ; implicit-def: $vgpr61
                                        ; implicit-def: $vgpr32
                                        ; implicit-def: $vgpr67
                                        ; implicit-def: $vgpr58
                                        ; implicit-def: $vgpr46
                                        ; implicit-def: $vgpr66
                                        ; implicit-def: $vgpr56
                                        ; implicit-def: $vgpr63
                                        ; implicit-def: $vgpr65
                                        ; implicit-def: $vgpr54
                                        ; implicit-def: $vgpr48
                                        ; implicit-def: $vgpr64
                                        ; implicit-def: $vgpr52
                                        ; implicit-def: $vgpr33
                                        ; implicit-def: $sgpr8
                                        ; implicit-def: $sgpr59
	s_and_b64 vcc, exec, s[2:3]
	s_cbranch_vccz .LBB97_132
.LBB97_127:
	v_mov_b32_e32 v1, s71
	v_add_co_u32_e32 v2, vcc, s70, v34
	v_addc_co_u32_e32 v1, vcc, 0, v1, vcc
	s_movk_i32 s2, 0x1000
	v_add_co_u32_e32 v2, vcc, s2, v2
	v_addc_co_u32_e32 v3, vcc, 0, v1, vcc
	global_load_dword v4, v34, s[70:71]
	global_load_dword v5, v34, s[70:71] offset:256
	global_load_dword v6, v34, s[70:71] offset:512
	;; [unrolled: 1-line block ×15, first 2 shown]
	global_load_dword v20, v[2:3], off
	global_load_dword v21, v[2:3], off offset:256
	global_load_dword v22, v[2:3], off offset:512
	;; [unrolled: 1-line block ×7, first 2 shown]
	s_movk_i32 s2, 0x5c
	v_mad_u32_u24 v2, v0, s2, v34
	s_movk_i32 s3, 0xffa4
	v_mad_i32_i24 v1, v0, s3, v2
	v_cmp_ne_u32_e32 vcc, 63, v0
	s_waitcnt vmcnt(22)
	ds_write2st64_b32 v34, v4, v5 offset1:1
	s_waitcnt vmcnt(20)
	ds_write2st64_b32 v34, v6, v7 offset0:2 offset1:3
	s_waitcnt vmcnt(18)
	ds_write2st64_b32 v34, v8, v9 offset0:4 offset1:5
	;; [unrolled: 2-line block ×11, first 2 shown]
	s_waitcnt lgkmcnt(0)
	; wave barrier
	s_waitcnt lgkmcnt(0)
	ds_read_b128 v[22:25], v2
	ds_read_b128 v[18:21], v2 offset:16
	ds_read_b128 v[14:17], v2 offset:32
	;; [unrolled: 1-line block ×3, first 2 shown]
	s_load_dword s2, s[70:71], 0x1800
	ds_read_b128 v[6:9], v2 offset:64
	ds_read_b128 v[2:5], v2 offset:80
	s_waitcnt lgkmcnt(0)
	ds_write_b32 v1, v22 offset:6400
	s_waitcnt lgkmcnt(0)
	; wave barrier
	s_waitcnt lgkmcnt(0)
	v_mov_b32_e32 v76, s2
	s_and_saveexec_b64 s[2:3], vcc
	s_cbranch_execz .LBB97_129
; %bb.128:
	ds_read_b32 v76, v34 offset:6404
.LBB97_129:
	s_or_b64 exec, exec, s[2:3]
	v_lshlrev_b32_e32 v26, 1, v0
	s_waitcnt lgkmcnt(0)
	; wave barrier
	s_waitcnt lgkmcnt(0)
	global_load_ushort v27, v26, s[68:69]
	global_load_ushort v28, v26, s[68:69] offset:128
	global_load_ushort v29, v26, s[68:69] offset:256
	;; [unrolled: 1-line block ×23, first 2 shown]
	v_sub_u32_e32 v37, v1, v26
	v_mad_u32_u24 v1, v0, 46, v37
	v_cmp_ne_u32_e32 vcc, v22, v23
	v_cmp_eq_u32_e64 s[2:3], v22, v23
	s_waitcnt vmcnt(23)
	ds_write_b16 v37, v27
	s_waitcnt vmcnt(22)
	ds_write_b16 v37, v28 offset:128
	s_waitcnt vmcnt(21)
	ds_write_b16 v37, v29 offset:256
	;; [unrolled: 2-line block ×23, first 2 shown]
	s_waitcnt lgkmcnt(0)
	; wave barrier
	s_waitcnt lgkmcnt(0)
	ds_read_b128 v[30:33], v1 offset:2
	ds_read_b128 v[26:29], v1 offset:18
	ds_read_b96 v[34:36], v1 offset:34
	ds_read_u16 v77, v1 offset:46
	v_mov_b32_e32 v1, s7
	s_and_saveexec_b64 s[8:9], s[2:3]
	s_cbranch_execz .LBB97_131
; %bb.130:
	v_mul_u32_u24_e32 v1, 46, v0
	v_add_u32_e32 v1, v37, v1
	ds_read_u16 v1, v1
.LBB97_131:
	s_or_b64 exec, exec, s[8:9]
	s_waitcnt lgkmcnt(3)
	v_lshrrev_b32_e32 v44, 16, v31
	v_cmp_ne_u32_e64 s[10:11], v18, v19
	v_cmp_ne_u32_e64 s[42:43], v9, v2
	;; [unrolled: 1-line block ×3, first 2 shown]
	v_mov_b32_e32 v2, s7
	v_lshrrev_b32_e32 v22, 16, v30
	v_lshrrev_b32_e32 v63, 16, v32
	;; [unrolled: 1-line block ×3, first 2 shown]
	s_waitcnt lgkmcnt(2)
	v_lshrrev_b32_e32 v66, 16, v26
	v_lshrrev_b32_e32 v68, 16, v27
	;; [unrolled: 1-line block ×4, first 2 shown]
	s_waitcnt lgkmcnt(1)
	v_lshrrev_b32_e32 v74, 16, v34
	v_lshrrev_b32_e32 v75, 16, v35
	;; [unrolled: 1-line block ×3, first 2 shown]
	v_cndmask_b32_e64 v37, 0, 1, vcc
	v_cmp_ne_u32_e32 vcc, v23, v24
	v_cmp_ne_u32_e64 s[2:3], v24, v25
	v_cmp_ne_u32_e64 s[8:9], v25, v18
	v_cndmask_b32_e64 v43, 0, 1, s[10:11]
	v_cmp_ne_u32_e64 s[12:13], v19, v20
	v_cmp_ne_u32_e64 s[14:15], v20, v21
	;; [unrolled: 1-line block ×16, first 2 shown]
	v_cndmask_b32_e64 v44, v44, v2, s[10:11]
	v_cmp_ne_u32_e64 s[10:11], v5, v76
	v_cndmask_b32_e64 v40, 0, 1, vcc
	v_cndmask_b32_e64 v41, 0, 1, s[2:3]
	v_cndmask_b32_e64 v42, 0, 1, s[8:9]
	;; [unrolled: 1-line block ×20, first 2 shown]
	v_cndmask_b32_e32 v30, v30, v2, vcc
	v_cndmask_b32_e64 v38, v22, v2, s[2:3]
	v_cndmask_b32_e64 v39, v31, v2, s[8:9]
	v_cndmask_b32_e64 v32, v32, v2, s[12:13]
	v_cndmask_b32_e64 v63, v63, v2, s[14:15]
	v_cndmask_b32_e64 v33, v33, v2, s[16:17]
	v_cndmask_b32_e64 v64, v64, v2, s[18:19]
	v_cndmask_b32_e64 v65, v26, v2, s[20:21]
	v_cndmask_b32_e64 v66, v66, v2, s[22:23]
	v_cndmask_b32_e64 v67, v27, v2, s[24:25]
	v_cndmask_b32_e64 v68, v68, v2, s[26:27]
	v_cndmask_b32_e64 v69, v28, v2, s[28:29]
	v_cndmask_b32_e64 v70, v70, v2, s[30:31]
	v_cndmask_b32_e64 v71, v29, v2, s[34:35]
	v_cndmask_b32_e64 v72, v72, v2, s[36:37]
	v_cndmask_b32_e64 v73, v34, v2, s[38:39]
	v_cndmask_b32_e64 v74, v74, v2, s[40:41]
	v_cndmask_b32_e64 v35, v35, v2, s[42:43]
	v_cndmask_b32_e64 v75, v75, v2, s[44:45]
	v_cndmask_b32_e64 v36, v36, v2, s[46:47]
	v_cndmask_b32_e64 v31, v78, v2, s[48:49]
	s_waitcnt lgkmcnt(0)
	v_cndmask_b32_e64 v76, v77, v2, s[10:11]
	s_mov_b64 s[12:13], -1
                                        ; implicit-def: $sgpr8
                                        ; implicit-def: $sgpr59
.LBB97_132:
	v_mov_b32_e32 v12, s59
	v_mov_b32_e32 v13, s8
	s_and_saveexec_b64 s[2:3], s[12:13]
; %bb.133:
	v_cndmask_b32_e64 v12, 0, 1, s[10:11]
	v_mov_b32_e32 v13, v76
; %bb.134:
	s_or_b64 exec, exec, s[2:3]
	v_or_b32_e32 v2, v12, v47
	s_cmp_lg_u32 s6, 0
	v_add_f16_e32 v16, v30, v1
	v_or_b32_e32 v15, v2, v49
	v_mbcnt_lo_u32_b32 v14, -1, 0
	s_waitcnt lgkmcnt(0)
	; wave barrier
	s_waitcnt lgkmcnt(0)
	s_cbranch_scc0 .LBB97_215
; %bb.135:
	v_mov_b32_e32 v2, 0
	v_cmp_eq_u16_sdwa s[2:3], v40, v2 src0_sel:BYTE_0 src1_sel:DWORD
	v_cndmask_b32_e64 v3, v30, v16, s[2:3]
	v_add_f16_e32 v3, v3, v38
	v_cmp_eq_u16_sdwa s[52:53], v41, v2 src0_sel:BYTE_0 src1_sel:DWORD
	v_cndmask_b32_e64 v3, v38, v3, s[52:53]
	v_add_f16_e32 v3, v3, v39
	;; [unrolled: 3-line block ×22, first 2 shown]
	v_cmp_eq_u16_sdwa vcc, v12, v2 src0_sel:BYTE_0 src1_sel:DWORD
	v_cndmask_b32_e32 v2, v13, v3, vcc
	v_or_b32_e32 v3, v15, v50
	v_or_b32_e32 v3, v3, v51
	;; [unrolled: 1-line block ×20, first 2 shown]
	v_and_b32_e32 v3, 1, v3
	v_cmp_eq_u32_e32 vcc, 1, v3
	v_cndmask_b32_e64 v3, v37, 1, vcc
	v_mbcnt_hi_u32_b32 v5, -1, v14
	v_and_b32_e32 v8, 0xff, v3
	v_and_b32_e32 v4, 0xffff, v2
	;; [unrolled: 1-line block ×3, first 2 shown]
	v_lshl_or_b32 v4, v8, 16, v4
	v_cmp_ne_u32_e32 vcc, 0, v7
	s_nop 0
	v_mov_b32_dpp v6, v4 row_shr:1 row_mask:0xf bank_mask:0xf
	s_and_saveexec_b64 s[50:51], vcc
; %bb.136:
	v_add_f16_e32 v4, v2, v6
	v_cmp_eq_u16_e32 vcc, 0, v8
	v_cndmask_b32_e32 v2, v2, v4, vcc
	v_and_b32_e32 v3, 1, v3
	v_mov_b32_e32 v4, 1
	v_and_b32_sdwa v4, v6, v4 dst_sel:DWORD dst_unused:UNUSED_PAD src0_sel:WORD_1 src1_sel:DWORD
	v_cmp_eq_u32_e32 vcc, 1, v3
	v_cndmask_b32_e64 v3, v4, 1, vcc
	v_lshlrev_b32_e32 v4, 16, v3
	v_or_b32_sdwa v4, v4, v2 dst_sel:DWORD dst_unused:UNUSED_PAD src0_sel:DWORD src1_sel:WORD_0
; %bb.137:
	s_or_b64 exec, exec, s[50:51]
	v_lshrrev_b32_e32 v6, 16, v4
	v_mov_b32_dpp v8, v4 row_shr:2 row_mask:0xf bank_mask:0xf
	v_cmp_lt_u32_e32 vcc, 1, v7
	s_and_saveexec_b64 s[50:51], vcc
	s_cbranch_execz .LBB97_139
; %bb.138:
	s_mov_b32 s54, 0x10000
	v_add_f16_e32 v3, v2, v8
	v_cmp_gt_u32_e32 vcc, s54, v4
	v_cndmask_b32_e32 v2, v2, v3, vcc
	v_and_b32_e32 v3, 0x10000, v4
	v_mov_b32_e32 v4, 1
	v_and_b32_sdwa v4, v8, v4 dst_sel:DWORD dst_unused:UNUSED_PAD src0_sel:WORD_1 src1_sel:DWORD
	v_cmp_ne_u32_e32 vcc, 0, v3
	v_cndmask_b32_e64 v3, v4, 1, vcc
	v_lshlrev_b32_e32 v4, 16, v3
	v_or_b32_sdwa v4, v4, v2 dst_sel:DWORD dst_unused:UNUSED_PAD src0_sel:DWORD src1_sel:WORD_0
	v_mov_b32_e32 v6, v3
.LBB97_139:
	s_or_b64 exec, exec, s[50:51]
	v_mov_b32_dpp v8, v4 row_shr:4 row_mask:0xf bank_mask:0xf
	v_cmp_lt_u32_e32 vcc, 3, v7
	s_and_saveexec_b64 s[50:51], vcc
; %bb.140:
	v_add_f16_e32 v3, v2, v8
	v_cmp_eq_u16_e32 vcc, 0, v6
	v_cndmask_b32_e32 v2, v2, v3, vcc
	v_and_b32_e32 v3, 1, v6
	v_mov_b32_e32 v4, 1
	v_and_b32_sdwa v4, v8, v4 dst_sel:DWORD dst_unused:UNUSED_PAD src0_sel:WORD_1 src1_sel:DWORD
	v_cmp_eq_u32_e32 vcc, 1, v3
	v_cndmask_b32_e64 v3, v4, 1, vcc
	v_lshlrev_b32_e32 v4, 16, v3
	v_or_b32_sdwa v4, v4, v2 dst_sel:DWORD dst_unused:UNUSED_PAD src0_sel:DWORD src1_sel:WORD_0
	v_mov_b32_e32 v6, v3
; %bb.141:
	s_or_b64 exec, exec, s[50:51]
	v_mov_b32_dpp v8, v4 row_shr:8 row_mask:0xf bank_mask:0xf
	v_cmp_lt_u32_e32 vcc, 7, v7
	s_and_saveexec_b64 s[50:51], vcc
; %bb.142:
	v_add_f16_e32 v3, v2, v8
	v_cmp_eq_u16_e32 vcc, 0, v6
	v_cndmask_b32_e32 v2, v2, v3, vcc
	v_and_b32_e32 v3, 1, v6
	v_mov_b32_e32 v4, 1
	v_and_b32_sdwa v4, v8, v4 dst_sel:DWORD dst_unused:UNUSED_PAD src0_sel:WORD_1 src1_sel:DWORD
	v_cmp_eq_u32_e32 vcc, 1, v3
	v_cndmask_b32_e64 v3, v4, 1, vcc
	v_lshlrev_b32_e32 v4, 16, v3
	v_or_b32_sdwa v4, v4, v2 dst_sel:DWORD dst_unused:UNUSED_PAD src0_sel:DWORD src1_sel:WORD_0
	v_mov_b32_e32 v6, v3
; %bb.143:
	s_or_b64 exec, exec, s[50:51]
	v_and_b32_e32 v8, 16, v5
	v_mov_b32_dpp v7, v4 row_bcast:15 row_mask:0xf bank_mask:0xf
	v_cmp_ne_u32_e32 vcc, 0, v8
	s_and_saveexec_b64 s[50:51], vcc
; %bb.144:
	v_add_f16_e32 v3, v2, v7
	v_cmp_eq_u16_e32 vcc, 0, v6
	v_cndmask_b32_e32 v2, v2, v3, vcc
	v_and_b32_e32 v3, 1, v6
	v_mov_b32_e32 v4, 1
	v_and_b32_sdwa v4, v7, v4 dst_sel:DWORD dst_unused:UNUSED_PAD src0_sel:WORD_1 src1_sel:DWORD
	v_cmp_eq_u32_e32 vcc, 1, v3
	v_cndmask_b32_e64 v3, v4, 1, vcc
	v_lshlrev_b32_e32 v4, 16, v3
	v_or_b32_sdwa v4, v4, v2 dst_sel:DWORD dst_unused:UNUSED_PAD src0_sel:DWORD src1_sel:WORD_0
	v_mov_b32_e32 v6, v3
; %bb.145:
	s_or_b64 exec, exec, s[50:51]
	v_mov_b32_dpp v4, v4 row_bcast:31 row_mask:0xf bank_mask:0xf
	v_cmp_lt_u32_e32 vcc, 31, v5
	s_and_saveexec_b64 s[50:51], vcc
; %bb.146:
	v_add_f16_e32 v3, v2, v4
	v_cmp_eq_u16_e32 vcc, 0, v6
	v_cndmask_b32_e32 v2, v2, v3, vcc
	v_and_b32_e32 v3, 1, v6
	v_mov_b32_e32 v6, 1
	v_and_b32_sdwa v4, v4, v6 dst_sel:DWORD dst_unused:UNUSED_PAD src0_sel:WORD_1 src1_sel:DWORD
	v_cmp_eq_u32_e32 vcc, 1, v3
	v_cndmask_b32_e64 v3, v4, 1, vcc
; %bb.147:
	s_or_b64 exec, exec, s[50:51]
	v_cmp_eq_u32_e32 vcc, 63, v0
	s_and_saveexec_b64 s[50:51], vcc
	s_cbranch_execz .LBB97_149
; %bb.148:
	v_mov_b32_e32 v4, 0
	ds_write_b16 v4, v2
	ds_write_b8 v4, v3 offset:2
.LBB97_149:
	s_or_b64 exec, exec, s[50:51]
	v_and_b32_e32 v3, 0xff, v3
	v_and_b32_e32 v2, 0xffff, v2
	v_lshl_or_b32 v2, v3, 16, v2
	v_add_u32_e32 v3, -1, v5
	v_and_b32_e32 v4, 64, v5
	v_cmp_lt_i32_e32 vcc, v3, v4
	v_cndmask_b32_e32 v3, v3, v5, vcc
	v_lshlrev_b32_e32 v3, 2, v3
	ds_bpermute_b32 v17, v3, v2
	v_cmp_gt_u32_e32 vcc, 64, v0
	s_waitcnt lgkmcnt(0)
	; wave barrier
	s_waitcnt lgkmcnt(0)
	s_and_saveexec_b64 s[54:55], vcc
	s_cbranch_execz .LBB97_192
; %bb.150:
	v_mov_b32_e32 v9, 0
	ds_read_b32 v2, v9
	s_mov_b32 s63, 0
	v_cmp_eq_u32_e64 s[50:51], 0, v5
	s_and_saveexec_b64 s[60:61], s[50:51]
	s_cbranch_execz .LBB97_152
; %bb.151:
	s_add_i32 s62, s6, 64
	s_lshl_b64 s[62:63], s[62:63], 3
	s_add_u32 s62, s56, s62
	s_addc_u32 s63, s57, s63
	v_mov_b32_e32 v3, 1
	s_waitcnt lgkmcnt(0)
	global_store_dwordx2 v9, v[2:3], s[62:63]
.LBB97_152:
	s_or_b64 exec, exec, s[60:61]
	v_xad_u32 v4, v5, -1, s6
	v_add_u32_e32 v8, 64, v4
	v_lshlrev_b64 v[6:7], 3, v[8:9]
	v_mov_b32_e32 v3, s57
	v_add_co_u32_e32 v10, vcc, s56, v6
	v_addc_co_u32_e32 v11, vcc, v3, v7, vcc
	global_load_dwordx2 v[6:7], v[10:11], off glc
	s_waitcnt vmcnt(0)
	v_cmp_eq_u16_sdwa s[62:63], v7, v9 src0_sel:BYTE_0 src1_sel:DWORD
	s_and_saveexec_b64 s[60:61], s[62:63]
	s_cbranch_execz .LBB97_156
; %bb.153:
	s_mov_b64 s[62:63], 0
	v_mov_b32_e32 v3, 0
.LBB97_154:                             ; =>This Inner Loop Header: Depth=1
	global_load_dwordx2 v[6:7], v[10:11], off glc
	s_waitcnt vmcnt(0)
	v_cmp_ne_u16_sdwa s[68:69], v7, v3 src0_sel:BYTE_0 src1_sel:DWORD
	s_or_b64 s[62:63], s[68:69], s[62:63]
	s_andn2_b64 exec, exec, s[62:63]
	s_cbranch_execnz .LBB97_154
; %bb.155:
	s_or_b64 exec, exec, s[62:63]
.LBB97_156:
	s_or_b64 exec, exec, s[60:61]
	v_mov_b32_e32 v3, 2
	v_cmp_eq_u16_sdwa s[60:61], v7, v3 src0_sel:BYTE_0 src1_sel:DWORD
	v_lshlrev_b64 v[8:9], v5, -1
	v_and_b32_e32 v3, s61, v9
	v_or_b32_e32 v3, 0x80000000, v3
	v_and_b32_e32 v10, s60, v8
	v_ffbl_b32_e32 v3, v3
	v_and_b32_e32 v11, 63, v5
	v_add_u32_e32 v3, 32, v3
	v_ffbl_b32_e32 v10, v10
	v_cmp_ne_u32_e32 vcc, 63, v11
	v_min_u32_e32 v10, v10, v3
	v_addc_co_u32_e32 v3, vcc, 0, v5, vcc
	v_and_b32_e32 v28, 0xffffff, v6
	v_lshlrev_b32_e32 v3, 2, v3
	ds_bpermute_b32 v19, v3, v28
	v_add_u32_e32 v18, 1, v5
	v_lshrrev_b32_e32 v78, 16, v6
	v_cmp_le_u32_e32 vcc, v18, v10
	v_bfe_u32 v27, v6, 16, 8
	s_and_saveexec_b64 s[60:61], vcc
	s_cbranch_execz .LBB97_158
; %bb.157:
	v_and_b32_e32 v20, 0xff0000, v6
	s_waitcnt lgkmcnt(0)
	v_add_f16_e32 v21, v6, v19
	v_cmp_eq_u32_e32 vcc, 0, v20
	v_cndmask_b32_e32 v6, v6, v21, vcc
	v_and_b32_e32 v20, 0x10000, v20
	v_mov_b32_e32 v21, 1
	v_and_b32_sdwa v19, v19, v21 dst_sel:DWORD dst_unused:UNUSED_PAD src0_sel:WORD_1 src1_sel:DWORD
	v_cmp_ne_u32_e32 vcc, 0, v20
	v_cndmask_b32_e64 v78, v19, 1, vcc
	v_lshlrev_b32_e32 v19, 16, v78
	v_or_b32_sdwa v28, v19, v6 dst_sel:DWORD dst_unused:UNUSED_PAD src0_sel:DWORD src1_sel:WORD_0
	v_mov_b32_e32 v27, v78
.LBB97_158:
	s_or_b64 exec, exec, s[60:61]
	v_cmp_gt_u32_e32 vcc, 62, v11
	s_waitcnt lgkmcnt(0)
	v_cndmask_b32_e64 v19, 0, 1, vcc
	v_lshlrev_b32_e32 v19, 1, v19
	v_add_lshl_u32 v19, v19, v5, 2
	ds_bpermute_b32 v21, v19, v28
	v_add_u32_e32 v20, 2, v5
	v_cmp_le_u32_e32 vcc, v20, v10
	s_and_saveexec_b64 s[60:61], vcc
	s_cbranch_execz .LBB97_160
; %bb.159:
	s_waitcnt lgkmcnt(0)
	v_add_f16_e32 v22, v6, v21
	v_cmp_eq_u16_e32 vcc, 0, v27
	v_cndmask_b32_e32 v6, v6, v22, vcc
	v_and_b32_e32 v22, 1, v27
	v_mov_b32_e32 v23, 1
	v_and_b32_sdwa v21, v21, v23 dst_sel:DWORD dst_unused:UNUSED_PAD src0_sel:WORD_1 src1_sel:DWORD
	v_cmp_eq_u32_e32 vcc, 1, v22
	v_cndmask_b32_e64 v78, v21, 1, vcc
	v_lshlrev_b32_e32 v21, 16, v78
	v_or_b32_sdwa v28, v21, v6 dst_sel:DWORD dst_unused:UNUSED_PAD src0_sel:DWORD src1_sel:WORD_0
	v_mov_b32_e32 v27, v78
.LBB97_160:
	s_or_b64 exec, exec, s[60:61]
	v_cmp_gt_u32_e32 vcc, 60, v11
	s_waitcnt lgkmcnt(0)
	v_cndmask_b32_e64 v21, 0, 1, vcc
	v_lshlrev_b32_e32 v21, 2, v21
	v_add_lshl_u32 v21, v21, v5, 2
	ds_bpermute_b32 v23, v21, v28
	v_add_u32_e32 v22, 4, v5
	v_cmp_le_u32_e32 vcc, v22, v10
	s_and_saveexec_b64 s[60:61], vcc
	s_cbranch_execz .LBB97_162
; %bb.161:
	s_waitcnt lgkmcnt(0)
	v_add_f16_e32 v24, v6, v23
	v_cmp_eq_u16_e32 vcc, 0, v27
	v_cndmask_b32_e32 v6, v6, v24, vcc
	v_and_b32_e32 v24, 1, v27
	v_mov_b32_e32 v25, 1
	v_and_b32_sdwa v23, v23, v25 dst_sel:DWORD dst_unused:UNUSED_PAD src0_sel:WORD_1 src1_sel:DWORD
	v_cmp_eq_u32_e32 vcc, 1, v24
	v_cndmask_b32_e64 v78, v23, 1, vcc
	v_lshlrev_b32_e32 v23, 16, v78
	v_or_b32_sdwa v28, v23, v6 dst_sel:DWORD dst_unused:UNUSED_PAD src0_sel:DWORD src1_sel:WORD_0
	v_mov_b32_e32 v27, v78
.LBB97_162:
	;; [unrolled: 25-line block ×4, first 2 shown]
	s_or_b64 exec, exec, s[60:61]
	v_cmp_gt_u32_e32 vcc, 32, v11
	v_cndmask_b32_e64 v11, 0, 1, vcc
	v_lshlrev_b32_e32 v11, 5, v11
	s_waitcnt lgkmcnt(0)
	v_add_lshl_u32 v29, v11, v5, 2
	ds_bpermute_b32 v11, v29, v28
	v_add_u32_e32 v34, 32, v5
	v_cmp_le_u32_e32 vcc, v34, v10
	s_and_saveexec_b64 s[60:61], vcc
	s_cbranch_execz .LBB97_168
; %bb.167:
	s_waitcnt lgkmcnt(0)
	v_add_f16_e32 v5, v6, v11
	v_cmp_eq_u16_e32 vcc, 0, v27
	v_cndmask_b32_e32 v6, v6, v5, vcc
	v_and_b32_e32 v5, 1, v27
	v_mov_b32_e32 v10, 1
	v_and_b32_sdwa v10, v11, v10 dst_sel:DWORD dst_unused:UNUSED_PAD src0_sel:WORD_1 src1_sel:DWORD
	v_cmp_eq_u32_e32 vcc, 1, v5
	v_cndmask_b32_e64 v78, v10, 1, vcc
.LBB97_168:
	s_or_b64 exec, exec, s[60:61]
	v_mov_b32_e32 v5, 0
	v_mov_b32_e32 v76, 2
	;; [unrolled: 1-line block ×3, first 2 shown]
	s_branch .LBB97_170
.LBB97_169:                             ;   in Loop: Header=BB97_170 Depth=1
                                        ; implicit-def: $vgpr78
                                        ; implicit-def: $vgpr6
	s_cbranch_execnz .LBB97_188
.LBB97_170:                             ; =>This Loop Header: Depth=1
                                        ;     Child Loop BB97_173 Depth 2
	v_cmp_ne_u16_sdwa s[60:61], v7, v76 src0_sel:BYTE_0 src1_sel:DWORD
	v_cndmask_b32_e64 v7, 0, 1, s[60:61]
	;;#ASMSTART
	;;#ASMEND
	v_cmp_ne_u32_e32 vcc, 0, v7
	v_mov_b32_e32 v27, v78
	s_cmp_lg_u64 vcc, exec
	v_mov_b32_e32 v28, v6
	s_cbranch_scc1 .LBB97_169
; %bb.171:                              ;   in Loop: Header=BB97_170 Depth=1
	v_lshlrev_b64 v[6:7], 3, v[4:5]
	s_waitcnt lgkmcnt(0)
	v_mov_b32_e32 v11, s57
	v_add_co_u32_e32 v10, vcc, s56, v6
	v_addc_co_u32_e32 v11, vcc, v11, v7, vcc
	global_load_dwordx2 v[6:7], v[10:11], off glc
	s_waitcnt vmcnt(0)
	v_cmp_eq_u16_sdwa s[62:63], v7, v5 src0_sel:BYTE_0 src1_sel:DWORD
	s_and_saveexec_b64 s[60:61], s[62:63]
	s_cbranch_execz .LBB97_175
; %bb.172:                              ;   in Loop: Header=BB97_170 Depth=1
	s_mov_b64 s[62:63], 0
.LBB97_173:                             ;   Parent Loop BB97_170 Depth=1
                                        ; =>  This Inner Loop Header: Depth=2
	global_load_dwordx2 v[6:7], v[10:11], off glc
	s_waitcnt vmcnt(0)
	v_cmp_ne_u16_sdwa s[68:69], v7, v5 src0_sel:BYTE_0 src1_sel:DWORD
	s_or_b64 s[62:63], s[68:69], s[62:63]
	s_andn2_b64 exec, exec, s[62:63]
	s_cbranch_execnz .LBB97_173
; %bb.174:                              ;   in Loop: Header=BB97_170 Depth=1
	s_or_b64 exec, exec, s[62:63]
.LBB97_175:                             ;   in Loop: Header=BB97_170 Depth=1
	s_or_b64 exec, exec, s[60:61]
	v_cmp_eq_u16_sdwa s[60:61], v7, v76 src0_sel:BYTE_0 src1_sel:DWORD
	v_and_b32_e32 v10, s61, v9
	v_and_b32_e32 v79, 0xffffff, v6
	v_or_b32_e32 v10, 0x80000000, v10
	ds_bpermute_b32 v80, v3, v79
	v_and_b32_e32 v11, s60, v8
	v_ffbl_b32_e32 v10, v10
	v_add_u32_e32 v10, 32, v10
	v_ffbl_b32_e32 v11, v11
	v_min_u32_e32 v10, v11, v10
	v_lshrrev_b32_e32 v11, 16, v6
	v_cmp_le_u32_e32 vcc, v18, v10
	v_bfe_u32 v78, v6, 16, 8
	s_and_saveexec_b64 s[60:61], vcc
	s_cbranch_execz .LBB97_177
; %bb.176:                              ;   in Loop: Header=BB97_170 Depth=1
	v_and_b32_e32 v11, 0xff0000, v6
	s_waitcnt lgkmcnt(0)
	v_add_f16_e32 v78, v6, v80
	v_cmp_eq_u32_e32 vcc, 0, v11
	v_and_b32_e32 v11, 0x10000, v11
	v_cndmask_b32_e32 v6, v6, v78, vcc
	v_and_b32_sdwa v78, v80, v77 dst_sel:DWORD dst_unused:UNUSED_PAD src0_sel:WORD_1 src1_sel:DWORD
	v_cmp_ne_u32_e32 vcc, 0, v11
	v_cndmask_b32_e64 v11, v78, 1, vcc
	v_lshlrev_b32_e32 v78, 16, v11
	v_or_b32_sdwa v79, v78, v6 dst_sel:DWORD dst_unused:UNUSED_PAD src0_sel:DWORD src1_sel:WORD_0
	v_mov_b32_e32 v78, v11
.LBB97_177:                             ;   in Loop: Header=BB97_170 Depth=1
	s_or_b64 exec, exec, s[60:61]
	s_waitcnt lgkmcnt(0)
	ds_bpermute_b32 v80, v19, v79
	v_cmp_le_u32_e32 vcc, v20, v10
	s_and_saveexec_b64 s[60:61], vcc
	s_cbranch_execz .LBB97_179
; %bb.178:                              ;   in Loop: Header=BB97_170 Depth=1
	s_waitcnt lgkmcnt(0)
	v_add_f16_e32 v11, v6, v80
	v_cmp_eq_u16_e32 vcc, 0, v78
	v_cndmask_b32_e32 v6, v6, v11, vcc
	v_and_b32_e32 v11, 1, v78
	v_and_b32_sdwa v78, v80, v77 dst_sel:DWORD dst_unused:UNUSED_PAD src0_sel:WORD_1 src1_sel:DWORD
	v_cmp_eq_u32_e32 vcc, 1, v11
	v_cndmask_b32_e64 v11, v78, 1, vcc
	v_lshlrev_b32_e32 v78, 16, v11
	v_or_b32_sdwa v79, v78, v6 dst_sel:DWORD dst_unused:UNUSED_PAD src0_sel:DWORD src1_sel:WORD_0
	v_mov_b32_e32 v78, v11
.LBB97_179:                             ;   in Loop: Header=BB97_170 Depth=1
	s_or_b64 exec, exec, s[60:61]
	s_waitcnt lgkmcnt(0)
	ds_bpermute_b32 v80, v21, v79
	v_cmp_le_u32_e32 vcc, v22, v10
	s_and_saveexec_b64 s[60:61], vcc
	s_cbranch_execz .LBB97_181
; %bb.180:                              ;   in Loop: Header=BB97_170 Depth=1
	s_waitcnt lgkmcnt(0)
	v_add_f16_e32 v11, v6, v80
	v_cmp_eq_u16_e32 vcc, 0, v78
	v_cndmask_b32_e32 v6, v6, v11, vcc
	v_and_b32_e32 v11, 1, v78
	v_and_b32_sdwa v78, v80, v77 dst_sel:DWORD dst_unused:UNUSED_PAD src0_sel:WORD_1 src1_sel:DWORD
	v_cmp_eq_u32_e32 vcc, 1, v11
	v_cndmask_b32_e64 v11, v78, 1, vcc
	v_lshlrev_b32_e32 v78, 16, v11
	v_or_b32_sdwa v79, v78, v6 dst_sel:DWORD dst_unused:UNUSED_PAD src0_sel:DWORD src1_sel:WORD_0
	v_mov_b32_e32 v78, v11
.LBB97_181:                             ;   in Loop: Header=BB97_170 Depth=1
	;; [unrolled: 19-line block ×4, first 2 shown]
	s_or_b64 exec, exec, s[60:61]
	ds_bpermute_b32 v79, v29, v79
	v_cmp_le_u32_e32 vcc, v34, v10
	s_and_saveexec_b64 s[60:61], vcc
	s_cbranch_execz .LBB97_187
; %bb.186:                              ;   in Loop: Header=BB97_170 Depth=1
	s_waitcnt lgkmcnt(0)
	v_add_f16_e32 v10, v6, v79
	v_cmp_eq_u16_e32 vcc, 0, v78
	v_cndmask_b32_e32 v6, v6, v10, vcc
	v_and_b32_e32 v10, 1, v78
	v_lshrrev_b32_e32 v11, 16, v79
	v_cmp_eq_u32_e32 vcc, 1, v10
	v_cndmask_b32_e64 v11, v11, 1, vcc
.LBB97_187:                             ;   in Loop: Header=BB97_170 Depth=1
	s_or_b64 exec, exec, s[60:61]
	v_add_f16_e32 v6, v28, v6
	v_cmp_eq_u16_sdwa vcc, v27, v5 src0_sel:BYTE_0 src1_sel:DWORD
	v_and_b32_e32 v10, 1, v27
	v_cndmask_b32_e32 v6, v28, v6, vcc
	v_and_b32_e32 v11, 1, v11
	v_cmp_eq_u32_e32 vcc, 1, v10
	v_subrev_u32_e32 v4, 64, v4
	v_cndmask_b32_e64 v78, v11, 1, vcc
	s_branch .LBB97_170
.LBB97_188:
	s_and_saveexec_b64 s[60:61], s[50:51]
	s_cbranch_execz .LBB97_190
; %bb.189:
	v_and_b32_e32 v3, 0xff0000, v2
	v_add_f16_e32 v4, v2, v28
	v_cmp_eq_u32_e32 vcc, 0, v3
	s_mov_b32 s51, 0
	v_cndmask_b32_e32 v3, v2, v4, vcc
	v_and_b32_e32 v2, 0x10000, v2
	v_mov_b32_e32 v4, 1
	s_add_i32 s50, s6, 64
	v_and_b32_sdwa v4, v27, v4 dst_sel:WORD_1 dst_unused:UNUSED_PAD src0_sel:DWORD src1_sel:DWORD
	v_mov_b32_e32 v5, 0x10000
	v_cmp_eq_u32_e32 vcc, 0, v2
	s_lshl_b64 s[50:51], s[50:51], 3
	v_cndmask_b32_e32 v2, v5, v4, vcc
	s_add_u32 s50, s56, s50
	s_addc_u32 s51, s57, s51
	v_mov_b32_e32 v4, 0
	v_or_b32_sdwa v2, v2, v3 dst_sel:DWORD dst_unused:UNUSED_PAD src0_sel:DWORD src1_sel:WORD_0
	v_mov_b32_e32 v3, 2
	global_store_dwordx2 v4, v[2:3], s[50:51]
.LBB97_190:
	s_or_b64 exec, exec, s[60:61]
	v_cmp_eq_u32_e32 vcc, 0, v0
	s_and_b64 exec, exec, vcc
	s_cbranch_execz .LBB97_192
; %bb.191:
	v_mov_b32_e32 v2, 0
	ds_write_b16 v2, v28
	ds_write_b8 v2, v27 offset:2
.LBB97_192:
	s_or_b64 exec, exec, s[54:55]
	v_mov_b32_e32 v2, 0
	s_waitcnt lgkmcnt(0)
	; wave barrier
	s_waitcnt lgkmcnt(0)
	ds_read_b32 v3, v2
	v_and_b32_e32 v4, 0xff0000, v17
	v_cmp_eq_u32_e32 vcc, 0, v4
	s_waitcnt lgkmcnt(0)
	v_add_f16_e32 v5, v17, v3
	v_cndmask_b32_e32 v4, v17, v5, vcc
	v_cmp_eq_u32_e32 vcc, 0, v0
	v_cndmask_b32_e32 v5, v4, v3, vcc
	v_add_f16_e32 v3, v1, v5
	v_cmp_eq_u16_sdwa vcc, v37, v2 src0_sel:BYTE_0 src1_sel:DWORD
	v_cndmask_b32_e32 v4, v1, v3, vcc
	v_add_f16_e32 v2, v4, v30
	v_cndmask_b32_e64 v6, v30, v2, s[2:3]
	v_add_f16_e32 v2, v6, v38
	v_cndmask_b32_e64 v7, v38, v2, s[52:53]
	;; [unrolled: 2-line block ×22, first 2 shown]
	s_branch .LBB97_235
.LBB97_193:
	s_or_b64 exec, exec, s[60:61]
                                        ; implicit-def: $vgpr30
	s_and_saveexec_b64 s[2:3], s[54:55]
	s_cbranch_execz .LBB97_53
.LBB97_194:
	global_load_ushort v30, v[26:27], off offset:128
	s_or_b64 exec, exec, s[2:3]
                                        ; implicit-def: $vgpr31
	s_and_saveexec_b64 s[2:3], s[8:9]
	s_cbranch_execnz .LBB97_54
.LBB97_195:
	s_or_b64 exec, exec, s[2:3]
                                        ; implicit-def: $vgpr32
	s_and_saveexec_b64 s[2:3], s[10:11]
	s_cbranch_execz .LBB97_55
.LBB97_196:
	global_load_ushort v32, v[26:27], off offset:384
	s_or_b64 exec, exec, s[2:3]
                                        ; implicit-def: $vgpr33
	s_and_saveexec_b64 s[2:3], s[12:13]
	s_cbranch_execnz .LBB97_56
.LBB97_197:
	s_or_b64 exec, exec, s[2:3]
                                        ; implicit-def: $vgpr35
	s_and_saveexec_b64 s[2:3], s[14:15]
	s_cbranch_execz .LBB97_57
.LBB97_198:
	global_load_ushort v35, v[26:27], off offset:640
	s_or_b64 exec, exec, s[2:3]
                                        ; implicit-def: $vgpr36
	s_and_saveexec_b64 s[2:3], s[16:17]
	s_cbranch_execnz .LBB97_58
.LBB97_199:
	s_or_b64 exec, exec, s[2:3]
                                        ; implicit-def: $vgpr37
	s_and_saveexec_b64 s[2:3], s[18:19]
	s_cbranch_execz .LBB97_59
.LBB97_200:
	global_load_ushort v37, v[26:27], off offset:896
	s_or_b64 exec, exec, s[2:3]
                                        ; implicit-def: $vgpr38
	s_and_saveexec_b64 s[2:3], s[20:21]
	s_cbranch_execnz .LBB97_60
.LBB97_201:
	s_or_b64 exec, exec, s[2:3]
                                        ; implicit-def: $vgpr39
	s_and_saveexec_b64 s[2:3], s[22:23]
	s_cbranch_execz .LBB97_61
.LBB97_202:
	global_load_ushort v39, v[26:27], off offset:1152
	s_or_b64 exec, exec, s[2:3]
                                        ; implicit-def: $vgpr40
	s_and_saveexec_b64 s[2:3], s[24:25]
	s_cbranch_execnz .LBB97_62
.LBB97_203:
	s_or_b64 exec, exec, s[2:3]
                                        ; implicit-def: $vgpr41
	s_and_saveexec_b64 s[2:3], s[26:27]
	s_cbranch_execz .LBB97_63
.LBB97_204:
	global_load_ushort v41, v[26:27], off offset:1408
	s_or_b64 exec, exec, s[2:3]
                                        ; implicit-def: $vgpr42
	s_and_saveexec_b64 s[2:3], s[28:29]
	s_cbranch_execnz .LBB97_64
.LBB97_205:
	s_or_b64 exec, exec, s[2:3]
                                        ; implicit-def: $vgpr43
	s_and_saveexec_b64 s[2:3], s[30:31]
	s_cbranch_execz .LBB97_65
.LBB97_206:
	global_load_ushort v43, v[26:27], off offset:1664
	s_or_b64 exec, exec, s[2:3]
                                        ; implicit-def: $vgpr44
	s_and_saveexec_b64 s[2:3], s[34:35]
	s_cbranch_execnz .LBB97_66
.LBB97_207:
	s_or_b64 exec, exec, s[2:3]
                                        ; implicit-def: $vgpr45
	s_and_saveexec_b64 s[2:3], s[36:37]
	s_cbranch_execz .LBB97_67
.LBB97_208:
	global_load_ushort v45, v[26:27], off offset:1920
	s_or_b64 exec, exec, s[2:3]
                                        ; implicit-def: $vgpr46
	s_and_saveexec_b64 s[2:3], s[38:39]
	s_cbranch_execnz .LBB97_68
.LBB97_209:
	s_or_b64 exec, exec, s[2:3]
                                        ; implicit-def: $vgpr47
	s_and_saveexec_b64 s[2:3], s[40:41]
	s_cbranch_execz .LBB97_69
.LBB97_210:
	global_load_ushort v47, v[26:27], off offset:2176
	s_or_b64 exec, exec, s[2:3]
                                        ; implicit-def: $vgpr48
	s_and_saveexec_b64 s[2:3], s[42:43]
	s_cbranch_execnz .LBB97_70
.LBB97_211:
	s_or_b64 exec, exec, s[2:3]
                                        ; implicit-def: $vgpr49
	s_and_saveexec_b64 s[2:3], s[44:45]
	s_cbranch_execz .LBB97_71
.LBB97_212:
	global_load_ushort v49, v[26:27], off offset:2432
	s_or_b64 exec, exec, s[2:3]
                                        ; implicit-def: $vgpr50
	s_and_saveexec_b64 s[2:3], s[46:47]
	s_cbranch_execnz .LBB97_72
.LBB97_213:
	s_or_b64 exec, exec, s[2:3]
                                        ; implicit-def: $vgpr51
	s_and_saveexec_b64 s[2:3], s[48:49]
	s_cbranch_execz .LBB97_73
.LBB97_214:
	global_load_ushort v51, v[26:27], off offset:2688
	s_or_b64 exec, exec, s[2:3]
                                        ; implicit-def: $vgpr52
	s_and_saveexec_b64 s[2:3], s[50:51]
	s_cbranch_execz .LBB97_75
	s_branch .LBB97_74
.LBB97_215:
                                        ; implicit-def: $vgpr77
                                        ; implicit-def: $vgpr76
                                        ; implicit-def: $vgpr5
                                        ; implicit-def: $vgpr34
                                        ; implicit-def: $vgpr29
                                        ; implicit-def: $vgpr4
                                        ; implicit-def: $vgpr27
                                        ; implicit-def: $vgpr25
                                        ; implicit-def: $vgpr6
                                        ; implicit-def: $vgpr23
                                        ; implicit-def: $vgpr21
                                        ; implicit-def: $vgpr7
                                        ; implicit-def: $vgpr28
                                        ; implicit-def: $vgpr26
                                        ; implicit-def: $vgpr8
                                        ; implicit-def: $vgpr24
                                        ; implicit-def: $vgpr22
                                        ; implicit-def: $vgpr9
                                        ; implicit-def: $vgpr19
                                        ; implicit-def: $vgpr18
                                        ; implicit-def: $vgpr11
                                        ; implicit-def: $vgpr17
                                        ; implicit-def: $vgpr10
                                        ; implicit-def: $vgpr20
	s_cbranch_execz .LBB97_235
; %bb.216:
	s_cmp_eq_u64 s[66:67], 0
	v_mov_b32_e32 v2, s7
	s_cbranch_scc1 .LBB97_218
; %bb.217:
	v_mov_b32_e32 v2, 0
	global_load_ushort v2, v2, s[66:67]
.LBB97_218:
	v_mov_b32_e32 v3, 0
	v_cmp_eq_u16_sdwa vcc, v40, v3 src0_sel:BYTE_0 src1_sel:DWORD
	v_cndmask_b32_e32 v4, v30, v16, vcc
	v_add_f16_e32 v4, v4, v38
	v_cmp_eq_u16_sdwa s[2:3], v41, v3 src0_sel:BYTE_0 src1_sel:DWORD
	v_cndmask_b32_e64 v4, v38, v4, s[2:3]
	v_add_f16_e32 v4, v4, v39
	v_cmp_eq_u16_sdwa s[6:7], v42, v3 src0_sel:BYTE_0 src1_sel:DWORD
	v_cndmask_b32_e64 v4, v39, v4, s[6:7]
	;; [unrolled: 3-line block ×22, first 2 shown]
	v_or_b32_e32 v4, v15, v50
	v_or_b32_e32 v4, v4, v51
	;; [unrolled: 1-line block ×20, first 2 shown]
	v_and_b32_e32 v4, 1, v4
	v_cmp_eq_u32_e64 s[48:49], 1, v4
	v_cndmask_b32_e64 v5, v37, 1, s[48:49]
	v_mbcnt_hi_u32_b32 v4, -1, v14
	v_and_b32_e32 v9, 0xff, v5
	v_and_b32_e32 v6, 0xffff, v3
	;; [unrolled: 1-line block ×3, first 2 shown]
	v_lshl_or_b32 v7, v9, 16, v6
	v_cmp_ne_u32_e64 s[48:49], 0, v8
	s_nop 0
	v_mov_b32_dpp v6, v7 row_shr:1 row_mask:0xf bank_mask:0xf
	s_and_saveexec_b64 s[50:51], s[48:49]
; %bb.219:
	v_add_f16_e32 v7, v3, v6
	v_cmp_eq_u16_e64 s[48:49], 0, v9
	v_cndmask_b32_e64 v3, v3, v7, s[48:49]
	v_and_b32_e32 v5, 1, v5
	v_mov_b32_e32 v7, 1
	v_and_b32_sdwa v6, v6, v7 dst_sel:DWORD dst_unused:UNUSED_PAD src0_sel:WORD_1 src1_sel:DWORD
	v_cmp_eq_u32_e64 s[48:49], 1, v5
	v_cndmask_b32_e64 v5, v6, 1, s[48:49]
	v_lshlrev_b32_e32 v6, 16, v5
	v_or_b32_sdwa v7, v6, v3 dst_sel:DWORD dst_unused:UNUSED_PAD src0_sel:DWORD src1_sel:WORD_0
; %bb.220:
	s_or_b64 exec, exec, s[50:51]
	v_lshrrev_b32_e32 v6, 16, v7
	v_mov_b32_dpp v9, v7 row_shr:2 row_mask:0xf bank_mask:0xf
	v_cmp_lt_u32_e64 s[48:49], 1, v8
	s_and_saveexec_b64 s[50:51], s[48:49]
	s_cbranch_execz .LBB97_222
; %bb.221:
	s_mov_b32 s48, 0x10000
	v_add_f16_e32 v5, v3, v9
	v_cmp_gt_u32_e64 s[48:49], s48, v7
	v_cndmask_b32_e64 v3, v3, v5, s[48:49]
	v_and_b32_e32 v5, 0x10000, v7
	v_mov_b32_e32 v6, 1
	v_and_b32_sdwa v6, v9, v6 dst_sel:DWORD dst_unused:UNUSED_PAD src0_sel:WORD_1 src1_sel:DWORD
	v_cmp_ne_u32_e64 s[48:49], 0, v5
	v_cndmask_b32_e64 v5, v6, 1, s[48:49]
	v_lshlrev_b32_e32 v6, 16, v5
	v_or_b32_sdwa v7, v6, v3 dst_sel:DWORD dst_unused:UNUSED_PAD src0_sel:DWORD src1_sel:WORD_0
	v_mov_b32_e32 v6, v5
.LBB97_222:
	s_or_b64 exec, exec, s[50:51]
	v_mov_b32_dpp v9, v7 row_shr:4 row_mask:0xf bank_mask:0xf
	v_cmp_lt_u32_e64 s[48:49], 3, v8
	s_and_saveexec_b64 s[50:51], s[48:49]
; %bb.223:
	v_add_f16_e32 v5, v3, v9
	v_cmp_eq_u16_e64 s[48:49], 0, v6
	v_cndmask_b32_e64 v3, v3, v5, s[48:49]
	v_and_b32_e32 v5, 1, v6
	v_mov_b32_e32 v6, 1
	v_and_b32_sdwa v6, v9, v6 dst_sel:DWORD dst_unused:UNUSED_PAD src0_sel:WORD_1 src1_sel:DWORD
	v_cmp_eq_u32_e64 s[48:49], 1, v5
	v_cndmask_b32_e64 v5, v6, 1, s[48:49]
	v_lshlrev_b32_e32 v6, 16, v5
	v_or_b32_sdwa v7, v6, v3 dst_sel:DWORD dst_unused:UNUSED_PAD src0_sel:DWORD src1_sel:WORD_0
	v_mov_b32_e32 v6, v5
; %bb.224:
	s_or_b64 exec, exec, s[50:51]
	v_mov_b32_dpp v9, v7 row_shr:8 row_mask:0xf bank_mask:0xf
	v_cmp_lt_u32_e64 s[48:49], 7, v8
	s_and_saveexec_b64 s[50:51], s[48:49]
; %bb.225:
	v_add_f16_e32 v5, v3, v9
	v_cmp_eq_u16_e64 s[48:49], 0, v6
	v_cndmask_b32_e64 v3, v3, v5, s[48:49]
	v_and_b32_e32 v5, 1, v6
	v_mov_b32_e32 v6, 1
	v_and_b32_sdwa v6, v9, v6 dst_sel:DWORD dst_unused:UNUSED_PAD src0_sel:WORD_1 src1_sel:DWORD
	v_cmp_eq_u32_e64 s[48:49], 1, v5
	v_cndmask_b32_e64 v5, v6, 1, s[48:49]
	v_lshlrev_b32_e32 v6, 16, v5
	v_or_b32_sdwa v7, v6, v3 dst_sel:DWORD dst_unused:UNUSED_PAD src0_sel:DWORD src1_sel:WORD_0
	v_mov_b32_e32 v6, v5
; %bb.226:
	s_or_b64 exec, exec, s[50:51]
	v_and_b32_e32 v9, 16, v4
	v_mov_b32_dpp v8, v7 row_bcast:15 row_mask:0xf bank_mask:0xf
	v_cmp_ne_u32_e64 s[48:49], 0, v9
	s_and_saveexec_b64 s[50:51], s[48:49]
; %bb.227:
	v_add_f16_e32 v5, v3, v8
	v_cmp_eq_u16_e64 s[48:49], 0, v6
	v_cndmask_b32_e64 v3, v3, v5, s[48:49]
	v_and_b32_e32 v5, 1, v6
	v_mov_b32_e32 v6, 1
	v_and_b32_sdwa v6, v8, v6 dst_sel:DWORD dst_unused:UNUSED_PAD src0_sel:WORD_1 src1_sel:DWORD
	v_cmp_eq_u32_e64 s[48:49], 1, v5
	v_cndmask_b32_e64 v5, v6, 1, s[48:49]
	v_lshlrev_b32_e32 v6, 16, v5
	v_or_b32_sdwa v7, v6, v3 dst_sel:DWORD dst_unused:UNUSED_PAD src0_sel:DWORD src1_sel:WORD_0
	v_mov_b32_e32 v6, v5
; %bb.228:
	s_or_b64 exec, exec, s[50:51]
	v_mov_b32_dpp v7, v7 row_bcast:31 row_mask:0xf bank_mask:0xf
	v_cmp_lt_u32_e64 s[48:49], 31, v4
	s_and_saveexec_b64 s[50:51], s[48:49]
; %bb.229:
	v_add_f16_e32 v5, v3, v7
	v_cmp_eq_u16_e64 s[48:49], 0, v6
	v_cndmask_b32_e64 v3, v3, v5, s[48:49]
	v_and_b32_e32 v5, 1, v6
	v_mov_b32_e32 v6, 1
	v_and_b32_sdwa v6, v7, v6 dst_sel:DWORD dst_unused:UNUSED_PAD src0_sel:WORD_1 src1_sel:DWORD
	v_cmp_eq_u32_e64 s[48:49], 1, v5
	v_cndmask_b32_e64 v5, v6, 1, s[48:49]
	v_mov_b32_e32 v6, v5
; %bb.230:
	s_or_b64 exec, exec, s[50:51]
	v_cmp_eq_u32_e64 s[48:49], 63, v0
	s_and_saveexec_b64 s[50:51], s[48:49]
	s_cbranch_execz .LBB97_232
; %bb.231:
	v_mov_b32_e32 v7, 0
	ds_write_b16 v7, v3
	ds_write_b8 v7, v6 offset:2
.LBB97_232:
	s_or_b64 exec, exec, s[50:51]
	v_mov_b32_e32 v12, 0
	s_waitcnt vmcnt(0)
	v_add_f16_e32 v6, v3, v2
	v_cmp_eq_u16_sdwa s[48:49], v5, v12 src0_sel:BYTE_0 src1_sel:DWORD
	v_and_b32_e32 v5, 1, v5
	v_cndmask_b32_e64 v3, v3, v6, s[48:49]
	v_mov_b32_e32 v6, 0x10000
	v_cmp_eq_u32_e64 s[48:49], 1, v5
	v_cndmask_b32_e64 v5, 0, v6, s[48:49]
	v_or_b32_sdwa v3, v5, v3 dst_sel:DWORD dst_unused:UNUSED_PAD src0_sel:DWORD src1_sel:WORD_0
	v_add_u32_e32 v5, -1, v4
	v_and_b32_e32 v6, 64, v4
	v_cmp_lt_i32_e64 s[48:49], v5, v6
	v_cndmask_b32_e64 v5, v5, v4, s[48:49]
	v_lshlrev_b32_e32 v5, 2, v5
	ds_bpermute_b32 v3, v5, v3
	v_cmp_eq_u32_e64 s[48:49], 0, v4
	v_cmp_eq_u32_e64 s[50:51], 0, v0
	s_or_b64 s[48:49], s[50:51], s[48:49]
	s_waitcnt lgkmcnt(0)
	v_cndmask_b32_e64 v5, v3, v2, s[48:49]
	v_add_f16_e32 v3, v1, v5
	v_cmp_eq_u16_sdwa s[48:49], v37, v12 src0_sel:BYTE_0 src1_sel:DWORD
	v_cndmask_b32_e64 v4, v1, v3, s[48:49]
	v_add_f16_e32 v1, v4, v30
	v_cndmask_b32_e32 v6, v30, v1, vcc
	v_add_f16_e32 v1, v6, v38
	v_cndmask_b32_e64 v7, v38, v1, s[2:3]
	v_add_f16_e32 v1, v7, v39
	v_cndmask_b32_e64 v8, v39, v1, s[6:7]
	;; [unrolled: 2-line block ×20, first 2 shown]
	v_add_f16_e32 v1, v76, v31
	; wave barrier
	s_and_saveexec_b64 s[2:3], s[50:51]
	s_cbranch_execz .LBB97_234
; %bb.233:
	ds_read_u8 v3, v12 offset:2
	ds_read_u16 v5, v12
	v_mov_b32_e32 v15, 2
	s_waitcnt lgkmcnt(1)
	v_cmp_eq_u32_e32 vcc, 0, v3
	s_waitcnt lgkmcnt(0)
	v_add_f16_e32 v14, v2, v5
	v_lshlrev_b32_e32 v13, 16, v3
	v_cndmask_b32_e32 v3, v5, v14, vcc
	v_or_b32_sdwa v14, v13, v3 dst_sel:DWORD dst_unused:UNUSED_PAD src0_sel:DWORD src1_sel:WORD_0
	v_mov_b32_e32 v5, v2
	global_store_dwordx2 v12, v[14:15], s[56:57] offset:512
.LBB97_234:
	s_or_b64 exec, exec, s[2:3]
	v_cndmask_b32_e64 v77, v31, v1, s[16:17]
.LBB97_235:
	s_load_dwordx2 s[2:3], s[4:5], 0x18
	v_mul_u32_u24_e32 v1, 24, v0
	v_lshlrev_b32_e32 v13, 1, v1
	v_lshlrev_b32_e32 v12, 1, v0
	s_waitcnt lgkmcnt(0)
	s_add_u32 s2, s2, s64
	s_addc_u32 s3, s3, s65
	s_and_b64 vcc, exec, s[0:1]
	s_cbranch_vccz .LBB97_283
; %bb.236:
	s_mov_b32 s0, 0x5040100
	v_perm_b32 v33, v20, v11, s0
	v_perm_b32 v32, v9, v8, s0
	;; [unrolled: 1-line block ×4, first 2 shown]
	s_waitcnt lgkmcnt(0)
	; wave barrier
	ds_write_b128 v13, v[30:33]
	v_perm_b32 v33, v28, v26, s0
	v_perm_b32 v32, v24, v22, s0
	;; [unrolled: 1-line block ×4, first 2 shown]
	ds_write_b128 v13, v[30:33] offset:16
	v_perm_b32 v33, v77, v76, s0
	v_perm_b32 v32, v34, v29, s0
	;; [unrolled: 1-line block ×4, first 2 shown]
	s_movk_i32 s0, 0xffd2
	v_mad_i32_i24 v2, v0, s0, v13
	ds_write_b128 v13, v[30:33] offset:32
	s_waitcnt lgkmcnt(0)
	; wave barrier
	s_waitcnt lgkmcnt(0)
	ds_read_u16 v50, v2 offset:128
	ds_read_u16 v49, v2 offset:256
	;; [unrolled: 1-line block ×23, first 2 shown]
	v_mov_b32_e32 v3, s3
	v_add_co_u32_e32 v2, vcc, s2, v12
	s_add_i32 s33, s33, s58
	v_addc_co_u32_e32 v3, vcc, 0, v3, vcc
	v_mov_b32_e32 v1, 0
	v_cmp_gt_u32_e32 vcc, s33, v0
	s_and_saveexec_b64 s[0:1], vcc
	s_cbranch_execz .LBB97_238
; %bb.237:
	v_mul_i32_i24_e32 v51, 0xffffffd2, v0
	v_add_u32_e32 v51, v13, v51
	ds_read_u16 v51, v51
	s_waitcnt lgkmcnt(0)
	global_store_short v[2:3], v51, off
.LBB97_238:
	s_or_b64 exec, exec, s[0:1]
	v_or_b32_e32 v51, 64, v0
	v_cmp_gt_u32_e32 vcc, s33, v51
	s_and_saveexec_b64 s[0:1], vcc
	s_cbranch_execz .LBB97_240
; %bb.239:
	s_waitcnt lgkmcnt(14)
	global_store_short v[2:3], v50, off offset:128
.LBB97_240:
	s_or_b64 exec, exec, s[0:1]
	s_waitcnt lgkmcnt(14)
	v_or_b32_e32 v50, 0x80, v0
	v_cmp_gt_u32_e32 vcc, s33, v50
	s_and_saveexec_b64 s[0:1], vcc
	s_cbranch_execz .LBB97_242
; %bb.241:
	global_store_short v[2:3], v49, off offset:256
.LBB97_242:
	s_or_b64 exec, exec, s[0:1]
	v_or_b32_e32 v49, 0xc0, v0
	v_cmp_gt_u32_e32 vcc, s33, v49
	s_and_saveexec_b64 s[0:1], vcc
	s_cbranch_execz .LBB97_244
; %bb.243:
	global_store_short v[2:3], v48, off offset:384
.LBB97_244:
	s_or_b64 exec, exec, s[0:1]
	;; [unrolled: 8-line block ×8, first 2 shown]
	v_or_b32_e32 v42, 0x280, v0
	v_cmp_gt_u32_e32 vcc, s33, v42
	s_and_saveexec_b64 s[0:1], vcc
	s_cbranch_execz .LBB97_258
; %bb.257:
	s_waitcnt lgkmcnt(13)
	global_store_short v[2:3], v41, off offset:1280
.LBB97_258:
	s_or_b64 exec, exec, s[0:1]
	s_waitcnt lgkmcnt(13)
	v_or_b32_e32 v41, 0x2c0, v0
	v_cmp_gt_u32_e32 vcc, s33, v41
	s_and_saveexec_b64 s[0:1], vcc
	s_cbranch_execz .LBB97_260
; %bb.259:
	s_waitcnt lgkmcnt(12)
	global_store_short v[2:3], v40, off offset:1408
.LBB97_260:
	s_or_b64 exec, exec, s[0:1]
	s_waitcnt lgkmcnt(12)
	;; [unrolled: 10-line block ×12, first 2 shown]
	v_or_b32_e32 v16, 0x580, v0
	v_cmp_gt_u32_e32 vcc, s33, v16
	s_and_saveexec_b64 s[0:1], vcc
	s_cbranch_execz .LBB97_282
; %bb.281:
	s_waitcnt lgkmcnt(1)
	global_store_short v[2:3], v15, off offset:2816
.LBB97_282:
	s_or_b64 exec, exec, s[0:1]
	v_or_b32_e32 v2, 0x5c0, v0
	v_cmp_gt_u32_e64 s[0:1], s33, v2
	s_branch .LBB97_285
.LBB97_283:
	s_mov_b64 s[0:1], 0
                                        ; implicit-def: $vgpr14
	s_cbranch_execz .LBB97_285
; %bb.284:
	s_mov_b32 s4, 0x5040100
	v_perm_b32 v30, v4, v5, s4
	v_perm_b32 v5, v28, v26, s4
	v_perm_b32 v4, v24, v22, s4
	v_perm_b32 v3, v19, v18, s4
	v_perm_b32 v2, v17, v10, s4
	s_waitcnt lgkmcnt(0)
	; wave barrier
	s_waitcnt lgkmcnt(0)
	v_perm_b32 v33, v20, v11, s4
	v_perm_b32 v32, v9, v8, s4
	;; [unrolled: 1-line block ×3, first 2 shown]
	ds_write_b128 v13, v[2:5] offset:16
	v_perm_b32 v5, v77, v76, s4
	v_perm_b32 v4, v34, v29, s4
	;; [unrolled: 1-line block ×4, first 2 shown]
	s_movk_i32 s4, 0xffd2
	ds_write_b128 v13, v[2:5] offset:32
	v_mad_i32_i24 v2, v0, s4, v13
	ds_write_b128 v13, v[30:33]
	s_waitcnt lgkmcnt(0)
	; wave barrier
	s_waitcnt lgkmcnt(0)
	ds_read_u16 v3, v2
	ds_read_u16 v4, v2 offset:128
	ds_read_u16 v5, v2 offset:256
	;; [unrolled: 1-line block ×23, first 2 shown]
	v_mov_b32_e32 v1, 0
	s_or_b64 s[0:1], s[0:1], exec
	s_waitcnt lgkmcnt(14)
	global_store_short v12, v3, s[2:3]
	global_store_short v12, v4, s[2:3] offset:128
	global_store_short v12, v5, s[2:3] offset:256
	;; [unrolled: 1-line block ×9, first 2 shown]
	s_waitcnt lgkmcnt(13)
	global_store_short v12, v15, s[2:3] offset:1280
	s_waitcnt lgkmcnt(12)
	global_store_short v12, v16, s[2:3] offset:1408
	;; [unrolled: 2-line block ×13, first 2 shown]
.LBB97_285:
	s_and_saveexec_b64 s[4:5], s[0:1]
	s_cbranch_execz .LBB97_287
; %bb.286:
	v_lshlrev_b64 v[0:1], 1, v[0:1]
	v_mov_b32_e32 v2, s3
	v_add_co_u32_e32 v0, vcc, s2, v0
	v_addc_co_u32_e32 v1, vcc, v2, v1, vcc
	s_waitcnt lgkmcnt(0)
	global_store_short v[0:1], v14, off offset:2944
	s_endpgm
.LBB97_287:
	s_endpgm
	.section	.rodata,"a",@progbits
	.p2align	6, 0x0
	.amdhsa_kernel _ZN7rocprim6detail25device_scan_by_key_kernelILNS0_25lookback_scan_determinismE0ELb1ENS0_26wrapped_scan_by_key_configINS_14default_configEi6__halfEEPiN6hipcub22TransformInputIteratorIS5_NS8_6CastOpIS5_EEPS5_lEESC_S5_NS8_8EqualityENS8_3SumENS0_19lookback_scan_stateINS_5tupleIJS5_bEEELb0ELb1EEES5_EEvT2_T3_T4_T5_T6_T7_T8_mmmPKNSH_IJT9_bEEE
		.amdhsa_group_segment_fixed_size 6656
		.amdhsa_private_segment_fixed_size 0
		.amdhsa_kernarg_size 80
		.amdhsa_user_sgpr_count 6
		.amdhsa_user_sgpr_private_segment_buffer 1
		.amdhsa_user_sgpr_dispatch_ptr 0
		.amdhsa_user_sgpr_queue_ptr 0
		.amdhsa_user_sgpr_kernarg_segment_ptr 1
		.amdhsa_user_sgpr_dispatch_id 0
		.amdhsa_user_sgpr_flat_scratch_init 0
		.amdhsa_user_sgpr_kernarg_preload_length 0
		.amdhsa_user_sgpr_kernarg_preload_offset 0
		.amdhsa_user_sgpr_private_segment_size 0
		.amdhsa_uses_dynamic_stack 0
		.amdhsa_system_sgpr_private_segment_wavefront_offset 0
		.amdhsa_system_sgpr_workgroup_id_x 1
		.amdhsa_system_sgpr_workgroup_id_y 0
		.amdhsa_system_sgpr_workgroup_id_z 0
		.amdhsa_system_sgpr_workgroup_info 0
		.amdhsa_system_vgpr_workitem_id 0
		.amdhsa_next_free_vgpr 81
		.amdhsa_next_free_sgpr 75
		.amdhsa_accum_offset 84
		.amdhsa_reserve_vcc 1
		.amdhsa_reserve_flat_scratch 0
		.amdhsa_float_round_mode_32 0
		.amdhsa_float_round_mode_16_64 0
		.amdhsa_float_denorm_mode_32 3
		.amdhsa_float_denorm_mode_16_64 3
		.amdhsa_dx10_clamp 1
		.amdhsa_ieee_mode 1
		.amdhsa_fp16_overflow 0
		.amdhsa_tg_split 0
		.amdhsa_exception_fp_ieee_invalid_op 0
		.amdhsa_exception_fp_denorm_src 0
		.amdhsa_exception_fp_ieee_div_zero 0
		.amdhsa_exception_fp_ieee_overflow 0
		.amdhsa_exception_fp_ieee_underflow 0
		.amdhsa_exception_fp_ieee_inexact 0
		.amdhsa_exception_int_div_zero 0
	.end_amdhsa_kernel
	.section	.text._ZN7rocprim6detail25device_scan_by_key_kernelILNS0_25lookback_scan_determinismE0ELb1ENS0_26wrapped_scan_by_key_configINS_14default_configEi6__halfEEPiN6hipcub22TransformInputIteratorIS5_NS8_6CastOpIS5_EEPS5_lEESC_S5_NS8_8EqualityENS8_3SumENS0_19lookback_scan_stateINS_5tupleIJS5_bEEELb0ELb1EEES5_EEvT2_T3_T4_T5_T6_T7_T8_mmmPKNSH_IJT9_bEEE,"axG",@progbits,_ZN7rocprim6detail25device_scan_by_key_kernelILNS0_25lookback_scan_determinismE0ELb1ENS0_26wrapped_scan_by_key_configINS_14default_configEi6__halfEEPiN6hipcub22TransformInputIteratorIS5_NS8_6CastOpIS5_EEPS5_lEESC_S5_NS8_8EqualityENS8_3SumENS0_19lookback_scan_stateINS_5tupleIJS5_bEEELb0ELb1EEES5_EEvT2_T3_T4_T5_T6_T7_T8_mmmPKNSH_IJT9_bEEE,comdat
.Lfunc_end97:
	.size	_ZN7rocprim6detail25device_scan_by_key_kernelILNS0_25lookback_scan_determinismE0ELb1ENS0_26wrapped_scan_by_key_configINS_14default_configEi6__halfEEPiN6hipcub22TransformInputIteratorIS5_NS8_6CastOpIS5_EEPS5_lEESC_S5_NS8_8EqualityENS8_3SumENS0_19lookback_scan_stateINS_5tupleIJS5_bEEELb0ELb1EEES5_EEvT2_T3_T4_T5_T6_T7_T8_mmmPKNSH_IJT9_bEEE, .Lfunc_end97-_ZN7rocprim6detail25device_scan_by_key_kernelILNS0_25lookback_scan_determinismE0ELb1ENS0_26wrapped_scan_by_key_configINS_14default_configEi6__halfEEPiN6hipcub22TransformInputIteratorIS5_NS8_6CastOpIS5_EEPS5_lEESC_S5_NS8_8EqualityENS8_3SumENS0_19lookback_scan_stateINS_5tupleIJS5_bEEELb0ELb1EEES5_EEvT2_T3_T4_T5_T6_T7_T8_mmmPKNSH_IJT9_bEEE
                                        ; -- End function
	.section	.AMDGPU.csdata,"",@progbits
; Kernel info:
; codeLenInByte = 14728
; NumSgprs: 79
; NumVgprs: 81
; NumAgprs: 0
; TotalNumVgprs: 81
; ScratchSize: 0
; MemoryBound: 0
; FloatMode: 240
; IeeeMode: 1
; LDSByteSize: 6656 bytes/workgroup (compile time only)
; SGPRBlocks: 9
; VGPRBlocks: 10
; NumSGPRsForWavesPerEU: 79
; NumVGPRsForWavesPerEU: 81
; AccumOffset: 84
; Occupancy: 3
; WaveLimiterHint : 1
; COMPUTE_PGM_RSRC2:SCRATCH_EN: 0
; COMPUTE_PGM_RSRC2:USER_SGPR: 6
; COMPUTE_PGM_RSRC2:TRAP_HANDLER: 0
; COMPUTE_PGM_RSRC2:TGID_X_EN: 1
; COMPUTE_PGM_RSRC2:TGID_Y_EN: 0
; COMPUTE_PGM_RSRC2:TGID_Z_EN: 0
; COMPUTE_PGM_RSRC2:TIDIG_COMP_CNT: 0
; COMPUTE_PGM_RSRC3_GFX90A:ACCUM_OFFSET: 20
; COMPUTE_PGM_RSRC3_GFX90A:TG_SPLIT: 0
	.section	.text._ZN7rocprim6detail25device_scan_by_key_kernelILNS0_25lookback_scan_determinismE0ELb1ENS0_26wrapped_scan_by_key_configINS_14default_configEi6__halfEEPiN6hipcub22TransformInputIteratorIS5_NS8_6CastOpIS5_EEPS5_lEESC_S5_NS8_8EqualityENS8_3MaxENS0_19lookback_scan_stateINS_5tupleIJS5_bEEELb1ELb1EEES5_EEvT2_T3_T4_T5_T6_T7_T8_mmmPKNSH_IJT9_bEEE,"axG",@progbits,_ZN7rocprim6detail25device_scan_by_key_kernelILNS0_25lookback_scan_determinismE0ELb1ENS0_26wrapped_scan_by_key_configINS_14default_configEi6__halfEEPiN6hipcub22TransformInputIteratorIS5_NS8_6CastOpIS5_EEPS5_lEESC_S5_NS8_8EqualityENS8_3MaxENS0_19lookback_scan_stateINS_5tupleIJS5_bEEELb1ELb1EEES5_EEvT2_T3_T4_T5_T6_T7_T8_mmmPKNSH_IJT9_bEEE,comdat
	.protected	_ZN7rocprim6detail25device_scan_by_key_kernelILNS0_25lookback_scan_determinismE0ELb1ENS0_26wrapped_scan_by_key_configINS_14default_configEi6__halfEEPiN6hipcub22TransformInputIteratorIS5_NS8_6CastOpIS5_EEPS5_lEESC_S5_NS8_8EqualityENS8_3MaxENS0_19lookback_scan_stateINS_5tupleIJS5_bEEELb1ELb1EEES5_EEvT2_T3_T4_T5_T6_T7_T8_mmmPKNSH_IJT9_bEEE ; -- Begin function _ZN7rocprim6detail25device_scan_by_key_kernelILNS0_25lookback_scan_determinismE0ELb1ENS0_26wrapped_scan_by_key_configINS_14default_configEi6__halfEEPiN6hipcub22TransformInputIteratorIS5_NS8_6CastOpIS5_EEPS5_lEESC_S5_NS8_8EqualityENS8_3MaxENS0_19lookback_scan_stateINS_5tupleIJS5_bEEELb1ELb1EEES5_EEvT2_T3_T4_T5_T6_T7_T8_mmmPKNSH_IJT9_bEEE
	.globl	_ZN7rocprim6detail25device_scan_by_key_kernelILNS0_25lookback_scan_determinismE0ELb1ENS0_26wrapped_scan_by_key_configINS_14default_configEi6__halfEEPiN6hipcub22TransformInputIteratorIS5_NS8_6CastOpIS5_EEPS5_lEESC_S5_NS8_8EqualityENS8_3MaxENS0_19lookback_scan_stateINS_5tupleIJS5_bEEELb1ELb1EEES5_EEvT2_T3_T4_T5_T6_T7_T8_mmmPKNSH_IJT9_bEEE
	.p2align	8
	.type	_ZN7rocprim6detail25device_scan_by_key_kernelILNS0_25lookback_scan_determinismE0ELb1ENS0_26wrapped_scan_by_key_configINS_14default_configEi6__halfEEPiN6hipcub22TransformInputIteratorIS5_NS8_6CastOpIS5_EEPS5_lEESC_S5_NS8_8EqualityENS8_3MaxENS0_19lookback_scan_stateINS_5tupleIJS5_bEEELb1ELb1EEES5_EEvT2_T3_T4_T5_T6_T7_T8_mmmPKNSH_IJT9_bEEE,@function
_ZN7rocprim6detail25device_scan_by_key_kernelILNS0_25lookback_scan_determinismE0ELb1ENS0_26wrapped_scan_by_key_configINS_14default_configEi6__halfEEPiN6hipcub22TransformInputIteratorIS5_NS8_6CastOpIS5_EEPS5_lEESC_S5_NS8_8EqualityENS8_3MaxENS0_19lookback_scan_stateINS_5tupleIJS5_bEEELb1ELb1EEES5_EEvT2_T3_T4_T5_T6_T7_T8_mmmPKNSH_IJT9_bEEE: ; @_ZN7rocprim6detail25device_scan_by_key_kernelILNS0_25lookback_scan_determinismE0ELb1ENS0_26wrapped_scan_by_key_configINS_14default_configEi6__halfEEPiN6hipcub22TransformInputIteratorIS5_NS8_6CastOpIS5_EEPS5_lEESC_S5_NS8_8EqualityENS8_3MaxENS0_19lookback_scan_stateINS_5tupleIJS5_bEEELb1ELb1EEES5_EEvT2_T3_T4_T5_T6_T7_T8_mmmPKNSH_IJT9_bEEE
; %bb.0:
	s_endpgm
	.section	.rodata,"a",@progbits
	.p2align	6, 0x0
	.amdhsa_kernel _ZN7rocprim6detail25device_scan_by_key_kernelILNS0_25lookback_scan_determinismE0ELb1ENS0_26wrapped_scan_by_key_configINS_14default_configEi6__halfEEPiN6hipcub22TransformInputIteratorIS5_NS8_6CastOpIS5_EEPS5_lEESC_S5_NS8_8EqualityENS8_3MaxENS0_19lookback_scan_stateINS_5tupleIJS5_bEEELb1ELb1EEES5_EEvT2_T3_T4_T5_T6_T7_T8_mmmPKNSH_IJT9_bEEE
		.amdhsa_group_segment_fixed_size 0
		.amdhsa_private_segment_fixed_size 0
		.amdhsa_kernarg_size 80
		.amdhsa_user_sgpr_count 6
		.amdhsa_user_sgpr_private_segment_buffer 1
		.amdhsa_user_sgpr_dispatch_ptr 0
		.amdhsa_user_sgpr_queue_ptr 0
		.amdhsa_user_sgpr_kernarg_segment_ptr 1
		.amdhsa_user_sgpr_dispatch_id 0
		.amdhsa_user_sgpr_flat_scratch_init 0
		.amdhsa_user_sgpr_kernarg_preload_length 0
		.amdhsa_user_sgpr_kernarg_preload_offset 0
		.amdhsa_user_sgpr_private_segment_size 0
		.amdhsa_uses_dynamic_stack 0
		.amdhsa_system_sgpr_private_segment_wavefront_offset 0
		.amdhsa_system_sgpr_workgroup_id_x 1
		.amdhsa_system_sgpr_workgroup_id_y 0
		.amdhsa_system_sgpr_workgroup_id_z 0
		.amdhsa_system_sgpr_workgroup_info 0
		.amdhsa_system_vgpr_workitem_id 0
		.amdhsa_next_free_vgpr 1
		.amdhsa_next_free_sgpr 0
		.amdhsa_accum_offset 4
		.amdhsa_reserve_vcc 0
		.amdhsa_reserve_flat_scratch 0
		.amdhsa_float_round_mode_32 0
		.amdhsa_float_round_mode_16_64 0
		.amdhsa_float_denorm_mode_32 3
		.amdhsa_float_denorm_mode_16_64 3
		.amdhsa_dx10_clamp 1
		.amdhsa_ieee_mode 1
		.amdhsa_fp16_overflow 0
		.amdhsa_tg_split 0
		.amdhsa_exception_fp_ieee_invalid_op 0
		.amdhsa_exception_fp_denorm_src 0
		.amdhsa_exception_fp_ieee_div_zero 0
		.amdhsa_exception_fp_ieee_overflow 0
		.amdhsa_exception_fp_ieee_underflow 0
		.amdhsa_exception_fp_ieee_inexact 0
		.amdhsa_exception_int_div_zero 0
	.end_amdhsa_kernel
	.section	.text._ZN7rocprim6detail25device_scan_by_key_kernelILNS0_25lookback_scan_determinismE0ELb1ENS0_26wrapped_scan_by_key_configINS_14default_configEi6__halfEEPiN6hipcub22TransformInputIteratorIS5_NS8_6CastOpIS5_EEPS5_lEESC_S5_NS8_8EqualityENS8_3MaxENS0_19lookback_scan_stateINS_5tupleIJS5_bEEELb1ELb1EEES5_EEvT2_T3_T4_T5_T6_T7_T8_mmmPKNSH_IJT9_bEEE,"axG",@progbits,_ZN7rocprim6detail25device_scan_by_key_kernelILNS0_25lookback_scan_determinismE0ELb1ENS0_26wrapped_scan_by_key_configINS_14default_configEi6__halfEEPiN6hipcub22TransformInputIteratorIS5_NS8_6CastOpIS5_EEPS5_lEESC_S5_NS8_8EqualityENS8_3MaxENS0_19lookback_scan_stateINS_5tupleIJS5_bEEELb1ELb1EEES5_EEvT2_T3_T4_T5_T6_T7_T8_mmmPKNSH_IJT9_bEEE,comdat
.Lfunc_end98:
	.size	_ZN7rocprim6detail25device_scan_by_key_kernelILNS0_25lookback_scan_determinismE0ELb1ENS0_26wrapped_scan_by_key_configINS_14default_configEi6__halfEEPiN6hipcub22TransformInputIteratorIS5_NS8_6CastOpIS5_EEPS5_lEESC_S5_NS8_8EqualityENS8_3MaxENS0_19lookback_scan_stateINS_5tupleIJS5_bEEELb1ELb1EEES5_EEvT2_T3_T4_T5_T6_T7_T8_mmmPKNSH_IJT9_bEEE, .Lfunc_end98-_ZN7rocprim6detail25device_scan_by_key_kernelILNS0_25lookback_scan_determinismE0ELb1ENS0_26wrapped_scan_by_key_configINS_14default_configEi6__halfEEPiN6hipcub22TransformInputIteratorIS5_NS8_6CastOpIS5_EEPS5_lEESC_S5_NS8_8EqualityENS8_3MaxENS0_19lookback_scan_stateINS_5tupleIJS5_bEEELb1ELb1EEES5_EEvT2_T3_T4_T5_T6_T7_T8_mmmPKNSH_IJT9_bEEE
                                        ; -- End function
	.section	.AMDGPU.csdata,"",@progbits
; Kernel info:
; codeLenInByte = 4
; NumSgprs: 4
; NumVgprs: 0
; NumAgprs: 0
; TotalNumVgprs: 0
; ScratchSize: 0
; MemoryBound: 0
; FloatMode: 240
; IeeeMode: 1
; LDSByteSize: 0 bytes/workgroup (compile time only)
; SGPRBlocks: 0
; VGPRBlocks: 0
; NumSGPRsForWavesPerEU: 4
; NumVGPRsForWavesPerEU: 1
; AccumOffset: 4
; Occupancy: 8
; WaveLimiterHint : 0
; COMPUTE_PGM_RSRC2:SCRATCH_EN: 0
; COMPUTE_PGM_RSRC2:USER_SGPR: 6
; COMPUTE_PGM_RSRC2:TRAP_HANDLER: 0
; COMPUTE_PGM_RSRC2:TGID_X_EN: 1
; COMPUTE_PGM_RSRC2:TGID_Y_EN: 0
; COMPUTE_PGM_RSRC2:TGID_Z_EN: 0
; COMPUTE_PGM_RSRC2:TIDIG_COMP_CNT: 0
; COMPUTE_PGM_RSRC3_GFX90A:ACCUM_OFFSET: 0
; COMPUTE_PGM_RSRC3_GFX90A:TG_SPLIT: 0
	.section	.text._ZN7rocprim6detail25device_scan_by_key_kernelILNS0_25lookback_scan_determinismE0ELb1ENS0_26wrapped_scan_by_key_configINS_14default_configEi6__halfEEPiN6hipcub22TransformInputIteratorIS5_NS8_6CastOpIS5_EEPS5_lEESC_S5_NS8_8EqualityENS8_3MaxENS0_19lookback_scan_stateINS_5tupleIJS5_bEEELb0ELb1EEES5_EEvT2_T3_T4_T5_T6_T7_T8_mmmPKNSH_IJT9_bEEE,"axG",@progbits,_ZN7rocprim6detail25device_scan_by_key_kernelILNS0_25lookback_scan_determinismE0ELb1ENS0_26wrapped_scan_by_key_configINS_14default_configEi6__halfEEPiN6hipcub22TransformInputIteratorIS5_NS8_6CastOpIS5_EEPS5_lEESC_S5_NS8_8EqualityENS8_3MaxENS0_19lookback_scan_stateINS_5tupleIJS5_bEEELb0ELb1EEES5_EEvT2_T3_T4_T5_T6_T7_T8_mmmPKNSH_IJT9_bEEE,comdat
	.protected	_ZN7rocprim6detail25device_scan_by_key_kernelILNS0_25lookback_scan_determinismE0ELb1ENS0_26wrapped_scan_by_key_configINS_14default_configEi6__halfEEPiN6hipcub22TransformInputIteratorIS5_NS8_6CastOpIS5_EEPS5_lEESC_S5_NS8_8EqualityENS8_3MaxENS0_19lookback_scan_stateINS_5tupleIJS5_bEEELb0ELb1EEES5_EEvT2_T3_T4_T5_T6_T7_T8_mmmPKNSH_IJT9_bEEE ; -- Begin function _ZN7rocprim6detail25device_scan_by_key_kernelILNS0_25lookback_scan_determinismE0ELb1ENS0_26wrapped_scan_by_key_configINS_14default_configEi6__halfEEPiN6hipcub22TransformInputIteratorIS5_NS8_6CastOpIS5_EEPS5_lEESC_S5_NS8_8EqualityENS8_3MaxENS0_19lookback_scan_stateINS_5tupleIJS5_bEEELb0ELb1EEES5_EEvT2_T3_T4_T5_T6_T7_T8_mmmPKNSH_IJT9_bEEE
	.globl	_ZN7rocprim6detail25device_scan_by_key_kernelILNS0_25lookback_scan_determinismE0ELb1ENS0_26wrapped_scan_by_key_configINS_14default_configEi6__halfEEPiN6hipcub22TransformInputIteratorIS5_NS8_6CastOpIS5_EEPS5_lEESC_S5_NS8_8EqualityENS8_3MaxENS0_19lookback_scan_stateINS_5tupleIJS5_bEEELb0ELb1EEES5_EEvT2_T3_T4_T5_T6_T7_T8_mmmPKNSH_IJT9_bEEE
	.p2align	8
	.type	_ZN7rocprim6detail25device_scan_by_key_kernelILNS0_25lookback_scan_determinismE0ELb1ENS0_26wrapped_scan_by_key_configINS_14default_configEi6__halfEEPiN6hipcub22TransformInputIteratorIS5_NS8_6CastOpIS5_EEPS5_lEESC_S5_NS8_8EqualityENS8_3MaxENS0_19lookback_scan_stateINS_5tupleIJS5_bEEELb0ELb1EEES5_EEvT2_T3_T4_T5_T6_T7_T8_mmmPKNSH_IJT9_bEEE,@function
_ZN7rocprim6detail25device_scan_by_key_kernelILNS0_25lookback_scan_determinismE0ELb1ENS0_26wrapped_scan_by_key_configINS_14default_configEi6__halfEEPiN6hipcub22TransformInputIteratorIS5_NS8_6CastOpIS5_EEPS5_lEESC_S5_NS8_8EqualityENS8_3MaxENS0_19lookback_scan_stateINS_5tupleIJS5_bEEELb0ELb1EEES5_EEvT2_T3_T4_T5_T6_T7_T8_mmmPKNSH_IJT9_bEEE: ; @_ZN7rocprim6detail25device_scan_by_key_kernelILNS0_25lookback_scan_determinismE0ELb1ENS0_26wrapped_scan_by_key_configINS_14default_configEi6__halfEEPiN6hipcub22TransformInputIteratorIS5_NS8_6CastOpIS5_EEPS5_lEESC_S5_NS8_8EqualityENS8_3MaxENS0_19lookback_scan_stateINS_5tupleIJS5_bEEELb0ELb1EEES5_EEvT2_T3_T4_T5_T6_T7_T8_mmmPKNSH_IJT9_bEEE
; %bb.0:
	s_load_dwordx4 s[0:3], s[4:5], 0x0
	s_load_dword s7, s[4:5], 0x20
	s_load_dwordx8 s[56:63], s[4:5], 0x28
	s_load_dwordx2 s[66:67], s[4:5], 0x48
	s_mul_i32 s8, s6, 0x600
	s_mov_b32 s9, 0
	s_lshl_b64 s[10:11], s[8:9], 2
	s_waitcnt lgkmcnt(0)
	s_add_u32 s70, s0, s10
	s_addc_u32 s71, s1, s11
	s_lshl_b64 s[64:65], s[8:9], 1
	s_add_u32 s68, s2, s64
	s_addc_u32 s69, s3, s65
	s_add_u32 s0, s6, s60
	s_addc_u32 s1, 0, s61
	s_add_u32 s8, s62, -1
	s_addc_u32 s9, s63, -1
	v_pk_mov_b32 v[2:3], s[8:9], s[8:9] op_sel:[0,1]
	v_cmp_ge_u64_e64 s[0:1], s[0:1], v[2:3]
	s_mov_b64 s[2:3], -1
	s_and_b64 vcc, exec, s[0:1]
	s_mul_i32 s33, s8, 0xfffffa00
	v_lshlrev_b32_e32 v34, 2, v0
	s_cbranch_vccz .LBB99_126
; %bb.1:
	s_load_dword s59, s[70:71], 0x0
	s_add_i32 s74, s33, s58
	v_mov_b32_e32 v1, s71
	v_add_co_u32_e32 v2, vcc, s70, v34
	v_addc_co_u32_e32 v3, vcc, 0, v1, vcc
	v_cmp_gt_u32_e64 s[2:3], s74, v0
	s_waitcnt lgkmcnt(0)
	v_mov_b32_e32 v1, s59
	s_and_saveexec_b64 s[8:9], s[2:3]
	s_cbranch_execz .LBB99_3
; %bb.2:
	global_load_dword v1, v[2:3], off
.LBB99_3:
	s_or_b64 exec, exec, s[8:9]
	v_or_b32_e32 v4, 64, v0
	v_cmp_gt_u32_e64 s[54:55], s74, v4
	v_mov_b32_e32 v4, s59
	s_and_saveexec_b64 s[8:9], s[54:55]
	s_cbranch_execz .LBB99_5
; %bb.4:
	global_load_dword v4, v[2:3], off offset:256
.LBB99_5:
	s_or_b64 exec, exec, s[8:9]
	v_or_b32_e32 v5, 0x80, v0
	v_cmp_gt_u32_e64 s[8:9], s74, v5
	v_mov_b32_e32 v5, s59
	s_and_saveexec_b64 s[10:11], s[8:9]
	s_cbranch_execz .LBB99_7
; %bb.6:
	global_load_dword v5, v[2:3], off offset:512
.LBB99_7:
	;; [unrolled: 9-line block ×15, first 2 shown]
	s_or_b64 exec, exec, s[38:39]
	v_or_b32_e32 v19, 0x400, v0
	v_cmp_gt_u32_e64 s[38:39], s74, v19
	v_mov_b32_e32 v19, s59
	s_and_saveexec_b64 s[40:41], s[38:39]
	s_cbranch_execz .LBB99_35
; %bb.34:
	v_add_co_u32_e32 v20, vcc, 0x1000, v2
	v_addc_co_u32_e32 v21, vcc, 0, v3, vcc
	global_load_dword v19, v[20:21], off
.LBB99_35:
	s_or_b64 exec, exec, s[40:41]
	v_or_b32_e32 v20, 0x440, v0
	v_cmp_gt_u32_e64 s[40:41], s74, v20
	v_mov_b32_e32 v20, s59
	s_and_saveexec_b64 s[42:43], s[40:41]
	s_cbranch_execz .LBB99_37
; %bb.36:
	v_add_co_u32_e32 v20, vcc, 0x1000, v2
	v_addc_co_u32_e32 v21, vcc, 0, v3, vcc
	global_load_dword v20, v[20:21], off offset:256
.LBB99_37:
	s_or_b64 exec, exec, s[42:43]
	v_or_b32_e32 v21, 0x480, v0
	v_cmp_gt_u32_e64 s[42:43], s74, v21
	v_mov_b32_e32 v21, s59
	s_and_saveexec_b64 s[44:45], s[42:43]
	s_cbranch_execz .LBB99_39
; %bb.38:
	v_add_co_u32_e32 v22, vcc, 0x1000, v2
	v_addc_co_u32_e32 v23, vcc, 0, v3, vcc
	global_load_dword v21, v[22:23], off offset:512
.LBB99_39:
	s_or_b64 exec, exec, s[44:45]
	v_or_b32_e32 v22, 0x4c0, v0
	v_cmp_gt_u32_e64 s[44:45], s74, v22
	v_mov_b32_e32 v22, s59
	s_and_saveexec_b64 s[46:47], s[44:45]
	s_cbranch_execz .LBB99_41
; %bb.40:
	v_add_co_u32_e32 v22, vcc, 0x1000, v2
	v_addc_co_u32_e32 v23, vcc, 0, v3, vcc
	global_load_dword v22, v[22:23], off offset:768
.LBB99_41:
	s_or_b64 exec, exec, s[46:47]
	v_or_b32_e32 v23, 0x500, v0
	v_cmp_gt_u32_e64 s[46:47], s74, v23
	v_mov_b32_e32 v23, s59
	s_and_saveexec_b64 s[48:49], s[46:47]
	s_cbranch_execz .LBB99_43
; %bb.42:
	v_add_co_u32_e32 v24, vcc, 0x1000, v2
	v_addc_co_u32_e32 v25, vcc, 0, v3, vcc
	global_load_dword v23, v[24:25], off offset:1024
.LBB99_43:
	s_or_b64 exec, exec, s[48:49]
	v_or_b32_e32 v24, 0x540, v0
	v_cmp_gt_u32_e64 s[48:49], s74, v24
	v_mov_b32_e32 v24, s59
	s_and_saveexec_b64 s[50:51], s[48:49]
	s_cbranch_execz .LBB99_45
; %bb.44:
	v_add_co_u32_e32 v24, vcc, 0x1000, v2
	v_addc_co_u32_e32 v25, vcc, 0, v3, vcc
	global_load_dword v24, v[24:25], off offset:1280
.LBB99_45:
	s_or_b64 exec, exec, s[50:51]
	v_or_b32_e32 v25, 0x580, v0
	v_cmp_gt_u32_e64 s[50:51], s74, v25
	v_mov_b32_e32 v25, s59
	s_and_saveexec_b64 s[52:53], s[50:51]
	s_cbranch_execz .LBB99_47
; %bb.46:
	v_add_co_u32_e32 v26, vcc, 0x1000, v2
	v_addc_co_u32_e32 v27, vcc, 0, v3, vcc
	global_load_dword v25, v[26:27], off offset:1536
.LBB99_47:
	s_or_b64 exec, exec, s[52:53]
	v_or_b32_e32 v26, 0x5c0, v0
	v_cmp_gt_u32_e64 s[52:53], s74, v26
	v_mov_b32_e32 v26, s59
	s_and_saveexec_b64 s[60:61], s[52:53]
	s_cbranch_execz .LBB99_49
; %bb.48:
	v_add_co_u32_e32 v2, vcc, 0x1000, v2
	v_addc_co_u32_e32 v3, vcc, 0, v3, vcc
	global_load_dword v26, v[2:3], off offset:1792
.LBB99_49:
	s_or_b64 exec, exec, s[60:61]
	s_movk_i32 s59, 0x5c
	s_waitcnt vmcnt(0)
	ds_write2st64_b32 v34, v1, v4 offset1:1
	ds_write2st64_b32 v34, v5, v6 offset0:2 offset1:3
	ds_write2st64_b32 v34, v7, v8 offset0:4 offset1:5
	;; [unrolled: 1-line block ×11, first 2 shown]
	v_mad_u32_u24 v1, v0, s59, v34
	s_waitcnt lgkmcnt(0)
	; wave barrier
	s_waitcnt lgkmcnt(0)
	ds_read_b128 v[22:25], v1
	ds_read_b128 v[18:21], v1 offset:16
	ds_read_b128 v[14:17], v1 offset:32
	;; [unrolled: 1-line block ×5, first 2 shown]
	s_load_dword s59, s[70:71], 0x0
	s_movk_i32 s60, 0xffa4
	v_mad_i32_i24 v1, v0, s60, v1
	v_cmp_ne_u32_e32 vcc, 63, v0
	s_waitcnt lgkmcnt(0)
	ds_write_b32 v1, v22 offset:6400
	v_mov_b32_e32 v77, s59
	s_waitcnt lgkmcnt(0)
	; wave barrier
	s_waitcnt lgkmcnt(0)
	s_and_saveexec_b64 s[60:61], vcc
	s_cbranch_execz .LBB99_51
; %bb.50:
	ds_read_b32 v77, v34 offset:6404
.LBB99_51:
	s_or_b64 exec, exec, s[60:61]
	v_lshlrev_b32_e32 v28, 1, v0
	v_mov_b32_e32 v27, s69
	v_add_co_u32_e32 v26, vcc, s68, v28
	v_addc_co_u32_e32 v27, vcc, 0, v27, vcc
	s_waitcnt lgkmcnt(0)
	; wave barrier
	s_waitcnt lgkmcnt(0)
                                        ; implicit-def: $vgpr29
	s_and_saveexec_b64 s[60:61], s[2:3]
	s_cbranch_execz .LBB99_201
; %bb.52:
	global_load_ushort v29, v[26:27], off
	s_or_b64 exec, exec, s[60:61]
                                        ; implicit-def: $vgpr30
	s_and_saveexec_b64 s[2:3], s[54:55]
	s_cbranch_execnz .LBB99_202
.LBB99_53:
	s_or_b64 exec, exec, s[2:3]
                                        ; implicit-def: $vgpr31
	s_and_saveexec_b64 s[2:3], s[8:9]
	s_cbranch_execz .LBB99_203
.LBB99_54:
	global_load_ushort v31, v[26:27], off offset:256
	s_or_b64 exec, exec, s[2:3]
                                        ; implicit-def: $vgpr32
	s_and_saveexec_b64 s[2:3], s[10:11]
	s_cbranch_execnz .LBB99_204
.LBB99_55:
	s_or_b64 exec, exec, s[2:3]
                                        ; implicit-def: $vgpr33
	s_and_saveexec_b64 s[2:3], s[12:13]
	s_cbranch_execz .LBB99_205
.LBB99_56:
	global_load_ushort v33, v[26:27], off offset:512
	s_or_b64 exec, exec, s[2:3]
                                        ; implicit-def: $vgpr35
	s_and_saveexec_b64 s[2:3], s[14:15]
	s_cbranch_execnz .LBB99_206
.LBB99_57:
	s_or_b64 exec, exec, s[2:3]
                                        ; implicit-def: $vgpr36
	s_and_saveexec_b64 s[2:3], s[16:17]
	s_cbranch_execz .LBB99_207
.LBB99_58:
	global_load_ushort v36, v[26:27], off offset:768
	s_or_b64 exec, exec, s[2:3]
                                        ; implicit-def: $vgpr37
	s_and_saveexec_b64 s[2:3], s[18:19]
	s_cbranch_execnz .LBB99_208
.LBB99_59:
	s_or_b64 exec, exec, s[2:3]
                                        ; implicit-def: $vgpr38
	s_and_saveexec_b64 s[2:3], s[20:21]
	s_cbranch_execz .LBB99_209
.LBB99_60:
	global_load_ushort v38, v[26:27], off offset:1024
	s_or_b64 exec, exec, s[2:3]
                                        ; implicit-def: $vgpr39
	s_and_saveexec_b64 s[2:3], s[22:23]
	s_cbranch_execnz .LBB99_210
.LBB99_61:
	s_or_b64 exec, exec, s[2:3]
                                        ; implicit-def: $vgpr40
	s_and_saveexec_b64 s[2:3], s[24:25]
	s_cbranch_execz .LBB99_211
.LBB99_62:
	global_load_ushort v40, v[26:27], off offset:1280
	s_or_b64 exec, exec, s[2:3]
                                        ; implicit-def: $vgpr41
	s_and_saveexec_b64 s[2:3], s[26:27]
	s_cbranch_execnz .LBB99_212
.LBB99_63:
	s_or_b64 exec, exec, s[2:3]
                                        ; implicit-def: $vgpr42
	s_and_saveexec_b64 s[2:3], s[28:29]
	s_cbranch_execz .LBB99_213
.LBB99_64:
	global_load_ushort v42, v[26:27], off offset:1536
	s_or_b64 exec, exec, s[2:3]
                                        ; implicit-def: $vgpr43
	s_and_saveexec_b64 s[2:3], s[30:31]
	s_cbranch_execnz .LBB99_214
.LBB99_65:
	s_or_b64 exec, exec, s[2:3]
                                        ; implicit-def: $vgpr44
	s_and_saveexec_b64 s[2:3], s[34:35]
	s_cbranch_execz .LBB99_215
.LBB99_66:
	global_load_ushort v44, v[26:27], off offset:1792
	s_or_b64 exec, exec, s[2:3]
                                        ; implicit-def: $vgpr45
	s_and_saveexec_b64 s[2:3], s[36:37]
	s_cbranch_execnz .LBB99_216
.LBB99_67:
	s_or_b64 exec, exec, s[2:3]
                                        ; implicit-def: $vgpr46
	s_and_saveexec_b64 s[2:3], s[38:39]
	s_cbranch_execz .LBB99_217
.LBB99_68:
	global_load_ushort v46, v[26:27], off offset:2048
	s_or_b64 exec, exec, s[2:3]
                                        ; implicit-def: $vgpr47
	s_and_saveexec_b64 s[2:3], s[40:41]
	s_cbranch_execnz .LBB99_218
.LBB99_69:
	s_or_b64 exec, exec, s[2:3]
                                        ; implicit-def: $vgpr48
	s_and_saveexec_b64 s[2:3], s[42:43]
	s_cbranch_execz .LBB99_219
.LBB99_70:
	global_load_ushort v48, v[26:27], off offset:2304
	s_or_b64 exec, exec, s[2:3]
                                        ; implicit-def: $vgpr49
	s_and_saveexec_b64 s[2:3], s[44:45]
	s_cbranch_execnz .LBB99_220
.LBB99_71:
	s_or_b64 exec, exec, s[2:3]
                                        ; implicit-def: $vgpr50
	s_and_saveexec_b64 s[2:3], s[46:47]
	s_cbranch_execz .LBB99_221
.LBB99_72:
	global_load_ushort v50, v[26:27], off offset:2560
	s_or_b64 exec, exec, s[2:3]
                                        ; implicit-def: $vgpr51
	s_and_saveexec_b64 s[2:3], s[48:49]
	s_cbranch_execnz .LBB99_222
.LBB99_73:
	s_or_b64 exec, exec, s[2:3]
                                        ; implicit-def: $vgpr52
	s_and_saveexec_b64 s[2:3], s[50:51]
	s_cbranch_execz .LBB99_75
.LBB99_74:
	global_load_ushort v52, v[26:27], off offset:2816
.LBB99_75:
	s_or_b64 exec, exec, s[2:3]
	v_mul_u32_u24_e32 v78, 24, v0
                                        ; implicit-def: $vgpr53
	s_and_saveexec_b64 s[2:3], s[52:53]
	s_cbranch_execz .LBB99_77
; %bb.76:
	global_load_ushort v53, v[26:27], off offset:2944
.LBB99_77:
	s_or_b64 exec, exec, s[2:3]
	v_sub_u32_e32 v26, v1, v28
	s_waitcnt vmcnt(0)
	ds_write_b16 v26, v29
	ds_write_b16 v26, v30 offset:128
	ds_write_b16 v26, v31 offset:256
	;; [unrolled: 1-line block ×23, first 2 shown]
	v_cmp_gt_u32_e32 vcc, s74, v78
	s_mov_b64 s[2:3], 0
	s_mov_b32 s59, 0
	v_mov_b32_e32 v37, 0
	v_mov_b32_e32 v31, 0
	;; [unrolled: 1-line block ×24, first 2 shown]
	s_mov_b64 s[12:13], 0
	v_mov_b32_e32 v47, 0
	v_mov_b32_e32 v49, 0
	;; [unrolled: 1-line block ×22, first 2 shown]
	s_waitcnt lgkmcnt(0)
	; wave barrier
	s_waitcnt lgkmcnt(0)
                                        ; implicit-def: $sgpr10_sgpr11
                                        ; implicit-def: $vgpr76
	s_and_saveexec_b64 s[8:9], vcc
	s_cbranch_execz .LBB99_125
; %bb.78:
	v_mad_u32_u24 v1, v0, 46, v26
	ds_read_u16 v1, v1
	v_or_b32_e32 v27, 1, v78
	v_cmp_ne_u32_e32 vcc, v22, v23
	v_mov_b32_e32 v22, s7
	v_cndmask_b32_e64 v37, 0, 1, vcc
	s_waitcnt lgkmcnt(0)
	v_cndmask_b32_e32 v1, v1, v22, vcc
	v_cmp_gt_u32_e32 vcc, s74, v27
	v_mov_b32_e32 v31, 0
	v_mov_b32_e32 v47, 0
	;; [unrolled: 1-line block ×44, first 2 shown]
                                        ; implicit-def: $sgpr16_sgpr17
                                        ; implicit-def: $vgpr76
	s_and_saveexec_b64 s[10:11], vcc
	s_cbranch_execz .LBB99_124
; %bb.79:
	v_mul_u32_u24_e32 v22, 46, v0
	v_add_u32_e32 v22, v26, v22
	ds_read_b128 v[26:29], v22 offset:2
	v_or_b32_e32 v31, 2, v78
	v_cmp_ne_u32_e32 vcc, v23, v24
	v_mov_b32_e32 v23, s7
	v_cndmask_b32_e64 v40, 0, 1, vcc
	s_waitcnt lgkmcnt(0)
	v_cndmask_b32_e32 v30, v26, v23, vcc
	v_cmp_gt_u32_e32 vcc, s74, v31
	s_mov_b64 s[14:15], 0
	v_mov_b32_e32 v31, 0
	v_mov_b32_e32 v47, 0
	;; [unrolled: 1-line block ×42, first 2 shown]
                                        ; implicit-def: $sgpr18_sgpr19
                                        ; implicit-def: $vgpr76
	s_and_saveexec_b64 s[12:13], vcc
	s_cbranch_execz .LBB99_123
; %bb.80:
	v_lshrrev_b32_e32 v23, 16, v26
	v_or_b32_e32 v26, 3, v78
	v_cmp_ne_u32_e32 vcc, v24, v25
	v_mov_b32_e32 v24, s7
	v_cndmask_b32_e64 v41, 0, 1, vcc
	v_cndmask_b32_e32 v38, v23, v24, vcc
	v_cmp_gt_u32_e32 vcc, s74, v26
	s_mov_b64 s[16:17], 0
	v_mov_b32_e32 v31, 0
	v_mov_b32_e32 v47, 0
	;; [unrolled: 1-line block ×40, first 2 shown]
                                        ; implicit-def: $sgpr20_sgpr21
                                        ; implicit-def: $vgpr76
	s_and_saveexec_b64 s[14:15], vcc
	s_cbranch_execz .LBB99_122
; %bb.81:
	v_or_b32_e32 v23, 4, v78
	v_cmp_ne_u32_e32 vcc, v25, v18
	v_mov_b32_e32 v24, s7
	v_cndmask_b32_e64 v42, 0, 1, vcc
	v_cndmask_b32_e32 v39, v27, v24, vcc
	v_cmp_gt_u32_e32 vcc, s74, v23
	s_mov_b64 s[18:19], 0
	v_mov_b32_e32 v31, 0
	v_mov_b32_e32 v47, 0
	;; [unrolled: 1-line block ×38, first 2 shown]
                                        ; implicit-def: $sgpr22_sgpr23
                                        ; implicit-def: $vgpr76
	s_and_saveexec_b64 s[16:17], vcc
	s_cbranch_execz .LBB99_121
; %bb.82:
	v_lshrrev_b32_e32 v23, 16, v27
	v_or_b32_e32 v24, 5, v78
	v_cmp_ne_u32_e32 vcc, v18, v19
	v_mov_b32_e32 v18, s7
	v_cndmask_b32_e64 v44, 0, 1, vcc
	v_cndmask_b32_e32 v43, v23, v18, vcc
	v_cmp_gt_u32_e32 vcc, s74, v24
	s_mov_b64 s[20:21], 0
	v_mov_b32_e32 v31, 0
	v_mov_b32_e32 v47, 0
	;; [unrolled: 1-line block ×36, first 2 shown]
                                        ; implicit-def: $sgpr24_sgpr25
                                        ; implicit-def: $vgpr76
	s_and_saveexec_b64 s[18:19], vcc
	s_cbranch_execz .LBB99_120
; %bb.83:
	v_or_b32_e32 v18, 6, v78
	v_cmp_ne_u32_e32 vcc, v19, v20
	v_mov_b32_e32 v19, s7
	v_cndmask_b32_e64 v45, 0, 1, vcc
	v_cndmask_b32_e32 v32, v28, v19, vcc
	v_cmp_gt_u32_e32 vcc, s74, v18
	s_mov_b64 s[22:23], 0
	v_mov_b32_e32 v31, 0
	v_mov_b32_e32 v47, 0
	;; [unrolled: 1-line block ×34, first 2 shown]
                                        ; implicit-def: $sgpr26_sgpr27
                                        ; implicit-def: $vgpr76
	s_and_saveexec_b64 s[20:21], vcc
	s_cbranch_execz .LBB99_119
; %bb.84:
	v_lshrrev_b32_e32 v18, 16, v28
	v_or_b32_e32 v19, 7, v78
	v_cmp_ne_u32_e32 vcc, v20, v21
	v_mov_b32_e32 v20, s7
	v_cndmask_b32_e64 v46, 0, 1, vcc
	v_cndmask_b32_e32 v63, v18, v20, vcc
	v_cmp_gt_u32_e32 vcc, s74, v19
	s_mov_b64 s[24:25], 0
	v_mov_b32_e32 v31, 0
	v_mov_b32_e32 v47, 0
	;; [unrolled: 1-line block ×32, first 2 shown]
                                        ; implicit-def: $sgpr28_sgpr29
                                        ; implicit-def: $vgpr76
	s_and_saveexec_b64 s[22:23], vcc
	s_cbranch_execz .LBB99_118
; %bb.85:
	v_add_u32_e32 v18, 8, v78
	v_cmp_ne_u32_e32 vcc, v21, v14
	v_mov_b32_e32 v19, s7
	v_cndmask_b32_e64 v48, 0, 1, vcc
	v_cndmask_b32_e32 v33, v29, v19, vcc
	v_cmp_gt_u32_e32 vcc, s74, v18
	s_mov_b64 s[26:27], 0
	v_mov_b32_e32 v31, 0
	v_mov_b32_e32 v47, 0
	;; [unrolled: 1-line block ×30, first 2 shown]
                                        ; implicit-def: $sgpr30_sgpr31
                                        ; implicit-def: $vgpr76
	s_and_saveexec_b64 s[24:25], vcc
	s_cbranch_execz .LBB99_117
; %bb.86:
	v_lshrrev_b32_e32 v18, 16, v29
	v_add_u32_e32 v19, 9, v78
	v_cmp_ne_u32_e32 vcc, v14, v15
	v_mov_b32_e32 v14, s7
	v_cndmask_b32_e64 v52, 0, 1, vcc
	v_cndmask_b32_e32 v64, v18, v14, vcc
	v_cmp_gt_u32_e32 vcc, s74, v19
	s_mov_b64 s[28:29], 0
	v_mov_b32_e32 v31, 0
	v_mov_b32_e32 v47, 0
	;; [unrolled: 1-line block ×28, first 2 shown]
                                        ; implicit-def: $sgpr34_sgpr35
                                        ; implicit-def: $vgpr76
	s_and_saveexec_b64 s[26:27], vcc
	s_cbranch_execz .LBB99_116
; %bb.87:
	ds_read_b128 v[18:21], v22 offset:18
	v_add_u32_e32 v14, 10, v78
	v_cmp_ne_u32_e32 vcc, v15, v16
	v_mov_b32_e32 v15, s7
	v_cndmask_b32_e64 v54, 0, 1, vcc
	s_waitcnt lgkmcnt(0)
	v_cndmask_b32_e32 v65, v18, v15, vcc
	v_cmp_gt_u32_e32 vcc, s74, v14
	s_mov_b64 s[30:31], 0
	v_mov_b32_e32 v31, 0
	v_mov_b32_e32 v47, 0
	;; [unrolled: 1-line block ×26, first 2 shown]
                                        ; implicit-def: $sgpr36_sgpr37
                                        ; implicit-def: $vgpr76
	s_and_saveexec_b64 s[28:29], vcc
	s_cbranch_execz .LBB99_115
; %bb.88:
	v_lshrrev_b32_e32 v14, 16, v18
	v_add_u32_e32 v15, 11, v78
	v_cmp_ne_u32_e32 vcc, v16, v17
	v_mov_b32_e32 v16, s7
	v_cndmask_b32_e64 v56, 0, 1, vcc
	v_cndmask_b32_e32 v66, v14, v16, vcc
	v_cmp_gt_u32_e32 vcc, s74, v15
	s_mov_b64 s[34:35], 0
	v_mov_b32_e32 v31, 0
	v_mov_b32_e32 v47, 0
	;; [unrolled: 1-line block ×24, first 2 shown]
                                        ; implicit-def: $sgpr38_sgpr39
                                        ; implicit-def: $vgpr76
	s_and_saveexec_b64 s[30:31], vcc
	s_cbranch_execz .LBB99_114
; %bb.89:
	v_add_u32_e32 v14, 12, v78
	v_cmp_ne_u32_e32 vcc, v17, v10
	v_mov_b32_e32 v15, s7
	v_cndmask_b32_e64 v58, 0, 1, vcc
	v_cndmask_b32_e32 v67, v19, v15, vcc
	v_cmp_gt_u32_e32 vcc, s74, v14
	s_mov_b64 s[36:37], 0
	v_mov_b32_e32 v31, 0
	v_mov_b32_e32 v47, 0
	v_mov_b32_e32 v49, 0
	v_mov_b32_e32 v50, 0
	v_mov_b32_e32 v51, 0
	v_mov_b32_e32 v53, 0
	v_mov_b32_e32 v55, 0
	v_mov_b32_e32 v57, 0
	v_mov_b32_e32 v59, 0
	v_mov_b32_e32 v62, 0
	v_mov_b32_e32 v60, 0
	v_mov_b32_e32 v61, 0
	v_mov_b32_e32 v36, 0
	v_mov_b32_e32 v75, 0
	v_mov_b32_e32 v35, 0
	v_mov_b32_e32 v74, 0
	v_mov_b32_e32 v73, 0
	v_mov_b32_e32 v72, 0
	v_mov_b32_e32 v71, 0
	v_mov_b32_e32 v70, 0
	v_mov_b32_e32 v69, 0
	v_mov_b32_e32 v68, 0
                                        ; implicit-def: $sgpr40_sgpr41
                                        ; implicit-def: $vgpr76
	s_and_saveexec_b64 s[34:35], vcc
	s_cbranch_execz .LBB99_113
; %bb.90:
	v_lshrrev_b32_e32 v14, 16, v19
	v_add_u32_e32 v15, 13, v78
	v_cmp_ne_u32_e32 vcc, v10, v11
	v_mov_b32_e32 v10, s7
	v_cndmask_b32_e64 v61, 0, 1, vcc
	v_cndmask_b32_e32 v68, v14, v10, vcc
	v_cmp_gt_u32_e32 vcc, s74, v15
	s_mov_b64 s[38:39], 0
	v_mov_b32_e32 v31, 0
	v_mov_b32_e32 v47, 0
	;; [unrolled: 1-line block ×20, first 2 shown]
                                        ; implicit-def: $sgpr42_sgpr43
                                        ; implicit-def: $vgpr76
	s_and_saveexec_b64 s[36:37], vcc
	s_cbranch_execz .LBB99_112
; %bb.91:
	v_add_u32_e32 v10, 14, v78
	v_cmp_ne_u32_e32 vcc, v11, v12
	v_mov_b32_e32 v11, s7
	v_cndmask_b32_e64 v60, 0, 1, vcc
	v_cndmask_b32_e32 v69, v20, v11, vcc
	v_cmp_gt_u32_e32 vcc, s74, v10
	s_mov_b64 s[40:41], 0
	v_mov_b32_e32 v31, 0
	v_mov_b32_e32 v47, 0
	;; [unrolled: 1-line block ×18, first 2 shown]
                                        ; implicit-def: $sgpr44_sgpr45
                                        ; implicit-def: $vgpr76
	s_and_saveexec_b64 s[38:39], vcc
	s_cbranch_execz .LBB99_111
; %bb.92:
	v_lshrrev_b32_e32 v10, 16, v20
	v_add_u32_e32 v11, 15, v78
	v_cmp_ne_u32_e32 vcc, v12, v13
	v_mov_b32_e32 v12, s7
	v_cndmask_b32_e64 v62, 0, 1, vcc
	v_cndmask_b32_e32 v70, v10, v12, vcc
	v_cmp_gt_u32_e32 vcc, s74, v11
	s_mov_b64 s[42:43], 0
	v_mov_b32_e32 v31, 0
	v_mov_b32_e32 v47, 0
	;; [unrolled: 1-line block ×16, first 2 shown]
                                        ; implicit-def: $sgpr46_sgpr47
                                        ; implicit-def: $vgpr76
	s_and_saveexec_b64 s[40:41], vcc
	s_cbranch_execz .LBB99_110
; %bb.93:
	v_add_u32_e32 v10, 16, v78
	v_cmp_ne_u32_e32 vcc, v13, v6
	v_mov_b32_e32 v11, s7
	v_cndmask_b32_e64 v59, 0, 1, vcc
	v_cndmask_b32_e32 v71, v21, v11, vcc
	v_cmp_gt_u32_e32 vcc, s74, v10
	s_mov_b64 s[44:45], 0
	v_mov_b32_e32 v31, 0
	v_mov_b32_e32 v47, 0
	;; [unrolled: 1-line block ×14, first 2 shown]
                                        ; implicit-def: $sgpr48_sgpr49
                                        ; implicit-def: $vgpr76
	s_and_saveexec_b64 s[42:43], vcc
	s_cbranch_execz .LBB99_109
; %bb.94:
	v_lshrrev_b32_e32 v10, 16, v21
	v_add_u32_e32 v11, 17, v78
	v_cmp_ne_u32_e32 vcc, v6, v7
	v_mov_b32_e32 v6, s7
	v_cndmask_b32_e64 v57, 0, 1, vcc
	v_cndmask_b32_e32 v72, v10, v6, vcc
	v_cmp_gt_u32_e32 vcc, s74, v11
	s_mov_b64 s[46:47], 0
	v_mov_b32_e32 v31, 0
	v_mov_b32_e32 v47, 0
	;; [unrolled: 1-line block ×12, first 2 shown]
                                        ; implicit-def: $sgpr50_sgpr51
                                        ; implicit-def: $vgpr76
	s_and_saveexec_b64 s[44:45], vcc
	s_cbranch_execz .LBB99_108
; %bb.95:
	ds_read_b96 v[10:12], v22 offset:34
	v_add_u32_e32 v6, 18, v78
	v_cmp_ne_u32_e32 vcc, v7, v8
	v_mov_b32_e32 v7, s7
	v_cndmask_b32_e64 v55, 0, 1, vcc
	s_waitcnt lgkmcnt(0)
	v_cndmask_b32_e32 v73, v10, v7, vcc
	v_cmp_gt_u32_e32 vcc, s74, v6
	s_mov_b64 s[48:49], 0
	v_mov_b32_e32 v31, 0
	v_mov_b32_e32 v47, 0
	;; [unrolled: 1-line block ×10, first 2 shown]
                                        ; implicit-def: $sgpr52_sgpr53
                                        ; implicit-def: $vgpr76
	s_and_saveexec_b64 s[46:47], vcc
	s_cbranch_execz .LBB99_107
; %bb.96:
	v_lshrrev_b32_e32 v6, 16, v10
	v_add_u32_e32 v7, 19, v78
	v_cmp_ne_u32_e32 vcc, v8, v9
	v_mov_b32_e32 v8, s7
	v_cndmask_b32_e64 v53, 0, 1, vcc
	v_cndmask_b32_e32 v74, v6, v8, vcc
	v_cmp_gt_u32_e32 vcc, s74, v7
	s_mov_b64 s[50:51], 0
	v_mov_b32_e32 v31, 0
	v_mov_b32_e32 v47, 0
	;; [unrolled: 1-line block ×8, first 2 shown]
                                        ; implicit-def: $sgpr52_sgpr53
                                        ; implicit-def: $vgpr76
	s_and_saveexec_b64 s[48:49], vcc
	s_cbranch_execz .LBB99_106
; %bb.97:
	v_add_u32_e32 v6, 20, v78
	v_cmp_ne_u32_e32 vcc, v9, v2
	v_mov_b32_e32 v7, s7
	v_cndmask_b32_e64 v51, 0, 1, vcc
	v_cndmask_b32_e32 v35, v11, v7, vcc
	v_cmp_gt_u32_e32 vcc, s74, v6
	s_mov_b64 s[54:55], 0
	v_mov_b32_e32 v31, 0
	v_mov_b32_e32 v47, 0
	;; [unrolled: 1-line block ×6, first 2 shown]
                                        ; implicit-def: $sgpr52_sgpr53
                                        ; implicit-def: $vgpr76
	s_and_saveexec_b64 s[50:51], vcc
	s_cbranch_execz .LBB99_105
; %bb.98:
	v_lshrrev_b32_e32 v6, 16, v11
	v_add_u32_e32 v7, 21, v78
	v_cmp_ne_u32_e32 vcc, v2, v3
	v_mov_b32_e32 v2, s7
	v_cndmask_b32_e64 v50, 0, 1, vcc
	v_cndmask_b32_e32 v75, v6, v2, vcc
	v_cmp_gt_u32_e32 vcc, s74, v7
	v_mov_b32_e32 v31, 0
	v_mov_b32_e32 v47, 0
	;; [unrolled: 1-line block ×4, first 2 shown]
                                        ; implicit-def: $sgpr60_sgpr61
                                        ; implicit-def: $vgpr76
	s_and_saveexec_b64 s[52:53], vcc
	s_cbranch_execz .LBB99_104
; %bb.99:
	v_add_u32_e32 v2, 22, v78
	v_cmp_ne_u32_e32 vcc, v3, v4
	v_mov_b32_e32 v3, s7
	v_cndmask_b32_e64 v49, 0, 1, vcc
	v_cndmask_b32_e32 v36, v12, v3, vcc
	v_cmp_gt_u32_e32 vcc, s74, v2
	s_mov_b64 s[62:63], 0
	v_mov_b32_e32 v31, 0
	v_mov_b32_e32 v47, 0
                                        ; implicit-def: $sgpr72_sgpr73
                                        ; implicit-def: $vgpr76
	s_and_saveexec_b64 s[54:55], vcc
	s_cbranch_execz .LBB99_103
; %bb.100:
	v_lshrrev_b32_e32 v2, 16, v12
	v_add_u32_e32 v3, 23, v78
	v_cmp_ne_u32_e32 vcc, v4, v5
	v_mov_b32_e32 v4, s7
	v_cndmask_b32_e64 v47, 0, 1, vcc
	v_cndmask_b32_e32 v31, v2, v4, vcc
	v_cmp_gt_u32_e32 vcc, s74, v3
	s_mov_b64 s[60:61], 0
                                        ; implicit-def: $sgpr62_sgpr63
                                        ; implicit-def: $vgpr76
	s_and_saveexec_b64 s[72:73], vcc
	s_xor_b64 s[72:73], exec, s[72:73]
	s_cbranch_execz .LBB99_102
; %bb.101:
	ds_read_u16 v2, v22 offset:46
	v_mov_b32_e32 v3, s7
	v_cmp_ne_u32_e32 vcc, v5, v77
	s_mov_b64 s[60:61], exec
	s_and_b64 s[62:63], vcc, exec
	s_waitcnt lgkmcnt(0)
	v_cndmask_b32_e32 v76, v2, v3, vcc
.LBB99_102:
	s_or_b64 exec, exec, s[72:73]
	s_and_b64 s[72:73], s[62:63], exec
	s_and_b64 s[62:63], s[60:61], exec
.LBB99_103:
	s_or_b64 exec, exec, s[54:55]
	s_and_b64 s[60:61], s[72:73], exec
	s_and_b64 s[54:55], s[62:63], exec
.LBB99_104:
	s_or_b64 exec, exec, s[52:53]
	s_and_b64 s[52:53], s[60:61], exec
	s_and_b64 s[54:55], s[54:55], exec
.LBB99_105:
	s_or_b64 exec, exec, s[50:51]
	s_and_b64 s[52:53], s[52:53], exec
	s_and_b64 s[50:51], s[54:55], exec
.LBB99_106:
	s_or_b64 exec, exec, s[48:49]
	s_and_b64 s[52:53], s[52:53], exec
	s_and_b64 s[48:49], s[50:51], exec
.LBB99_107:
	s_or_b64 exec, exec, s[46:47]
	s_and_b64 s[50:51], s[52:53], exec
	s_and_b64 s[46:47], s[48:49], exec
.LBB99_108:
	s_or_b64 exec, exec, s[44:45]
	s_and_b64 s[48:49], s[50:51], exec
	s_and_b64 s[44:45], s[46:47], exec
.LBB99_109:
	s_or_b64 exec, exec, s[42:43]
	s_and_b64 s[46:47], s[48:49], exec
	s_and_b64 s[42:43], s[44:45], exec
.LBB99_110:
	s_or_b64 exec, exec, s[40:41]
	s_and_b64 s[44:45], s[46:47], exec
	s_and_b64 s[40:41], s[42:43], exec
.LBB99_111:
	s_or_b64 exec, exec, s[38:39]
	s_and_b64 s[42:43], s[44:45], exec
	s_and_b64 s[38:39], s[40:41], exec
.LBB99_112:
	s_or_b64 exec, exec, s[36:37]
	s_and_b64 s[40:41], s[42:43], exec
	s_and_b64 s[36:37], s[38:39], exec
.LBB99_113:
	s_or_b64 exec, exec, s[34:35]
	s_and_b64 s[38:39], s[40:41], exec
	s_and_b64 s[34:35], s[36:37], exec
.LBB99_114:
	s_or_b64 exec, exec, s[30:31]
	s_and_b64 s[36:37], s[38:39], exec
	s_and_b64 s[30:31], s[34:35], exec
.LBB99_115:
	s_or_b64 exec, exec, s[28:29]
	s_and_b64 s[34:35], s[36:37], exec
	s_and_b64 s[28:29], s[30:31], exec
.LBB99_116:
	s_or_b64 exec, exec, s[26:27]
	s_and_b64 s[30:31], s[34:35], exec
	s_and_b64 s[26:27], s[28:29], exec
.LBB99_117:
	s_or_b64 exec, exec, s[24:25]
	s_and_b64 s[28:29], s[30:31], exec
	s_and_b64 s[24:25], s[26:27], exec
.LBB99_118:
	s_or_b64 exec, exec, s[22:23]
	s_and_b64 s[26:27], s[28:29], exec
	s_and_b64 s[22:23], s[24:25], exec
.LBB99_119:
	s_or_b64 exec, exec, s[20:21]
	s_and_b64 s[24:25], s[26:27], exec
	s_and_b64 s[20:21], s[22:23], exec
.LBB99_120:
	s_or_b64 exec, exec, s[18:19]
	s_and_b64 s[22:23], s[24:25], exec
	s_and_b64 s[18:19], s[20:21], exec
.LBB99_121:
	s_or_b64 exec, exec, s[16:17]
	s_and_b64 s[20:21], s[22:23], exec
	s_and_b64 s[16:17], s[18:19], exec
.LBB99_122:
	s_or_b64 exec, exec, s[14:15]
	s_and_b64 s[18:19], s[20:21], exec
	s_and_b64 s[14:15], s[16:17], exec
.LBB99_123:
	s_or_b64 exec, exec, s[12:13]
	s_and_b64 s[16:17], s[18:19], exec
	s_and_b64 s[12:13], s[14:15], exec
.LBB99_124:
	s_or_b64 exec, exec, s[10:11]
	s_and_b64 s[10:11], s[16:17], exec
	s_and_b64 s[12:13], s[12:13], exec
.LBB99_125:
	s_or_b64 exec, exec, s[8:9]
	s_mov_b32 s8, 0
	s_and_b64 vcc, exec, s[2:3]
	s_cbranch_vccnz .LBB99_127
	s_branch .LBB99_132
.LBB99_126:
	s_mov_b64 s[12:13], 0
                                        ; implicit-def: $sgpr10_sgpr11
                                        ; implicit-def: $vgpr76
                                        ; implicit-def: $vgpr37
                                        ; implicit-def: $vgpr31
                                        ; implicit-def: $vgpr47
                                        ; implicit-def: $vgpr1
                                        ; implicit-def: $vgpr36
                                        ; implicit-def: $vgpr49
                                        ; implicit-def: $vgpr40
                                        ; implicit-def: $vgpr75
                                        ; implicit-def: $vgpr50
                                        ; implicit-def: $vgpr30
                                        ; implicit-def: $vgpr35
                                        ; implicit-def: $vgpr51
                                        ; implicit-def: $vgpr41
                                        ; implicit-def: $vgpr74
                                        ; implicit-def: $vgpr53
                                        ; implicit-def: $vgpr38
                                        ; implicit-def: $vgpr73
                                        ; implicit-def: $vgpr55
                                        ; implicit-def: $vgpr42
                                        ; implicit-def: $vgpr72
                                        ; implicit-def: $vgpr57
                                        ; implicit-def: $vgpr39
                                        ; implicit-def: $vgpr71
                                        ; implicit-def: $vgpr59
                                        ; implicit-def: $vgpr44
                                        ; implicit-def: $vgpr70
                                        ; implicit-def: $vgpr62
                                        ; implicit-def: $vgpr43
                                        ; implicit-def: $vgpr69
                                        ; implicit-def: $vgpr60
                                        ; implicit-def: $vgpr45
                                        ; implicit-def: $vgpr68
                                        ; implicit-def: $vgpr61
                                        ; implicit-def: $vgpr32
                                        ; implicit-def: $vgpr67
                                        ; implicit-def: $vgpr58
                                        ; implicit-def: $vgpr46
                                        ; implicit-def: $vgpr66
                                        ; implicit-def: $vgpr56
                                        ; implicit-def: $vgpr63
                                        ; implicit-def: $vgpr65
                                        ; implicit-def: $vgpr54
                                        ; implicit-def: $vgpr48
                                        ; implicit-def: $vgpr64
                                        ; implicit-def: $vgpr52
                                        ; implicit-def: $vgpr33
                                        ; implicit-def: $sgpr8
                                        ; implicit-def: $sgpr59
	s_and_b64 vcc, exec, s[2:3]
	s_cbranch_vccz .LBB99_132
.LBB99_127:
	v_mov_b32_e32 v1, s71
	v_add_co_u32_e32 v2, vcc, s70, v34
	v_addc_co_u32_e32 v1, vcc, 0, v1, vcc
	s_movk_i32 s2, 0x1000
	v_add_co_u32_e32 v2, vcc, s2, v2
	v_addc_co_u32_e32 v3, vcc, 0, v1, vcc
	global_load_dword v4, v34, s[70:71]
	global_load_dword v5, v34, s[70:71] offset:256
	global_load_dword v6, v34, s[70:71] offset:512
	;; [unrolled: 1-line block ×15, first 2 shown]
	global_load_dword v20, v[2:3], off
	global_load_dword v21, v[2:3], off offset:256
	global_load_dword v22, v[2:3], off offset:512
	;; [unrolled: 1-line block ×7, first 2 shown]
	s_movk_i32 s2, 0x5c
	v_mad_u32_u24 v2, v0, s2, v34
	s_movk_i32 s3, 0xffa4
	v_mad_i32_i24 v1, v0, s3, v2
	v_cmp_ne_u32_e32 vcc, 63, v0
	s_waitcnt vmcnt(22)
	ds_write2st64_b32 v34, v4, v5 offset1:1
	s_waitcnt vmcnt(20)
	ds_write2st64_b32 v34, v6, v7 offset0:2 offset1:3
	s_waitcnt vmcnt(18)
	ds_write2st64_b32 v34, v8, v9 offset0:4 offset1:5
	;; [unrolled: 2-line block ×11, first 2 shown]
	s_waitcnt lgkmcnt(0)
	; wave barrier
	s_waitcnt lgkmcnt(0)
	ds_read_b128 v[22:25], v2
	ds_read_b128 v[18:21], v2 offset:16
	ds_read_b128 v[14:17], v2 offset:32
	ds_read_b128 v[10:13], v2 offset:48
	s_load_dword s2, s[70:71], 0x1800
	ds_read_b128 v[6:9], v2 offset:64
	ds_read_b128 v[2:5], v2 offset:80
	s_waitcnt lgkmcnt(0)
	ds_write_b32 v1, v22 offset:6400
	s_waitcnt lgkmcnt(0)
	; wave barrier
	s_waitcnt lgkmcnt(0)
	v_mov_b32_e32 v76, s2
	s_and_saveexec_b64 s[2:3], vcc
	s_cbranch_execz .LBB99_129
; %bb.128:
	ds_read_b32 v76, v34 offset:6404
.LBB99_129:
	s_or_b64 exec, exec, s[2:3]
	v_lshlrev_b32_e32 v26, 1, v0
	s_waitcnt lgkmcnt(0)
	; wave barrier
	s_waitcnt lgkmcnt(0)
	global_load_ushort v27, v26, s[68:69]
	global_load_ushort v28, v26, s[68:69] offset:128
	global_load_ushort v29, v26, s[68:69] offset:256
	;; [unrolled: 1-line block ×23, first 2 shown]
	v_sub_u32_e32 v37, v1, v26
	v_mad_u32_u24 v1, v0, 46, v37
	v_cmp_ne_u32_e32 vcc, v22, v23
	v_cmp_eq_u32_e64 s[2:3], v22, v23
	s_waitcnt vmcnt(23)
	ds_write_b16 v37, v27
	s_waitcnt vmcnt(22)
	ds_write_b16 v37, v28 offset:128
	s_waitcnt vmcnt(21)
	ds_write_b16 v37, v29 offset:256
	;; [unrolled: 2-line block ×23, first 2 shown]
	s_waitcnt lgkmcnt(0)
	; wave barrier
	s_waitcnt lgkmcnt(0)
	ds_read_b128 v[30:33], v1 offset:2
	ds_read_b128 v[26:29], v1 offset:18
	ds_read_b96 v[34:36], v1 offset:34
	ds_read_u16 v77, v1 offset:46
	v_mov_b32_e32 v1, s7
	s_and_saveexec_b64 s[8:9], s[2:3]
	s_cbranch_execz .LBB99_131
; %bb.130:
	v_mul_u32_u24_e32 v1, 46, v0
	v_add_u32_e32 v1, v37, v1
	ds_read_u16 v1, v1
.LBB99_131:
	s_or_b64 exec, exec, s[8:9]
	s_waitcnt lgkmcnt(3)
	v_lshrrev_b32_e32 v43, 16, v31
	v_cmp_ne_u32_e64 s[10:11], v18, v19
	v_cmp_ne_u32_e64 s[42:43], v9, v2
	;; [unrolled: 1-line block ×3, first 2 shown]
	v_mov_b32_e32 v2, s7
	v_lshrrev_b32_e32 v22, 16, v30
	v_lshrrev_b32_e32 v63, 16, v32
	;; [unrolled: 1-line block ×3, first 2 shown]
	s_waitcnt lgkmcnt(2)
	v_lshrrev_b32_e32 v66, 16, v26
	v_lshrrev_b32_e32 v68, 16, v27
	;; [unrolled: 1-line block ×4, first 2 shown]
	s_waitcnt lgkmcnt(1)
	v_lshrrev_b32_e32 v74, 16, v34
	v_lshrrev_b32_e32 v75, 16, v35
	;; [unrolled: 1-line block ×3, first 2 shown]
	v_cndmask_b32_e64 v37, 0, 1, vcc
	v_cmp_ne_u32_e32 vcc, v23, v24
	v_cmp_ne_u32_e64 s[2:3], v24, v25
	v_cmp_ne_u32_e64 s[8:9], v25, v18
	v_cndmask_b32_e64 v44, 0, 1, s[10:11]
	v_cmp_ne_u32_e64 s[12:13], v19, v20
	v_cmp_ne_u32_e64 s[14:15], v20, v21
	;; [unrolled: 1-line block ×16, first 2 shown]
	v_cndmask_b32_e64 v43, v43, v2, s[10:11]
	v_cmp_ne_u32_e64 s[10:11], v5, v76
	v_cndmask_b32_e64 v40, 0, 1, vcc
	v_cndmask_b32_e64 v41, 0, 1, s[2:3]
	v_cndmask_b32_e64 v42, 0, 1, s[8:9]
	;; [unrolled: 1-line block ×20, first 2 shown]
	v_cndmask_b32_e32 v30, v30, v2, vcc
	v_cndmask_b32_e64 v38, v22, v2, s[2:3]
	v_cndmask_b32_e64 v39, v31, v2, s[8:9]
	;; [unrolled: 1-line block ×20, first 2 shown]
	s_waitcnt lgkmcnt(0)
	v_cndmask_b32_e64 v76, v77, v2, s[10:11]
	s_mov_b64 s[12:13], -1
                                        ; implicit-def: $sgpr8
                                        ; implicit-def: $sgpr59
.LBB99_132:
	v_mov_b32_e32 v12, s59
	v_mov_b32_e32 v13, s8
	s_and_saveexec_b64 s[2:3], s[12:13]
; %bb.133:
	v_cndmask_b32_e64 v12, 0, 1, s[10:11]
	v_mov_b32_e32 v13, v76
; %bb.134:
	s_or_b64 exec, exec, s[2:3]
	s_cmp_lg_u32 s6, 0
	s_waitcnt lgkmcnt(0)
	; wave barrier
	s_waitcnt lgkmcnt(0)
	s_cbranch_scc0 .LBB99_223
; %bb.135:
	v_mov_b32_e32 v2, 0
	v_cmp_eq_u16_sdwa s[2:3], v40, v2 src0_sel:BYTE_0 src1_sel:DWORD
	v_cmp_ne_u16_sdwa s[8:9], v40, v2 src0_sel:BYTE_0 src1_sel:DWORD
                                        ; implicit-def: $vgpr2
	s_and_saveexec_b64 s[10:11], s[8:9]
	s_xor_b64 s[8:9], exec, s[10:11]
; %bb.136:
	v_mov_b32_e32 v2, v30
; %bb.137:
	s_andn2_saveexec_b64 s[8:9], s[8:9]
; %bb.138:
	v_cmp_gt_f16_e32 vcc, v30, v1
	v_cndmask_b32_e32 v2, v1, v30, vcc
; %bb.139:
	s_or_b64 exec, exec, s[8:9]
	v_mov_b32_e32 v3, 0
	v_cmp_lt_f16_e32 vcc, v2, v38
	v_cndmask_b32_e32 v2, v2, v38, vcc
	v_cmp_eq_u16_sdwa s[52:53], v41, v3 src0_sel:BYTE_0 src1_sel:DWORD
	v_cndmask_b32_e64 v2, v38, v2, s[52:53]
	v_cmp_lt_f16_e32 vcc, v2, v39
	v_cndmask_b32_e32 v2, v2, v39, vcc
	v_cmp_eq_u16_sdwa s[8:9], v42, v3 src0_sel:BYTE_0 src1_sel:DWORD
	v_cndmask_b32_e64 v2, v39, v2, s[8:9]
	;; [unrolled: 4-line block ×21, first 2 shown]
	v_cmp_lt_f16_e32 vcc, v2, v13
	v_cndmask_b32_e32 v2, v2, v13, vcc
	v_cmp_eq_u16_sdwa vcc, v12, v3 src0_sel:BYTE_0 src1_sel:DWORD
	v_or_b32_e32 v3, v12, v47
	v_or_b32_e32 v3, v3, v49
	;; [unrolled: 1-line block ×22, first 2 shown]
	v_and_b32_e32 v3, 1, v3
	v_cndmask_b32_e32 v2, v13, v2, vcc
	v_cmp_eq_u32_e32 vcc, 1, v3
	v_cndmask_b32_e64 v3, v37, 1, vcc
	v_mbcnt_lo_u32_b32 v4, -1, 0
	v_mbcnt_hi_u32_b32 v5, -1, v4
	v_and_b32_e32 v8, 0xff, v3
	v_and_b32_e32 v4, 0xffff, v2
	;; [unrolled: 1-line block ×3, first 2 shown]
	v_lshl_or_b32 v4, v8, 16, v4
	v_cmp_ne_u32_e32 vcc, 0, v7
	s_nop 0
	v_mov_b32_dpp v6, v4 row_shr:1 row_mask:0xf bank_mask:0xf
	s_and_saveexec_b64 s[50:51], vcc
	s_xor_b64 s[50:51], exec, s[50:51]
; %bb.140:
	v_cmp_gt_f16_e32 vcc, v2, v6
	v_cndmask_b32_e32 v4, v6, v2, vcc
	v_cmp_eq_u16_e32 vcc, 0, v8
	v_cndmask_b32_e32 v2, v2, v4, vcc
	v_and_b32_e32 v3, 1, v3
	v_mov_b32_e32 v4, 1
	v_and_b32_sdwa v4, v6, v4 dst_sel:DWORD dst_unused:UNUSED_PAD src0_sel:WORD_1 src1_sel:DWORD
	v_cmp_eq_u32_e32 vcc, 1, v3
	v_cndmask_b32_e64 v3, v4, 1, vcc
	v_lshlrev_b32_e32 v4, 16, v3
	v_or_b32_sdwa v4, v4, v2 dst_sel:DWORD dst_unused:UNUSED_PAD src0_sel:DWORD src1_sel:WORD_0
; %bb.141:
	s_or_b64 exec, exec, s[50:51]
	v_lshrrev_b32_e32 v6, 16, v4
	v_mov_b32_dpp v8, v4 row_shr:2 row_mask:0xf bank_mask:0xf
	v_cmp_lt_u32_e32 vcc, 1, v7
	s_and_saveexec_b64 s[50:51], vcc
	s_cbranch_execz .LBB99_143
; %bb.142:
	s_mov_b32 s54, 0x10000
	v_cmp_gt_f16_e32 vcc, v2, v8
	v_cndmask_b32_e32 v3, v8, v2, vcc
	v_cmp_gt_u32_e32 vcc, s54, v4
	v_cndmask_b32_e32 v2, v2, v3, vcc
	v_and_b32_e32 v3, 0x10000, v4
	v_mov_b32_e32 v4, 1
	v_and_b32_sdwa v4, v8, v4 dst_sel:DWORD dst_unused:UNUSED_PAD src0_sel:WORD_1 src1_sel:DWORD
	v_cmp_ne_u32_e32 vcc, 0, v3
	v_cndmask_b32_e64 v3, v4, 1, vcc
	v_lshlrev_b32_e32 v4, 16, v3
	v_or_b32_sdwa v4, v4, v2 dst_sel:DWORD dst_unused:UNUSED_PAD src0_sel:DWORD src1_sel:WORD_0
	v_mov_b32_e32 v6, v3
.LBB99_143:
	s_or_b64 exec, exec, s[50:51]
	v_mov_b32_dpp v8, v4 row_shr:4 row_mask:0xf bank_mask:0xf
	v_cmp_lt_u32_e32 vcc, 3, v7
	s_and_saveexec_b64 s[50:51], vcc
	s_cbranch_execz .LBB99_145
; %bb.144:
	v_cmp_gt_f16_e32 vcc, v2, v8
	v_cndmask_b32_e32 v3, v8, v2, vcc
	v_cmp_eq_u16_e32 vcc, 0, v6
	v_cndmask_b32_e32 v2, v2, v3, vcc
	v_and_b32_e32 v3, 1, v6
	v_mov_b32_e32 v4, 1
	v_and_b32_sdwa v4, v8, v4 dst_sel:DWORD dst_unused:UNUSED_PAD src0_sel:WORD_1 src1_sel:DWORD
	v_cmp_eq_u32_e32 vcc, 1, v3
	v_cndmask_b32_e64 v3, v4, 1, vcc
	v_lshlrev_b32_e32 v4, 16, v3
	v_or_b32_sdwa v4, v4, v2 dst_sel:DWORD dst_unused:UNUSED_PAD src0_sel:DWORD src1_sel:WORD_0
	v_mov_b32_e32 v6, v3
.LBB99_145:
	s_or_b64 exec, exec, s[50:51]
	v_mov_b32_dpp v8, v4 row_shr:8 row_mask:0xf bank_mask:0xf
	v_cmp_lt_u32_e32 vcc, 7, v7
	s_and_saveexec_b64 s[50:51], vcc
	s_cbranch_execz .LBB99_147
; %bb.146:
	v_cmp_gt_f16_e32 vcc, v2, v8
	v_cndmask_b32_e32 v3, v8, v2, vcc
	v_cmp_eq_u16_e32 vcc, 0, v6
	v_cndmask_b32_e32 v2, v2, v3, vcc
	v_and_b32_e32 v3, 1, v6
	v_mov_b32_e32 v4, 1
	v_and_b32_sdwa v4, v8, v4 dst_sel:DWORD dst_unused:UNUSED_PAD src0_sel:WORD_1 src1_sel:DWORD
	v_cmp_eq_u32_e32 vcc, 1, v3
	v_cndmask_b32_e64 v3, v4, 1, vcc
	v_lshlrev_b32_e32 v4, 16, v3
	v_or_b32_sdwa v4, v4, v2 dst_sel:DWORD dst_unused:UNUSED_PAD src0_sel:DWORD src1_sel:WORD_0
	v_mov_b32_e32 v6, v3
.LBB99_147:
	s_or_b64 exec, exec, s[50:51]
	v_and_b32_e32 v8, 16, v5
	v_mov_b32_dpp v7, v4 row_bcast:15 row_mask:0xf bank_mask:0xf
	v_cmp_ne_u32_e32 vcc, 0, v8
	s_and_saveexec_b64 s[50:51], vcc
	s_cbranch_execz .LBB99_149
; %bb.148:
	v_cmp_gt_f16_e32 vcc, v2, v7
	v_cndmask_b32_e32 v3, v7, v2, vcc
	v_cmp_eq_u16_e32 vcc, 0, v6
	v_cndmask_b32_e32 v2, v2, v3, vcc
	v_and_b32_e32 v3, 1, v6
	v_mov_b32_e32 v4, 1
	v_and_b32_sdwa v4, v7, v4 dst_sel:DWORD dst_unused:UNUSED_PAD src0_sel:WORD_1 src1_sel:DWORD
	v_cmp_eq_u32_e32 vcc, 1, v3
	v_cndmask_b32_e64 v3, v4, 1, vcc
	v_lshlrev_b32_e32 v4, 16, v3
	v_or_b32_sdwa v4, v4, v2 dst_sel:DWORD dst_unused:UNUSED_PAD src0_sel:DWORD src1_sel:WORD_0
	v_mov_b32_e32 v6, v3
.LBB99_149:
	s_or_b64 exec, exec, s[50:51]
	v_mov_b32_dpp v4, v4 row_bcast:31 row_mask:0xf bank_mask:0xf
	v_cmp_lt_u32_e32 vcc, 31, v5
	s_and_saveexec_b64 s[50:51], vcc
; %bb.150:
	v_and_b32_e32 v3, 1, v6
	v_mov_b32_e32 v7, 1
	v_and_b32_sdwa v7, v4, v7 dst_sel:DWORD dst_unused:UNUSED_PAD src0_sel:WORD_1 src1_sel:DWORD
	v_cmp_eq_u32_e32 vcc, 1, v3
	v_cndmask_b32_e64 v3, v7, 1, vcc
	v_cmp_gt_f16_e32 vcc, v2, v4
	v_cndmask_b32_e32 v4, v4, v2, vcc
	v_cmp_eq_u16_e32 vcc, 0, v6
	v_cndmask_b32_e32 v2, v2, v4, vcc
; %bb.151:
	s_or_b64 exec, exec, s[50:51]
	v_cmp_eq_u32_e32 vcc, 63, v0
	s_and_saveexec_b64 s[50:51], vcc
	s_cbranch_execz .LBB99_153
; %bb.152:
	v_mov_b32_e32 v4, 0
	ds_write_b16 v4, v2
	ds_write_b8 v4, v3 offset:2
.LBB99_153:
	s_or_b64 exec, exec, s[50:51]
	v_and_b32_e32 v3, 0xff, v3
	v_and_b32_e32 v2, 0xffff, v2
	v_lshl_or_b32 v2, v3, 16, v2
	v_add_u32_e32 v3, -1, v5
	v_and_b32_e32 v4, 64, v5
	v_cmp_lt_i32_e32 vcc, v3, v4
	v_cndmask_b32_e32 v3, v3, v5, vcc
	v_lshlrev_b32_e32 v3, 2, v3
	ds_bpermute_b32 v14, v3, v2
	v_cmp_gt_u32_e32 vcc, 64, v0
	s_waitcnt lgkmcnt(0)
	; wave barrier
	s_waitcnt lgkmcnt(0)
	s_and_saveexec_b64 s[54:55], vcc
	s_cbranch_execz .LBB99_200
; %bb.154:
	v_mov_b32_e32 v9, 0
	ds_read_b32 v2, v9
	s_mov_b32 s63, 0
	v_cmp_eq_u32_e64 s[50:51], 0, v5
	s_and_saveexec_b64 s[60:61], s[50:51]
	s_cbranch_execz .LBB99_156
; %bb.155:
	s_add_i32 s62, s6, 64
	s_lshl_b64 s[62:63], s[62:63], 3
	s_add_u32 s62, s56, s62
	s_addc_u32 s63, s57, s63
	v_mov_b32_e32 v3, 1
	s_waitcnt lgkmcnt(0)
	global_store_dwordx2 v9, v[2:3], s[62:63]
.LBB99_156:
	s_or_b64 exec, exec, s[60:61]
	v_xad_u32 v4, v5, -1, s6
	v_add_u32_e32 v8, 64, v4
	v_lshlrev_b64 v[6:7], 3, v[8:9]
	v_mov_b32_e32 v3, s57
	v_add_co_u32_e32 v10, vcc, s56, v6
	v_addc_co_u32_e32 v11, vcc, v3, v7, vcc
	global_load_dwordx2 v[6:7], v[10:11], off glc
	s_waitcnt vmcnt(0)
	v_cmp_eq_u16_sdwa s[62:63], v7, v9 src0_sel:BYTE_0 src1_sel:DWORD
	s_and_saveexec_b64 s[60:61], s[62:63]
	s_cbranch_execz .LBB99_160
; %bb.157:
	s_mov_b64 s[62:63], 0
	v_mov_b32_e32 v3, 0
.LBB99_158:                             ; =>This Inner Loop Header: Depth=1
	global_load_dwordx2 v[6:7], v[10:11], off glc
	s_waitcnt vmcnt(0)
	v_cmp_ne_u16_sdwa s[68:69], v7, v3 src0_sel:BYTE_0 src1_sel:DWORD
	s_or_b64 s[62:63], s[68:69], s[62:63]
	s_andn2_b64 exec, exec, s[62:63]
	s_cbranch_execnz .LBB99_158
; %bb.159:
	s_or_b64 exec, exec, s[62:63]
.LBB99_160:
	s_or_b64 exec, exec, s[60:61]
	v_mov_b32_e32 v3, 2
	v_cmp_eq_u16_sdwa s[60:61], v7, v3 src0_sel:BYTE_0 src1_sel:DWORD
	v_lshlrev_b64 v[8:9], v5, -1
	v_and_b32_e32 v3, s61, v9
	v_or_b32_e32 v3, 0x80000000, v3
	v_and_b32_e32 v10, s60, v8
	v_ffbl_b32_e32 v3, v3
	v_and_b32_e32 v11, 63, v5
	v_add_u32_e32 v3, 32, v3
	v_ffbl_b32_e32 v10, v10
	v_cmp_ne_u32_e32 vcc, 63, v11
	v_min_u32_e32 v10, v10, v3
	v_addc_co_u32_e32 v3, vcc, 0, v5, vcc
	v_and_b32_e32 v24, 0xffffff, v6
	v_lshlrev_b32_e32 v3, 2, v3
	ds_bpermute_b32 v16, v3, v24
	v_add_u32_e32 v15, 1, v5
	v_lshrrev_b32_e32 v34, 16, v6
	v_cmp_le_u32_e32 vcc, v15, v10
	v_bfe_u32 v25, v6, 16, 8
	s_and_saveexec_b64 s[60:61], vcc
	s_cbranch_execz .LBB99_162
; %bb.161:
	v_and_b32_e32 v17, 0xff0000, v6
	s_waitcnt lgkmcnt(0)
	v_cmp_gt_f16_e32 vcc, v6, v16
	v_cndmask_b32_e32 v18, v16, v6, vcc
	v_cmp_eq_u32_e32 vcc, 0, v17
	v_cndmask_b32_e32 v6, v6, v18, vcc
	v_and_b32_e32 v17, 0x10000, v17
	v_mov_b32_e32 v18, 1
	v_and_b32_sdwa v16, v16, v18 dst_sel:DWORD dst_unused:UNUSED_PAD src0_sel:WORD_1 src1_sel:DWORD
	v_cmp_ne_u32_e32 vcc, 0, v17
	v_cndmask_b32_e64 v34, v16, 1, vcc
	v_lshlrev_b32_e32 v16, 16, v34
	v_or_b32_sdwa v24, v16, v6 dst_sel:DWORD dst_unused:UNUSED_PAD src0_sel:DWORD src1_sel:WORD_0
	v_mov_b32_e32 v25, v34
.LBB99_162:
	s_or_b64 exec, exec, s[60:61]
	v_cmp_gt_u32_e32 vcc, 62, v11
	s_waitcnt lgkmcnt(0)
	v_cndmask_b32_e64 v16, 0, 1, vcc
	v_lshlrev_b32_e32 v16, 1, v16
	v_add_lshl_u32 v16, v16, v5, 2
	ds_bpermute_b32 v18, v16, v24
	v_add_u32_e32 v17, 2, v5
	v_cmp_le_u32_e32 vcc, v17, v10
	s_and_saveexec_b64 s[60:61], vcc
	s_cbranch_execz .LBB99_164
; %bb.163:
	s_waitcnt lgkmcnt(0)
	v_cmp_gt_f16_e32 vcc, v6, v18
	v_cndmask_b32_e32 v19, v18, v6, vcc
	v_cmp_eq_u16_e32 vcc, 0, v25
	v_cndmask_b32_e32 v6, v6, v19, vcc
	v_and_b32_e32 v19, 1, v25
	v_mov_b32_e32 v20, 1
	v_and_b32_sdwa v18, v18, v20 dst_sel:DWORD dst_unused:UNUSED_PAD src0_sel:WORD_1 src1_sel:DWORD
	v_cmp_eq_u32_e32 vcc, 1, v19
	v_cndmask_b32_e64 v34, v18, 1, vcc
	v_lshlrev_b32_e32 v18, 16, v34
	v_or_b32_sdwa v24, v18, v6 dst_sel:DWORD dst_unused:UNUSED_PAD src0_sel:DWORD src1_sel:WORD_0
	v_mov_b32_e32 v25, v34
.LBB99_164:
	s_or_b64 exec, exec, s[60:61]
	v_cmp_gt_u32_e32 vcc, 60, v11
	s_waitcnt lgkmcnt(0)
	v_cndmask_b32_e64 v18, 0, 1, vcc
	v_lshlrev_b32_e32 v18, 2, v18
	v_add_lshl_u32 v18, v18, v5, 2
	ds_bpermute_b32 v20, v18, v24
	v_add_u32_e32 v19, 4, v5
	v_cmp_le_u32_e32 vcc, v19, v10
	s_and_saveexec_b64 s[60:61], vcc
	s_cbranch_execz .LBB99_166
; %bb.165:
	s_waitcnt lgkmcnt(0)
	v_cmp_gt_f16_e32 vcc, v6, v20
	v_cndmask_b32_e32 v21, v20, v6, vcc
	v_cmp_eq_u16_e32 vcc, 0, v25
	v_cndmask_b32_e32 v6, v6, v21, vcc
	v_and_b32_e32 v21, 1, v25
	v_mov_b32_e32 v22, 1
	v_and_b32_sdwa v20, v20, v22 dst_sel:DWORD dst_unused:UNUSED_PAD src0_sel:WORD_1 src1_sel:DWORD
	v_cmp_eq_u32_e32 vcc, 1, v21
	v_cndmask_b32_e64 v34, v20, 1, vcc
	v_lshlrev_b32_e32 v20, 16, v34
	v_or_b32_sdwa v24, v20, v6 dst_sel:DWORD dst_unused:UNUSED_PAD src0_sel:DWORD src1_sel:WORD_0
	v_mov_b32_e32 v25, v34
.LBB99_166:
	;; [unrolled: 26-line block ×3, first 2 shown]
	s_or_b64 exec, exec, s[60:61]
	v_cmp_gt_u32_e32 vcc, 48, v11
	s_waitcnt lgkmcnt(0)
	v_cndmask_b32_e64 v22, 0, 1, vcc
	v_lshlrev_b32_e32 v22, 4, v22
	v_add_lshl_u32 v22, v22, v5, 2
	ds_bpermute_b32 v26, v22, v24
	v_add_u32_e32 v23, 16, v5
	v_cmp_le_u32_e32 vcc, v23, v10
	s_and_saveexec_b64 s[60:61], vcc
	s_xor_b64 s[60:61], exec, s[60:61]
	s_cbranch_execz .LBB99_170
; %bb.169:
	s_waitcnt lgkmcnt(0)
	v_cmp_gt_f16_e32 vcc, v6, v26
	v_cndmask_b32_e32 v24, v26, v6, vcc
	v_cmp_eq_u16_e32 vcc, 0, v25
	v_cndmask_b32_e32 v6, v6, v24, vcc
	v_and_b32_e32 v24, 1, v25
	v_mov_b32_e32 v25, 1
	v_and_b32_sdwa v25, v26, v25 dst_sel:DWORD dst_unused:UNUSED_PAD src0_sel:WORD_1 src1_sel:DWORD
	v_cmp_eq_u32_e32 vcc, 1, v24
	v_cndmask_b32_e64 v34, v25, 1, vcc
	v_lshlrev_b32_e32 v24, 16, v34
	v_or_b32_sdwa v24, v24, v6 dst_sel:DWORD dst_unused:UNUSED_PAD src0_sel:DWORD src1_sel:WORD_0
                                        ; implicit-def: $vgpr25
.LBB99_170:
	s_or_saveexec_b64 s[60:61], s[60:61]
	v_mov_b32_e32 v27, v34
	s_xor_b64 exec, exec, s[60:61]
; %bb.171:
	v_mov_b32_e32 v27, v25
; %bb.172:
	s_or_b64 exec, exec, s[60:61]
	v_cmp_gt_u32_e32 vcc, 32, v11
	v_cndmask_b32_e64 v11, 0, 1, vcc
	v_lshlrev_b32_e32 v11, 5, v11
	v_add_lshl_u32 v25, v11, v5, 2
	ds_bpermute_b32 v11, v25, v24
	s_waitcnt lgkmcnt(1)
	v_add_u32_e32 v26, 32, v5
	v_cmp_le_u32_e32 vcc, v26, v10
	s_and_saveexec_b64 s[60:61], vcc
	s_cbranch_execz .LBB99_174
; %bb.173:
	s_waitcnt lgkmcnt(0)
	v_cmp_gt_f16_e32 vcc, v6, v11
	v_and_b32_e32 v24, 1, v27
	v_mov_b32_e32 v28, 1
	v_mov_b32_e32 v5, 0
	v_cndmask_b32_e32 v10, v11, v6, vcc
	v_and_b32_sdwa v11, v11, v28 dst_sel:DWORD dst_unused:UNUSED_PAD src0_sel:WORD_1 src1_sel:DWORD
	v_cmp_eq_u32_e32 vcc, 1, v24
	v_cndmask_b32_e64 v34, v11, 1, vcc
	v_cmp_eq_u16_sdwa vcc, v27, v5 src0_sel:BYTE_0 src1_sel:DWORD
	v_cndmask_b32_e32 v6, v6, v10, vcc
.LBB99_174:
	s_or_b64 exec, exec, s[60:61]
	v_mov_b32_e32 v5, 0
	v_mov_b32_e32 v28, 2
	;; [unrolled: 1-line block ×3, first 2 shown]
	s_branch .LBB99_176
.LBB99_175:                             ;   in Loop: Header=BB99_176 Depth=1
	s_or_b64 exec, exec, s[60:61]
	v_cmp_gt_f16_e32 vcc, v27, v6
	v_cndmask_b32_e32 v6, v6, v27, vcc
	v_cmp_eq_u16_sdwa vcc, v24, v5 src0_sel:BYTE_0 src1_sel:DWORD
	v_and_b32_e32 v10, 1, v24
	v_cndmask_b32_e32 v6, v27, v6, vcc
	v_and_b32_e32 v11, 1, v11
	v_cmp_eq_u32_e32 vcc, 1, v10
	v_subrev_u32_e32 v4, 64, v4
	s_waitcnt lgkmcnt(0)
	v_cndmask_b32_e64 v34, v11, 1, vcc
.LBB99_176:                             ; =>This Loop Header: Depth=1
                                        ;     Child Loop BB99_179 Depth 2
	v_cmp_ne_u16_sdwa s[60:61], v7, v28 src0_sel:BYTE_0 src1_sel:DWORD
	v_cndmask_b32_e64 v7, 0, 1, s[60:61]
	;;#ASMSTART
	;;#ASMEND
	v_cmp_ne_u32_e32 vcc, 0, v7
	v_mov_b32_e32 v24, v34
	s_cmp_lg_u64 vcc, exec
	v_mov_b32_e32 v27, v6
	s_cbranch_scc1 .LBB99_195
; %bb.177:                              ;   in Loop: Header=BB99_176 Depth=1
	v_lshlrev_b64 v[6:7], 3, v[4:5]
	s_waitcnt lgkmcnt(0)
	v_mov_b32_e32 v11, s57
	v_add_co_u32_e32 v10, vcc, s56, v6
	v_addc_co_u32_e32 v11, vcc, v11, v7, vcc
	global_load_dwordx2 v[6:7], v[10:11], off glc
	s_waitcnt vmcnt(0)
	v_cmp_eq_u16_sdwa s[62:63], v7, v5 src0_sel:BYTE_0 src1_sel:DWORD
	s_and_saveexec_b64 s[60:61], s[62:63]
	s_cbranch_execz .LBB99_181
; %bb.178:                              ;   in Loop: Header=BB99_176 Depth=1
	s_mov_b64 s[62:63], 0
.LBB99_179:                             ;   Parent Loop BB99_176 Depth=1
                                        ; =>  This Inner Loop Header: Depth=2
	global_load_dwordx2 v[6:7], v[10:11], off glc
	s_waitcnt vmcnt(0)
	v_cmp_ne_u16_sdwa s[68:69], v7, v5 src0_sel:BYTE_0 src1_sel:DWORD
	s_or_b64 s[62:63], s[68:69], s[62:63]
	s_andn2_b64 exec, exec, s[62:63]
	s_cbranch_execnz .LBB99_179
; %bb.180:                              ;   in Loop: Header=BB99_176 Depth=1
	s_or_b64 exec, exec, s[62:63]
.LBB99_181:                             ;   in Loop: Header=BB99_176 Depth=1
	s_or_b64 exec, exec, s[60:61]
	v_cmp_eq_u16_sdwa s[60:61], v7, v28 src0_sel:BYTE_0 src1_sel:DWORD
	v_and_b32_e32 v10, s61, v9
	v_and_b32_e32 v34, 0xffffff, v6
	v_or_b32_e32 v10, 0x80000000, v10
	ds_bpermute_b32 v77, v3, v34
	v_and_b32_e32 v11, s60, v8
	v_ffbl_b32_e32 v10, v10
	v_add_u32_e32 v10, 32, v10
	v_ffbl_b32_e32 v11, v11
	v_min_u32_e32 v10, v11, v10
	v_lshrrev_b32_e32 v11, 16, v6
	v_cmp_le_u32_e32 vcc, v15, v10
	v_bfe_u32 v76, v6, 16, 8
	s_and_saveexec_b64 s[60:61], vcc
	s_cbranch_execz .LBB99_183
; %bb.182:                              ;   in Loop: Header=BB99_176 Depth=1
	v_and_b32_e32 v11, 0xff0000, v6
	s_waitcnt lgkmcnt(0)
	v_cmp_gt_f16_e32 vcc, v6, v77
	v_cndmask_b32_e32 v34, v77, v6, vcc
	v_cmp_eq_u32_e32 vcc, 0, v11
	v_and_b32_e32 v11, 0x10000, v11
	v_cndmask_b32_e32 v6, v6, v34, vcc
	v_and_b32_sdwa v34, v77, v29 dst_sel:DWORD dst_unused:UNUSED_PAD src0_sel:WORD_1 src1_sel:DWORD
	v_cmp_ne_u32_e32 vcc, 0, v11
	v_cndmask_b32_e64 v11, v34, 1, vcc
	v_lshlrev_b32_e32 v34, 16, v11
	v_or_b32_sdwa v34, v34, v6 dst_sel:DWORD dst_unused:UNUSED_PAD src0_sel:DWORD src1_sel:WORD_0
	v_mov_b32_e32 v76, v11
.LBB99_183:                             ;   in Loop: Header=BB99_176 Depth=1
	s_or_b64 exec, exec, s[60:61]
	s_waitcnt lgkmcnt(0)
	ds_bpermute_b32 v77, v16, v34
	v_cmp_le_u32_e32 vcc, v17, v10
	s_and_saveexec_b64 s[60:61], vcc
	s_cbranch_execz .LBB99_185
; %bb.184:                              ;   in Loop: Header=BB99_176 Depth=1
	s_waitcnt lgkmcnt(0)
	v_cmp_gt_f16_e32 vcc, v6, v77
	v_cndmask_b32_e32 v11, v77, v6, vcc
	v_cmp_eq_u16_e32 vcc, 0, v76
	v_cndmask_b32_e32 v6, v6, v11, vcc
	v_and_b32_e32 v11, 1, v76
	v_and_b32_sdwa v34, v77, v29 dst_sel:DWORD dst_unused:UNUSED_PAD src0_sel:WORD_1 src1_sel:DWORD
	v_cmp_eq_u32_e32 vcc, 1, v11
	v_cndmask_b32_e64 v11, v34, 1, vcc
	v_lshlrev_b32_e32 v34, 16, v11
	v_or_b32_sdwa v34, v34, v6 dst_sel:DWORD dst_unused:UNUSED_PAD src0_sel:DWORD src1_sel:WORD_0
	v_mov_b32_e32 v76, v11
.LBB99_185:                             ;   in Loop: Header=BB99_176 Depth=1
	s_or_b64 exec, exec, s[60:61]
	s_waitcnt lgkmcnt(0)
	ds_bpermute_b32 v77, v18, v34
	v_cmp_le_u32_e32 vcc, v19, v10
	s_and_saveexec_b64 s[60:61], vcc
	s_cbranch_execz .LBB99_187
; %bb.186:                              ;   in Loop: Header=BB99_176 Depth=1
	s_waitcnt lgkmcnt(0)
	v_cmp_gt_f16_e32 vcc, v6, v77
	v_cndmask_b32_e32 v11, v77, v6, vcc
	v_cmp_eq_u16_e32 vcc, 0, v76
	v_cndmask_b32_e32 v6, v6, v11, vcc
	v_and_b32_e32 v11, 1, v76
	v_and_b32_sdwa v34, v77, v29 dst_sel:DWORD dst_unused:UNUSED_PAD src0_sel:WORD_1 src1_sel:DWORD
	v_cmp_eq_u32_e32 vcc, 1, v11
	v_cndmask_b32_e64 v11, v34, 1, vcc
	v_lshlrev_b32_e32 v34, 16, v11
	v_or_b32_sdwa v34, v34, v6 dst_sel:DWORD dst_unused:UNUSED_PAD src0_sel:DWORD src1_sel:WORD_0
	v_mov_b32_e32 v76, v11
.LBB99_187:                             ;   in Loop: Header=BB99_176 Depth=1
	;; [unrolled: 20-line block ×3, first 2 shown]
	s_or_b64 exec, exec, s[60:61]
	s_waitcnt lgkmcnt(0)
	ds_bpermute_b32 v77, v22, v34
	v_cmp_le_u32_e32 vcc, v23, v10
	s_and_saveexec_b64 s[60:61], vcc
	s_xor_b64 s[60:61], exec, s[60:61]
	s_cbranch_execz .LBB99_191
; %bb.190:                              ;   in Loop: Header=BB99_176 Depth=1
	s_waitcnt lgkmcnt(0)
	v_cmp_gt_f16_e32 vcc, v6, v77
	v_cndmask_b32_e32 v11, v77, v6, vcc
	v_cmp_eq_u16_e32 vcc, 0, v76
	v_cndmask_b32_e32 v6, v6, v11, vcc
	v_and_b32_e32 v11, 1, v76
	v_and_b32_sdwa v34, v77, v29 dst_sel:DWORD dst_unused:UNUSED_PAD src0_sel:WORD_1 src1_sel:DWORD
	v_cmp_eq_u32_e32 vcc, 1, v11
	v_cndmask_b32_e64 v11, v34, 1, vcc
	v_lshlrev_b32_e32 v34, 16, v11
	v_or_b32_sdwa v34, v34, v6 dst_sel:DWORD dst_unused:UNUSED_PAD src0_sel:DWORD src1_sel:WORD_0
                                        ; implicit-def: $vgpr76
.LBB99_191:                             ;   in Loop: Header=BB99_176 Depth=1
	s_or_saveexec_b64 s[60:61], s[60:61]
	s_waitcnt lgkmcnt(0)
	v_mov_b32_e32 v77, v11
	s_xor_b64 exec, exec, s[60:61]
; %bb.192:                              ;   in Loop: Header=BB99_176 Depth=1
	v_mov_b32_e32 v77, v76
; %bb.193:                              ;   in Loop: Header=BB99_176 Depth=1
	s_or_b64 exec, exec, s[60:61]
	ds_bpermute_b32 v34, v25, v34
	v_cmp_le_u32_e32 vcc, v26, v10
	s_and_saveexec_b64 s[60:61], vcc
	s_cbranch_execz .LBB99_175
; %bb.194:                              ;   in Loop: Header=BB99_176 Depth=1
	s_waitcnt lgkmcnt(0)
	v_cmp_gt_f16_e32 vcc, v6, v34
	v_and_b32_e32 v11, 1, v77
	v_cndmask_b32_e32 v10, v34, v6, vcc
	v_lshrrev_b32_e32 v34, 16, v34
	v_cmp_eq_u32_e32 vcc, 1, v11
	v_cndmask_b32_e64 v11, v34, 1, vcc
	v_cmp_eq_u16_sdwa vcc, v77, v5 src0_sel:BYTE_0 src1_sel:DWORD
	v_cndmask_b32_e32 v6, v6, v10, vcc
	s_branch .LBB99_175
.LBB99_195:                             ;   in Loop: Header=BB99_176 Depth=1
                                        ; implicit-def: $vgpr34
                                        ; implicit-def: $vgpr6
	s_cbranch_execz .LBB99_176
; %bb.196:
	s_and_saveexec_b64 s[60:61], s[50:51]
	s_cbranch_execz .LBB99_198
; %bb.197:
	v_and_b32_e32 v3, 0xff0000, v2
	v_cmp_lt_f16_e32 vcc, v27, v2
	v_cndmask_b32_e32 v4, v27, v2, vcc
	v_cmp_eq_u32_e32 vcc, 0, v3
	s_mov_b32 s51, 0
	v_cndmask_b32_e32 v3, v2, v4, vcc
	v_and_b32_e32 v2, 0x10000, v2
	v_mov_b32_e32 v4, 1
	s_add_i32 s50, s6, 64
	v_and_b32_sdwa v4, v24, v4 dst_sel:WORD_1 dst_unused:UNUSED_PAD src0_sel:DWORD src1_sel:DWORD
	v_mov_b32_e32 v5, 0x10000
	v_cmp_eq_u32_e32 vcc, 0, v2
	s_lshl_b64 s[50:51], s[50:51], 3
	v_cndmask_b32_e32 v2, v5, v4, vcc
	s_add_u32 s50, s56, s50
	s_addc_u32 s51, s57, s51
	v_mov_b32_e32 v4, 0
	v_or_b32_sdwa v2, v2, v3 dst_sel:DWORD dst_unused:UNUSED_PAD src0_sel:DWORD src1_sel:WORD_0
	v_mov_b32_e32 v3, 2
	global_store_dwordx2 v4, v[2:3], s[50:51]
.LBB99_198:
	s_or_b64 exec, exec, s[60:61]
	v_cmp_eq_u32_e32 vcc, 0, v0
	s_and_b64 exec, exec, vcc
	s_cbranch_execz .LBB99_200
; %bb.199:
	v_mov_b32_e32 v2, 0
	ds_write_b16 v2, v27
	ds_write_b8 v2, v24 offset:2
.LBB99_200:
	s_or_b64 exec, exec, s[54:55]
	v_mov_b32_e32 v2, 0
	s_waitcnt lgkmcnt(0)
	; wave barrier
	s_waitcnt lgkmcnt(0)
	ds_read_u16 v3, v2
	v_and_b32_e32 v4, 0xff0000, v14
	s_waitcnt lgkmcnt(0)
	v_cmp_lt_f16_e32 vcc, v3, v14
	v_cndmask_b32_e32 v5, v3, v14, vcc
	v_cmp_eq_u32_e32 vcc, 0, v4
	v_cndmask_b32_e32 v4, v14, v5, vcc
	v_cmp_eq_u32_e32 vcc, 0, v0
	v_cndmask_b32_e32 v5, v4, v3, vcc
	v_cmp_lt_f16_e32 vcc, v5, v1
	v_cndmask_b32_e32 v3, v5, v1, vcc
	v_cmp_eq_u16_sdwa vcc, v37, v2 src0_sel:BYTE_0 src1_sel:DWORD
	v_cndmask_b32_e32 v4, v1, v3, vcc
	v_cmp_lt_f16_e32 vcc, v4, v30
	v_cndmask_b32_e32 v2, v4, v30, vcc
	v_cndmask_b32_e64 v6, v30, v2, s[2:3]
	v_cmp_lt_f16_e32 vcc, v6, v38
	v_cndmask_b32_e32 v2, v6, v38, vcc
	v_cndmask_b32_e64 v7, v38, v2, s[52:53]
	;; [unrolled: 3-line block ×22, first 2 shown]
	s_branch .LBB99_247
.LBB99_201:
	s_or_b64 exec, exec, s[60:61]
                                        ; implicit-def: $vgpr30
	s_and_saveexec_b64 s[2:3], s[54:55]
	s_cbranch_execz .LBB99_53
.LBB99_202:
	global_load_ushort v30, v[26:27], off offset:128
	s_or_b64 exec, exec, s[2:3]
                                        ; implicit-def: $vgpr31
	s_and_saveexec_b64 s[2:3], s[8:9]
	s_cbranch_execnz .LBB99_54
.LBB99_203:
	s_or_b64 exec, exec, s[2:3]
                                        ; implicit-def: $vgpr32
	s_and_saveexec_b64 s[2:3], s[10:11]
	s_cbranch_execz .LBB99_55
.LBB99_204:
	global_load_ushort v32, v[26:27], off offset:384
	s_or_b64 exec, exec, s[2:3]
                                        ; implicit-def: $vgpr33
	s_and_saveexec_b64 s[2:3], s[12:13]
	s_cbranch_execnz .LBB99_56
.LBB99_205:
	s_or_b64 exec, exec, s[2:3]
                                        ; implicit-def: $vgpr35
	s_and_saveexec_b64 s[2:3], s[14:15]
	s_cbranch_execz .LBB99_57
.LBB99_206:
	global_load_ushort v35, v[26:27], off offset:640
	s_or_b64 exec, exec, s[2:3]
                                        ; implicit-def: $vgpr36
	s_and_saveexec_b64 s[2:3], s[16:17]
	s_cbranch_execnz .LBB99_58
.LBB99_207:
	s_or_b64 exec, exec, s[2:3]
                                        ; implicit-def: $vgpr37
	s_and_saveexec_b64 s[2:3], s[18:19]
	s_cbranch_execz .LBB99_59
.LBB99_208:
	global_load_ushort v37, v[26:27], off offset:896
	s_or_b64 exec, exec, s[2:3]
                                        ; implicit-def: $vgpr38
	s_and_saveexec_b64 s[2:3], s[20:21]
	s_cbranch_execnz .LBB99_60
.LBB99_209:
	s_or_b64 exec, exec, s[2:3]
                                        ; implicit-def: $vgpr39
	s_and_saveexec_b64 s[2:3], s[22:23]
	s_cbranch_execz .LBB99_61
.LBB99_210:
	global_load_ushort v39, v[26:27], off offset:1152
	s_or_b64 exec, exec, s[2:3]
                                        ; implicit-def: $vgpr40
	s_and_saveexec_b64 s[2:3], s[24:25]
	s_cbranch_execnz .LBB99_62
.LBB99_211:
	s_or_b64 exec, exec, s[2:3]
                                        ; implicit-def: $vgpr41
	s_and_saveexec_b64 s[2:3], s[26:27]
	s_cbranch_execz .LBB99_63
.LBB99_212:
	global_load_ushort v41, v[26:27], off offset:1408
	s_or_b64 exec, exec, s[2:3]
                                        ; implicit-def: $vgpr42
	s_and_saveexec_b64 s[2:3], s[28:29]
	s_cbranch_execnz .LBB99_64
.LBB99_213:
	s_or_b64 exec, exec, s[2:3]
                                        ; implicit-def: $vgpr43
	s_and_saveexec_b64 s[2:3], s[30:31]
	s_cbranch_execz .LBB99_65
.LBB99_214:
	global_load_ushort v43, v[26:27], off offset:1664
	s_or_b64 exec, exec, s[2:3]
                                        ; implicit-def: $vgpr44
	s_and_saveexec_b64 s[2:3], s[34:35]
	s_cbranch_execnz .LBB99_66
.LBB99_215:
	s_or_b64 exec, exec, s[2:3]
                                        ; implicit-def: $vgpr45
	s_and_saveexec_b64 s[2:3], s[36:37]
	s_cbranch_execz .LBB99_67
.LBB99_216:
	global_load_ushort v45, v[26:27], off offset:1920
	s_or_b64 exec, exec, s[2:3]
                                        ; implicit-def: $vgpr46
	s_and_saveexec_b64 s[2:3], s[38:39]
	s_cbranch_execnz .LBB99_68
.LBB99_217:
	s_or_b64 exec, exec, s[2:3]
                                        ; implicit-def: $vgpr47
	s_and_saveexec_b64 s[2:3], s[40:41]
	s_cbranch_execz .LBB99_69
.LBB99_218:
	global_load_ushort v47, v[26:27], off offset:2176
	s_or_b64 exec, exec, s[2:3]
                                        ; implicit-def: $vgpr48
	s_and_saveexec_b64 s[2:3], s[42:43]
	s_cbranch_execnz .LBB99_70
.LBB99_219:
	s_or_b64 exec, exec, s[2:3]
                                        ; implicit-def: $vgpr49
	s_and_saveexec_b64 s[2:3], s[44:45]
	s_cbranch_execz .LBB99_71
.LBB99_220:
	global_load_ushort v49, v[26:27], off offset:2432
	s_or_b64 exec, exec, s[2:3]
                                        ; implicit-def: $vgpr50
	s_and_saveexec_b64 s[2:3], s[46:47]
	s_cbranch_execnz .LBB99_72
.LBB99_221:
	s_or_b64 exec, exec, s[2:3]
                                        ; implicit-def: $vgpr51
	s_and_saveexec_b64 s[2:3], s[48:49]
	s_cbranch_execz .LBB99_73
.LBB99_222:
	global_load_ushort v51, v[26:27], off offset:2688
	s_or_b64 exec, exec, s[2:3]
                                        ; implicit-def: $vgpr52
	s_and_saveexec_b64 s[2:3], s[50:51]
	s_cbranch_execz .LBB99_75
	s_branch .LBB99_74
.LBB99_223:
                                        ; implicit-def: $vgpr29
                                        ; implicit-def: $vgpr28
                                        ; implicit-def: $vgpr5
                                        ; implicit-def: $vgpr27
                                        ; implicit-def: $vgpr26
                                        ; implicit-def: $vgpr4
                                        ; implicit-def: $vgpr25
                                        ; implicit-def: $vgpr24
                                        ; implicit-def: $vgpr6
                                        ; implicit-def: $vgpr22
                                        ; implicit-def: $vgpr20
                                        ; implicit-def: $vgpr7
                                        ; implicit-def: $vgpr23
                                        ; implicit-def: $vgpr21
                                        ; implicit-def: $vgpr8
                                        ; implicit-def: $vgpr19
                                        ; implicit-def: $vgpr18
                                        ; implicit-def: $vgpr9
                                        ; implicit-def: $vgpr17
                                        ; implicit-def: $vgpr16
                                        ; implicit-def: $vgpr10
                                        ; implicit-def: $vgpr14
                                        ; implicit-def: $vgpr11
                                        ; implicit-def: $vgpr15
	s_cbranch_execz .LBB99_247
; %bb.224:
	s_cmp_eq_u64 s[66:67], 0
	v_mov_b32_e32 v2, s7
	s_cbranch_scc1 .LBB99_226
; %bb.225:
	v_mov_b32_e32 v2, 0
	global_load_ushort v2, v2, s[66:67]
.LBB99_226:
	v_mov_b32_e32 v3, 0
	v_cmp_eq_u16_sdwa vcc, v40, v3 src0_sel:BYTE_0 src1_sel:DWORD
	v_cmp_ne_u16_sdwa s[2:3], v40, v3 src0_sel:BYTE_0 src1_sel:DWORD
                                        ; implicit-def: $vgpr3
	s_and_saveexec_b64 s[6:7], s[2:3]
	s_xor_b64 s[2:3], exec, s[6:7]
; %bb.227:
	v_mov_b32_e32 v3, v30
; %bb.228:
	s_andn2_saveexec_b64 s[6:7], s[2:3]
; %bb.229:
	v_cmp_gt_f16_e64 s[2:3], v30, v1
	v_cndmask_b32_e64 v3, v1, v30, s[2:3]
; %bb.230:
	s_or_b64 exec, exec, s[6:7]
	v_mov_b32_e32 v4, 0
	v_cmp_lt_f16_e64 s[2:3], v3, v38
	v_cndmask_b32_e64 v3, v3, v38, s[2:3]
	v_cmp_eq_u16_sdwa s[2:3], v41, v4 src0_sel:BYTE_0 src1_sel:DWORD
	v_cndmask_b32_e64 v3, v38, v3, s[2:3]
	v_cmp_lt_f16_e64 s[6:7], v3, v39
	v_cndmask_b32_e64 v3, v3, v39, s[6:7]
	v_cmp_eq_u16_sdwa s[6:7], v42, v4 src0_sel:BYTE_0 src1_sel:DWORD
	v_cndmask_b32_e64 v3, v39, v3, s[6:7]
	v_cmp_lt_f16_e64 s[8:9], v3, v43
	v_cndmask_b32_e64 v3, v3, v43, s[8:9]
	v_cmp_eq_u16_sdwa s[8:9], v44, v4 src0_sel:BYTE_0 src1_sel:DWORD
	v_cndmask_b32_e64 v3, v43, v3, s[8:9]
	v_cmp_lt_f16_e64 s[10:11], v3, v32
	v_cndmask_b32_e64 v3, v3, v32, s[10:11]
	v_cmp_eq_u16_sdwa s[10:11], v45, v4 src0_sel:BYTE_0 src1_sel:DWORD
	v_cndmask_b32_e64 v3, v32, v3, s[10:11]
	v_cmp_lt_f16_e64 s[12:13], v3, v63
	v_cndmask_b32_e64 v3, v3, v63, s[12:13]
	v_cmp_eq_u16_sdwa s[12:13], v46, v4 src0_sel:BYTE_0 src1_sel:DWORD
	v_cndmask_b32_e64 v3, v63, v3, s[12:13]
	v_cmp_lt_f16_e64 s[14:15], v3, v33
	v_cndmask_b32_e64 v3, v3, v33, s[14:15]
	v_cmp_eq_u16_sdwa s[14:15], v48, v4 src0_sel:BYTE_0 src1_sel:DWORD
	v_cndmask_b32_e64 v3, v33, v3, s[14:15]
	v_cmp_lt_f16_e64 s[16:17], v3, v64
	v_cndmask_b32_e64 v3, v3, v64, s[16:17]
	v_cmp_eq_u16_sdwa s[16:17], v52, v4 src0_sel:BYTE_0 src1_sel:DWORD
	v_cndmask_b32_e64 v3, v64, v3, s[16:17]
	v_cmp_lt_f16_e64 s[18:19], v3, v65
	v_cndmask_b32_e64 v3, v3, v65, s[18:19]
	v_cmp_eq_u16_sdwa s[18:19], v54, v4 src0_sel:BYTE_0 src1_sel:DWORD
	v_cndmask_b32_e64 v3, v65, v3, s[18:19]
	v_cmp_lt_f16_e64 s[20:21], v3, v66
	v_cndmask_b32_e64 v3, v3, v66, s[20:21]
	v_cmp_eq_u16_sdwa s[22:23], v56, v4 src0_sel:BYTE_0 src1_sel:DWORD
	v_cndmask_b32_e64 v3, v66, v3, s[22:23]
	v_cmp_lt_f16_e64 s[20:21], v3, v67
	v_cndmask_b32_e64 v3, v3, v67, s[20:21]
	v_cmp_eq_u16_sdwa s[24:25], v58, v4 src0_sel:BYTE_0 src1_sel:DWORD
	v_cndmask_b32_e64 v3, v67, v3, s[24:25]
	v_cmp_lt_f16_e64 s[20:21], v3, v68
	v_cndmask_b32_e64 v3, v3, v68, s[20:21]
	v_cmp_eq_u16_sdwa s[26:27], v61, v4 src0_sel:BYTE_0 src1_sel:DWORD
	v_cndmask_b32_e64 v3, v68, v3, s[26:27]
	v_cmp_lt_f16_e64 s[20:21], v3, v69
	v_cndmask_b32_e64 v3, v3, v69, s[20:21]
	v_cmp_eq_u16_sdwa s[28:29], v60, v4 src0_sel:BYTE_0 src1_sel:DWORD
	v_cndmask_b32_e64 v3, v69, v3, s[28:29]
	v_cmp_lt_f16_e64 s[20:21], v3, v70
	v_cndmask_b32_e64 v3, v3, v70, s[20:21]
	v_cmp_eq_u16_sdwa s[30:31], v62, v4 src0_sel:BYTE_0 src1_sel:DWORD
	v_cndmask_b32_e64 v3, v70, v3, s[30:31]
	v_cmp_lt_f16_e64 s[20:21], v3, v71
	v_cndmask_b32_e64 v3, v3, v71, s[20:21]
	v_cmp_eq_u16_sdwa s[34:35], v59, v4 src0_sel:BYTE_0 src1_sel:DWORD
	v_cndmask_b32_e64 v3, v71, v3, s[34:35]
	v_cmp_lt_f16_e64 s[20:21], v3, v72
	v_cndmask_b32_e64 v3, v3, v72, s[20:21]
	v_cmp_eq_u16_sdwa s[36:37], v57, v4 src0_sel:BYTE_0 src1_sel:DWORD
	v_cndmask_b32_e64 v3, v72, v3, s[36:37]
	v_cmp_lt_f16_e64 s[20:21], v3, v73
	v_cndmask_b32_e64 v3, v3, v73, s[20:21]
	v_cmp_eq_u16_sdwa s[38:39], v55, v4 src0_sel:BYTE_0 src1_sel:DWORD
	v_cndmask_b32_e64 v3, v73, v3, s[38:39]
	v_cmp_lt_f16_e64 s[20:21], v3, v74
	v_cndmask_b32_e64 v3, v3, v74, s[20:21]
	v_cmp_eq_u16_sdwa s[40:41], v53, v4 src0_sel:BYTE_0 src1_sel:DWORD
	v_cndmask_b32_e64 v3, v74, v3, s[40:41]
	v_cmp_lt_f16_e64 s[20:21], v3, v35
	v_cndmask_b32_e64 v3, v3, v35, s[20:21]
	v_cmp_eq_u16_sdwa s[42:43], v51, v4 src0_sel:BYTE_0 src1_sel:DWORD
	v_cndmask_b32_e64 v3, v35, v3, s[42:43]
	v_cmp_lt_f16_e64 s[20:21], v3, v75
	v_cndmask_b32_e64 v3, v3, v75, s[20:21]
	v_cmp_eq_u16_sdwa s[44:45], v50, v4 src0_sel:BYTE_0 src1_sel:DWORD
	v_cndmask_b32_e64 v3, v75, v3, s[44:45]
	v_cmp_lt_f16_e64 s[20:21], v3, v36
	v_cndmask_b32_e64 v3, v3, v36, s[20:21]
	v_cmp_eq_u16_sdwa s[46:47], v49, v4 src0_sel:BYTE_0 src1_sel:DWORD
	v_cndmask_b32_e64 v3, v36, v3, s[46:47]
	v_cmp_lt_f16_e64 s[20:21], v3, v31
	v_cndmask_b32_e64 v3, v3, v31, s[20:21]
	v_cmp_eq_u16_sdwa s[20:21], v47, v4 src0_sel:BYTE_0 src1_sel:DWORD
	v_cndmask_b32_e64 v3, v31, v3, s[20:21]
	v_cmp_lt_f16_e64 s[48:49], v3, v13
	v_cndmask_b32_e64 v3, v3, v13, s[48:49]
	v_cmp_eq_u16_sdwa s[48:49], v12, v4 src0_sel:BYTE_0 src1_sel:DWORD
	v_or_b32_e32 v4, v12, v47
	v_or_b32_e32 v4, v4, v49
	;; [unrolled: 1-line block ×22, first 2 shown]
	v_and_b32_e32 v4, 1, v4
	v_cndmask_b32_e64 v3, v13, v3, s[48:49]
	v_cmp_eq_u32_e64 s[48:49], 1, v4
	v_cndmask_b32_e64 v5, v37, 1, s[48:49]
	v_mbcnt_lo_u32_b32 v4, -1, 0
	v_mbcnt_hi_u32_b32 v4, -1, v4
	v_and_b32_e32 v9, 0xff, v5
	v_and_b32_e32 v6, 0xffff, v3
	;; [unrolled: 1-line block ×3, first 2 shown]
	v_lshl_or_b32 v7, v9, 16, v6
	v_cmp_ne_u32_e64 s[48:49], 0, v8
	s_nop 0
	v_mov_b32_dpp v6, v7 row_shr:1 row_mask:0xf bank_mask:0xf
	s_and_saveexec_b64 s[50:51], s[48:49]
	s_xor_b64 s[50:51], exec, s[50:51]
; %bb.231:
	v_cmp_gt_f16_e64 s[48:49], v3, v6
	v_cndmask_b32_e64 v7, v6, v3, s[48:49]
	v_cmp_eq_u16_e64 s[48:49], 0, v9
	v_cndmask_b32_e64 v3, v3, v7, s[48:49]
	v_and_b32_e32 v5, 1, v5
	v_mov_b32_e32 v7, 1
	v_and_b32_sdwa v6, v6, v7 dst_sel:DWORD dst_unused:UNUSED_PAD src0_sel:WORD_1 src1_sel:DWORD
	v_cmp_eq_u32_e64 s[48:49], 1, v5
	v_cndmask_b32_e64 v5, v6, 1, s[48:49]
	v_lshlrev_b32_e32 v6, 16, v5
	v_or_b32_sdwa v7, v6, v3 dst_sel:DWORD dst_unused:UNUSED_PAD src0_sel:DWORD src1_sel:WORD_0
; %bb.232:
	s_or_b64 exec, exec, s[50:51]
	v_lshrrev_b32_e32 v6, 16, v7
	v_mov_b32_dpp v9, v7 row_shr:2 row_mask:0xf bank_mask:0xf
	v_cmp_lt_u32_e64 s[48:49], 1, v8
	s_and_saveexec_b64 s[50:51], s[48:49]
	s_cbranch_execz .LBB99_234
; %bb.233:
	s_mov_b32 s52, 0x10000
	v_cmp_gt_f16_e64 s[48:49], v3, v9
	v_cndmask_b32_e64 v5, v9, v3, s[48:49]
	v_cmp_gt_u32_e64 s[48:49], s52, v7
	v_cndmask_b32_e64 v3, v3, v5, s[48:49]
	v_and_b32_e32 v5, 0x10000, v7
	v_mov_b32_e32 v6, 1
	v_and_b32_sdwa v6, v9, v6 dst_sel:DWORD dst_unused:UNUSED_PAD src0_sel:WORD_1 src1_sel:DWORD
	v_cmp_ne_u32_e64 s[48:49], 0, v5
	v_cndmask_b32_e64 v5, v6, 1, s[48:49]
	v_lshlrev_b32_e32 v6, 16, v5
	v_or_b32_sdwa v7, v6, v3 dst_sel:DWORD dst_unused:UNUSED_PAD src0_sel:DWORD src1_sel:WORD_0
	v_mov_b32_e32 v6, v5
.LBB99_234:
	s_or_b64 exec, exec, s[50:51]
	v_mov_b32_dpp v9, v7 row_shr:4 row_mask:0xf bank_mask:0xf
	v_cmp_lt_u32_e64 s[48:49], 3, v8
	s_and_saveexec_b64 s[50:51], s[48:49]
	s_cbranch_execz .LBB99_236
; %bb.235:
	v_cmp_gt_f16_e64 s[48:49], v3, v9
	v_cndmask_b32_e64 v5, v9, v3, s[48:49]
	v_cmp_eq_u16_e64 s[48:49], 0, v6
	v_cndmask_b32_e64 v3, v3, v5, s[48:49]
	v_and_b32_e32 v5, 1, v6
	v_mov_b32_e32 v6, 1
	v_and_b32_sdwa v6, v9, v6 dst_sel:DWORD dst_unused:UNUSED_PAD src0_sel:WORD_1 src1_sel:DWORD
	v_cmp_eq_u32_e64 s[48:49], 1, v5
	v_cndmask_b32_e64 v5, v6, 1, s[48:49]
	v_lshlrev_b32_e32 v6, 16, v5
	v_or_b32_sdwa v7, v6, v3 dst_sel:DWORD dst_unused:UNUSED_PAD src0_sel:DWORD src1_sel:WORD_0
	v_mov_b32_e32 v6, v5
.LBB99_236:
	s_or_b64 exec, exec, s[50:51]
	v_mov_b32_dpp v9, v7 row_shr:8 row_mask:0xf bank_mask:0xf
	v_cmp_lt_u32_e64 s[48:49], 7, v8
	s_and_saveexec_b64 s[50:51], s[48:49]
	s_cbranch_execz .LBB99_238
; %bb.237:
	v_cmp_gt_f16_e64 s[48:49], v3, v9
	v_cndmask_b32_e64 v5, v9, v3, s[48:49]
	v_cmp_eq_u16_e64 s[48:49], 0, v6
	v_cndmask_b32_e64 v3, v3, v5, s[48:49]
	v_and_b32_e32 v5, 1, v6
	v_mov_b32_e32 v6, 1
	v_and_b32_sdwa v6, v9, v6 dst_sel:DWORD dst_unused:UNUSED_PAD src0_sel:WORD_1 src1_sel:DWORD
	v_cmp_eq_u32_e64 s[48:49], 1, v5
	v_cndmask_b32_e64 v5, v6, 1, s[48:49]
	v_lshlrev_b32_e32 v6, 16, v5
	v_or_b32_sdwa v7, v6, v3 dst_sel:DWORD dst_unused:UNUSED_PAD src0_sel:DWORD src1_sel:WORD_0
	v_mov_b32_e32 v6, v5
.LBB99_238:
	s_or_b64 exec, exec, s[50:51]
	v_and_b32_e32 v9, 16, v4
	v_mov_b32_dpp v8, v7 row_bcast:15 row_mask:0xf bank_mask:0xf
	v_cmp_ne_u32_e64 s[48:49], 0, v9
	s_and_saveexec_b64 s[50:51], s[48:49]
	s_cbranch_execz .LBB99_240
; %bb.239:
	v_cmp_gt_f16_e64 s[48:49], v3, v8
	v_cndmask_b32_e64 v5, v8, v3, s[48:49]
	v_cmp_eq_u16_e64 s[48:49], 0, v6
	v_cndmask_b32_e64 v3, v3, v5, s[48:49]
	v_and_b32_e32 v5, 1, v6
	v_mov_b32_e32 v6, 1
	v_and_b32_sdwa v6, v8, v6 dst_sel:DWORD dst_unused:UNUSED_PAD src0_sel:WORD_1 src1_sel:DWORD
	v_cmp_eq_u32_e64 s[48:49], 1, v5
	v_cndmask_b32_e64 v5, v6, 1, s[48:49]
	v_lshlrev_b32_e32 v6, 16, v5
	v_or_b32_sdwa v7, v6, v3 dst_sel:DWORD dst_unused:UNUSED_PAD src0_sel:DWORD src1_sel:WORD_0
	v_mov_b32_e32 v6, v5
.LBB99_240:
	s_or_b64 exec, exec, s[50:51]
	v_mov_b32_dpp v7, v7 row_bcast:31 row_mask:0xf bank_mask:0xf
	v_cmp_lt_u32_e64 s[48:49], 31, v4
	s_and_saveexec_b64 s[50:51], s[48:49]
; %bb.241:
	v_and_b32_e32 v5, 1, v6
	v_mov_b32_e32 v8, 1
	v_and_b32_sdwa v8, v7, v8 dst_sel:DWORD dst_unused:UNUSED_PAD src0_sel:WORD_1 src1_sel:DWORD
	v_cmp_eq_u32_e64 s[48:49], 1, v5
	v_cndmask_b32_e64 v5, v8, 1, s[48:49]
	v_cmp_gt_f16_e64 s[48:49], v3, v7
	v_cndmask_b32_e64 v7, v7, v3, s[48:49]
	v_cmp_eq_u16_e64 s[48:49], 0, v6
	v_cndmask_b32_e64 v3, v3, v7, s[48:49]
	v_mov_b32_e32 v6, v5
; %bb.242:
	s_or_b64 exec, exec, s[50:51]
	v_cmp_eq_u32_e64 s[48:49], 63, v0
	s_and_saveexec_b64 s[50:51], s[48:49]
	s_cbranch_execz .LBB99_244
; %bb.243:
	v_mov_b32_e32 v7, 0
	ds_write_b16 v7, v3
	ds_write_b8 v7, v6 offset:2
.LBB99_244:
	s_or_b64 exec, exec, s[50:51]
	v_mov_b32_e32 v12, 0
	s_waitcnt vmcnt(0)
	v_cmp_gt_f16_e64 s[48:49], v3, v2
	v_cndmask_b32_e64 v6, v2, v3, s[48:49]
	v_cmp_eq_u16_sdwa s[48:49], v5, v12 src0_sel:BYTE_0 src1_sel:DWORD
	v_and_b32_e32 v5, 1, v5
	v_cndmask_b32_e64 v3, v3, v6, s[48:49]
	v_mov_b32_e32 v6, 0x10000
	v_cmp_eq_u32_e64 s[48:49], 1, v5
	v_cndmask_b32_e64 v5, 0, v6, s[48:49]
	v_or_b32_sdwa v3, v5, v3 dst_sel:DWORD dst_unused:UNUSED_PAD src0_sel:DWORD src1_sel:WORD_0
	v_add_u32_e32 v5, -1, v4
	v_and_b32_e32 v6, 64, v4
	v_cmp_lt_i32_e64 s[48:49], v5, v6
	v_cndmask_b32_e64 v5, v5, v4, s[48:49]
	v_lshlrev_b32_e32 v5, 2, v5
	ds_bpermute_b32 v3, v5, v3
	v_cmp_eq_u32_e64 s[48:49], 0, v4
	v_cmp_eq_u32_e64 s[50:51], 0, v0
	s_or_b64 s[48:49], s[50:51], s[48:49]
	s_waitcnt lgkmcnt(0)
	v_cndmask_b32_e64 v5, v3, v2, s[48:49]
	v_cmp_lt_f16_e64 s[48:49], v5, v1
	v_cndmask_b32_e64 v3, v5, v1, s[48:49]
	v_cmp_eq_u16_sdwa s[48:49], v37, v12 src0_sel:BYTE_0 src1_sel:DWORD
	v_cndmask_b32_e64 v4, v1, v3, s[48:49]
	v_cmp_lt_f16_e64 s[48:49], v4, v30
	v_cndmask_b32_e64 v1, v4, v30, s[48:49]
	v_cndmask_b32_e32 v6, v30, v1, vcc
	v_cmp_lt_f16_e32 vcc, v6, v38
	v_cndmask_b32_e32 v1, v6, v38, vcc
	v_cndmask_b32_e64 v7, v38, v1, s[2:3]
	v_cmp_lt_f16_e32 vcc, v7, v39
	v_cndmask_b32_e32 v1, v7, v39, vcc
	v_cndmask_b32_e64 v8, v39, v1, s[6:7]
	;; [unrolled: 3-line block ×20, first 2 shown]
	v_cmp_lt_f16_e32 vcc, v28, v31
	v_cndmask_b32_e32 v1, v28, v31, vcc
	; wave barrier
	s_and_saveexec_b64 s[2:3], s[50:51]
	s_cbranch_execz .LBB99_246
; %bb.245:
	ds_read_u8 v3, v12 offset:2
	ds_read_u16 v5, v12
	v_mov_b32_e32 v33, 2
	s_waitcnt lgkmcnt(1)
	v_lshlrev_b32_e32 v13, 16, v3
	s_waitcnt lgkmcnt(0)
	v_cmp_gt_f16_e32 vcc, v5, v2
	v_cndmask_b32_e32 v29, v2, v5, vcc
	v_cmp_eq_u32_e32 vcc, 0, v3
	v_cndmask_b32_e32 v3, v5, v29, vcc
	v_or_b32_sdwa v32, v13, v3 dst_sel:DWORD dst_unused:UNUSED_PAD src0_sel:DWORD src1_sel:WORD_0
	v_mov_b32_e32 v5, v2
	global_store_dwordx2 v12, v[32:33], s[56:57] offset:512
.LBB99_246:
	s_or_b64 exec, exec, s[2:3]
	v_cndmask_b32_e64 v29, v31, v1, s[20:21]
.LBB99_247:
	s_load_dwordx2 s[2:3], s[4:5], 0x18
	v_mul_u32_u24_e32 v1, 24, v0
	v_lshlrev_b32_e32 v13, 1, v1
	v_lshlrev_b32_e32 v12, 1, v0
	s_waitcnt lgkmcnt(0)
	s_add_u32 s2, s2, s64
	s_addc_u32 s3, s3, s65
	s_and_b64 vcc, exec, s[0:1]
	s_cbranch_vccz .LBB99_295
; %bb.248:
	s_mov_b32 s0, 0x5040100
	v_perm_b32 v33, v15, v10, s0
	v_perm_b32 v32, v9, v8, s0
	;; [unrolled: 1-line block ×4, first 2 shown]
	s_waitcnt lgkmcnt(0)
	; wave barrier
	ds_write_b128 v13, v[30:33]
	v_perm_b32 v33, v23, v21, s0
	v_perm_b32 v32, v19, v18, s0
	;; [unrolled: 1-line block ×4, first 2 shown]
	ds_write_b128 v13, v[30:33] offset:16
	v_perm_b32 v33, v29, v28, s0
	v_perm_b32 v32, v27, v26, s0
	v_perm_b32 v31, v25, v24, s0
	v_perm_b32 v30, v22, v20, s0
	s_movk_i32 s0, 0xffd2
	v_mad_i32_i24 v2, v0, s0, v13
	ds_write_b128 v13, v[30:33] offset:32
	s_waitcnt lgkmcnt(0)
	; wave barrier
	s_waitcnt lgkmcnt(0)
	ds_read_u16 v52, v2 offset:128
	ds_read_u16 v51, v2 offset:256
	ds_read_u16 v50, v2 offset:384
	ds_read_u16 v49, v2 offset:512
	ds_read_u16 v48, v2 offset:640
	ds_read_u16 v47, v2 offset:768
	ds_read_u16 v46, v2 offset:896
	ds_read_u16 v45, v2 offset:1024
	ds_read_u16 v44, v2 offset:1152
	ds_read_u16 v43, v2 offset:1280
	ds_read_u16 v42, v2 offset:1408
	ds_read_u16 v41, v2 offset:1536
	ds_read_u16 v40, v2 offset:1664
	ds_read_u16 v39, v2 offset:1792
	ds_read_u16 v38, v2 offset:1920
	ds_read_u16 v37, v2 offset:2048
	ds_read_u16 v36, v2 offset:2176
	ds_read_u16 v35, v2 offset:2304
	ds_read_u16 v34, v2 offset:2432
	ds_read_u16 v33, v2 offset:2560
	ds_read_u16 v32, v2 offset:2688
	ds_read_u16 v31, v2 offset:2816
	ds_read_u16 v30, v2 offset:2944
	v_mov_b32_e32 v3, s3
	v_add_co_u32_e32 v2, vcc, s2, v12
	s_add_i32 s33, s33, s58
	v_addc_co_u32_e32 v3, vcc, 0, v3, vcc
	v_mov_b32_e32 v1, 0
	v_cmp_gt_u32_e32 vcc, s33, v0
	s_and_saveexec_b64 s[0:1], vcc
	s_cbranch_execz .LBB99_250
; %bb.249:
	v_mul_i32_i24_e32 v53, 0xffffffd2, v0
	v_add_u32_e32 v53, v13, v53
	ds_read_u16 v53, v53
	s_waitcnt lgkmcnt(0)
	global_store_short v[2:3], v53, off
.LBB99_250:
	s_or_b64 exec, exec, s[0:1]
	v_or_b32_e32 v53, 64, v0
	v_cmp_gt_u32_e32 vcc, s33, v53
	s_and_saveexec_b64 s[0:1], vcc
	s_cbranch_execz .LBB99_252
; %bb.251:
	s_waitcnt lgkmcnt(14)
	global_store_short v[2:3], v52, off offset:128
.LBB99_252:
	s_or_b64 exec, exec, s[0:1]
	s_waitcnt lgkmcnt(14)
	v_or_b32_e32 v52, 0x80, v0
	v_cmp_gt_u32_e32 vcc, s33, v52
	s_and_saveexec_b64 s[0:1], vcc
	s_cbranch_execz .LBB99_254
; %bb.253:
	global_store_short v[2:3], v51, off offset:256
.LBB99_254:
	s_or_b64 exec, exec, s[0:1]
	v_or_b32_e32 v51, 0xc0, v0
	v_cmp_gt_u32_e32 vcc, s33, v51
	s_and_saveexec_b64 s[0:1], vcc
	s_cbranch_execz .LBB99_256
; %bb.255:
	global_store_short v[2:3], v50, off offset:384
.LBB99_256:
	s_or_b64 exec, exec, s[0:1]
	;; [unrolled: 8-line block ×8, first 2 shown]
	v_or_b32_e32 v44, 0x280, v0
	v_cmp_gt_u32_e32 vcc, s33, v44
	s_and_saveexec_b64 s[0:1], vcc
	s_cbranch_execz .LBB99_270
; %bb.269:
	s_waitcnt lgkmcnt(13)
	global_store_short v[2:3], v43, off offset:1280
.LBB99_270:
	s_or_b64 exec, exec, s[0:1]
	s_waitcnt lgkmcnt(13)
	v_or_b32_e32 v43, 0x2c0, v0
	v_cmp_gt_u32_e32 vcc, s33, v43
	s_and_saveexec_b64 s[0:1], vcc
	s_cbranch_execz .LBB99_272
; %bb.271:
	s_waitcnt lgkmcnt(12)
	global_store_short v[2:3], v42, off offset:1408
.LBB99_272:
	s_or_b64 exec, exec, s[0:1]
	s_waitcnt lgkmcnt(12)
	;; [unrolled: 10-line block ×12, first 2 shown]
	v_or_b32_e32 v32, 0x580, v0
	v_cmp_gt_u32_e32 vcc, s33, v32
	s_and_saveexec_b64 s[0:1], vcc
	s_cbranch_execz .LBB99_294
; %bb.293:
	s_waitcnt lgkmcnt(1)
	global_store_short v[2:3], v31, off offset:2816
.LBB99_294:
	s_or_b64 exec, exec, s[0:1]
	v_or_b32_e32 v2, 0x5c0, v0
	v_cmp_gt_u32_e64 s[0:1], s33, v2
	s_branch .LBB99_297
.LBB99_295:
	s_mov_b64 s[0:1], 0
                                        ; implicit-def: $vgpr30
	s_cbranch_execz .LBB99_297
; %bb.296:
	s_mov_b32 s4, 0x5040100
	s_waitcnt lgkmcnt(0)
	v_perm_b32 v30, v4, v5, s4
	v_perm_b32 v5, v23, v21, s4
	;; [unrolled: 1-line block ×5, first 2 shown]
	s_waitcnt lgkmcnt(0)
	; wave barrier
	v_perm_b32 v33, v15, v10, s4
	v_perm_b32 v32, v9, v8, s4
	;; [unrolled: 1-line block ×3, first 2 shown]
	ds_write_b128 v13, v[2:5] offset:16
	v_perm_b32 v5, v29, v28, s4
	v_perm_b32 v4, v27, v26, s4
	;; [unrolled: 1-line block ×4, first 2 shown]
	s_movk_i32 s4, 0xffd2
	ds_write_b128 v13, v[2:5] offset:32
	v_mad_i32_i24 v2, v0, s4, v13
	ds_write_b128 v13, v[30:33]
	s_waitcnt lgkmcnt(0)
	; wave barrier
	s_waitcnt lgkmcnt(0)
	ds_read_u16 v3, v2
	ds_read_u16 v4, v2 offset:128
	ds_read_u16 v5, v2 offset:256
	;; [unrolled: 1-line block ×23, first 2 shown]
	v_mov_b32_e32 v1, 0
	s_or_b64 s[0:1], s[0:1], exec
	s_waitcnt lgkmcnt(14)
	global_store_short v12, v3, s[2:3]
	global_store_short v12, v4, s[2:3] offset:128
	global_store_short v12, v5, s[2:3] offset:256
	;; [unrolled: 1-line block ×9, first 2 shown]
	s_waitcnt lgkmcnt(13)
	global_store_short v12, v14, s[2:3] offset:1280
	s_waitcnt lgkmcnt(12)
	global_store_short v12, v15, s[2:3] offset:1408
	;; [unrolled: 2-line block ×13, first 2 shown]
.LBB99_297:
	s_and_saveexec_b64 s[4:5], s[0:1]
	s_cbranch_execz .LBB99_299
; %bb.298:
	v_lshlrev_b64 v[0:1], 1, v[0:1]
	v_mov_b32_e32 v2, s3
	v_add_co_u32_e32 v0, vcc, s2, v0
	v_addc_co_u32_e32 v1, vcc, v2, v1, vcc
	s_waitcnt lgkmcnt(0)
	global_store_short v[0:1], v30, off offset:2944
	s_endpgm
.LBB99_299:
	s_endpgm
	.section	.rodata,"a",@progbits
	.p2align	6, 0x0
	.amdhsa_kernel _ZN7rocprim6detail25device_scan_by_key_kernelILNS0_25lookback_scan_determinismE0ELb1ENS0_26wrapped_scan_by_key_configINS_14default_configEi6__halfEEPiN6hipcub22TransformInputIteratorIS5_NS8_6CastOpIS5_EEPS5_lEESC_S5_NS8_8EqualityENS8_3MaxENS0_19lookback_scan_stateINS_5tupleIJS5_bEEELb0ELb1EEES5_EEvT2_T3_T4_T5_T6_T7_T8_mmmPKNSH_IJT9_bEEE
		.amdhsa_group_segment_fixed_size 6656
		.amdhsa_private_segment_fixed_size 0
		.amdhsa_kernarg_size 80
		.amdhsa_user_sgpr_count 6
		.amdhsa_user_sgpr_private_segment_buffer 1
		.amdhsa_user_sgpr_dispatch_ptr 0
		.amdhsa_user_sgpr_queue_ptr 0
		.amdhsa_user_sgpr_kernarg_segment_ptr 1
		.amdhsa_user_sgpr_dispatch_id 0
		.amdhsa_user_sgpr_flat_scratch_init 0
		.amdhsa_user_sgpr_kernarg_preload_length 0
		.amdhsa_user_sgpr_kernarg_preload_offset 0
		.amdhsa_user_sgpr_private_segment_size 0
		.amdhsa_uses_dynamic_stack 0
		.amdhsa_system_sgpr_private_segment_wavefront_offset 0
		.amdhsa_system_sgpr_workgroup_id_x 1
		.amdhsa_system_sgpr_workgroup_id_y 0
		.amdhsa_system_sgpr_workgroup_id_z 0
		.amdhsa_system_sgpr_workgroup_info 0
		.amdhsa_system_vgpr_workitem_id 0
		.amdhsa_next_free_vgpr 79
		.amdhsa_next_free_sgpr 75
		.amdhsa_accum_offset 80
		.amdhsa_reserve_vcc 1
		.amdhsa_reserve_flat_scratch 0
		.amdhsa_float_round_mode_32 0
		.amdhsa_float_round_mode_16_64 0
		.amdhsa_float_denorm_mode_32 3
		.amdhsa_float_denorm_mode_16_64 3
		.amdhsa_dx10_clamp 1
		.amdhsa_ieee_mode 1
		.amdhsa_fp16_overflow 0
		.amdhsa_tg_split 0
		.amdhsa_exception_fp_ieee_invalid_op 0
		.amdhsa_exception_fp_denorm_src 0
		.amdhsa_exception_fp_ieee_div_zero 0
		.amdhsa_exception_fp_ieee_overflow 0
		.amdhsa_exception_fp_ieee_underflow 0
		.amdhsa_exception_fp_ieee_inexact 0
		.amdhsa_exception_int_div_zero 0
	.end_amdhsa_kernel
	.section	.text._ZN7rocprim6detail25device_scan_by_key_kernelILNS0_25lookback_scan_determinismE0ELb1ENS0_26wrapped_scan_by_key_configINS_14default_configEi6__halfEEPiN6hipcub22TransformInputIteratorIS5_NS8_6CastOpIS5_EEPS5_lEESC_S5_NS8_8EqualityENS8_3MaxENS0_19lookback_scan_stateINS_5tupleIJS5_bEEELb0ELb1EEES5_EEvT2_T3_T4_T5_T6_T7_T8_mmmPKNSH_IJT9_bEEE,"axG",@progbits,_ZN7rocprim6detail25device_scan_by_key_kernelILNS0_25lookback_scan_determinismE0ELb1ENS0_26wrapped_scan_by_key_configINS_14default_configEi6__halfEEPiN6hipcub22TransformInputIteratorIS5_NS8_6CastOpIS5_EEPS5_lEESC_S5_NS8_8EqualityENS8_3MaxENS0_19lookback_scan_stateINS_5tupleIJS5_bEEELb0ELb1EEES5_EEvT2_T3_T4_T5_T6_T7_T8_mmmPKNSH_IJT9_bEEE,comdat
.Lfunc_end99:
	.size	_ZN7rocprim6detail25device_scan_by_key_kernelILNS0_25lookback_scan_determinismE0ELb1ENS0_26wrapped_scan_by_key_configINS_14default_configEi6__halfEEPiN6hipcub22TransformInputIteratorIS5_NS8_6CastOpIS5_EEPS5_lEESC_S5_NS8_8EqualityENS8_3MaxENS0_19lookback_scan_stateINS_5tupleIJS5_bEEELb0ELb1EEES5_EEvT2_T3_T4_T5_T6_T7_T8_mmmPKNSH_IJT9_bEEE, .Lfunc_end99-_ZN7rocprim6detail25device_scan_by_key_kernelILNS0_25lookback_scan_determinismE0ELb1ENS0_26wrapped_scan_by_key_configINS_14default_configEi6__halfEEPiN6hipcub22TransformInputIteratorIS5_NS8_6CastOpIS5_EEPS5_lEESC_S5_NS8_8EqualityENS8_3MaxENS0_19lookback_scan_stateINS_5tupleIJS5_bEEELb0ELb1EEES5_EEvT2_T3_T4_T5_T6_T7_T8_mmmPKNSH_IJT9_bEEE
                                        ; -- End function
	.section	.AMDGPU.csdata,"",@progbits
; Kernel info:
; codeLenInByte = 15624
; NumSgprs: 79
; NumVgprs: 79
; NumAgprs: 0
; TotalNumVgprs: 79
; ScratchSize: 0
; MemoryBound: 0
; FloatMode: 240
; IeeeMode: 1
; LDSByteSize: 6656 bytes/workgroup (compile time only)
; SGPRBlocks: 9
; VGPRBlocks: 9
; NumSGPRsForWavesPerEU: 79
; NumVGPRsForWavesPerEU: 79
; AccumOffset: 80
; Occupancy: 3
; WaveLimiterHint : 1
; COMPUTE_PGM_RSRC2:SCRATCH_EN: 0
; COMPUTE_PGM_RSRC2:USER_SGPR: 6
; COMPUTE_PGM_RSRC2:TRAP_HANDLER: 0
; COMPUTE_PGM_RSRC2:TGID_X_EN: 1
; COMPUTE_PGM_RSRC2:TGID_Y_EN: 0
; COMPUTE_PGM_RSRC2:TGID_Z_EN: 0
; COMPUTE_PGM_RSRC2:TIDIG_COMP_CNT: 0
; COMPUTE_PGM_RSRC3_GFX90A:ACCUM_OFFSET: 19
; COMPUTE_PGM_RSRC3_GFX90A:TG_SPLIT: 0
	.section	.text._ZN7rocprim6detail25device_scan_by_key_kernelILNS0_25lookback_scan_determinismE0ELb1ENS0_26wrapped_scan_by_key_configINS_14default_configEi12hip_bfloat16EEPiN6hipcub22TransformInputIteratorIS5_NS8_6CastOpIS5_EEPS5_lEESC_S5_NS8_8EqualityENS8_3SumENS0_19lookback_scan_stateINS_5tupleIJS5_bEEELb1ELb1EEES5_EEvT2_T3_T4_T5_T6_T7_T8_mmmPKNSH_IJT9_bEEE,"axG",@progbits,_ZN7rocprim6detail25device_scan_by_key_kernelILNS0_25lookback_scan_determinismE0ELb1ENS0_26wrapped_scan_by_key_configINS_14default_configEi12hip_bfloat16EEPiN6hipcub22TransformInputIteratorIS5_NS8_6CastOpIS5_EEPS5_lEESC_S5_NS8_8EqualityENS8_3SumENS0_19lookback_scan_stateINS_5tupleIJS5_bEEELb1ELb1EEES5_EEvT2_T3_T4_T5_T6_T7_T8_mmmPKNSH_IJT9_bEEE,comdat
	.protected	_ZN7rocprim6detail25device_scan_by_key_kernelILNS0_25lookback_scan_determinismE0ELb1ENS0_26wrapped_scan_by_key_configINS_14default_configEi12hip_bfloat16EEPiN6hipcub22TransformInputIteratorIS5_NS8_6CastOpIS5_EEPS5_lEESC_S5_NS8_8EqualityENS8_3SumENS0_19lookback_scan_stateINS_5tupleIJS5_bEEELb1ELb1EEES5_EEvT2_T3_T4_T5_T6_T7_T8_mmmPKNSH_IJT9_bEEE ; -- Begin function _ZN7rocprim6detail25device_scan_by_key_kernelILNS0_25lookback_scan_determinismE0ELb1ENS0_26wrapped_scan_by_key_configINS_14default_configEi12hip_bfloat16EEPiN6hipcub22TransformInputIteratorIS5_NS8_6CastOpIS5_EEPS5_lEESC_S5_NS8_8EqualityENS8_3SumENS0_19lookback_scan_stateINS_5tupleIJS5_bEEELb1ELb1EEES5_EEvT2_T3_T4_T5_T6_T7_T8_mmmPKNSH_IJT9_bEEE
	.globl	_ZN7rocprim6detail25device_scan_by_key_kernelILNS0_25lookback_scan_determinismE0ELb1ENS0_26wrapped_scan_by_key_configINS_14default_configEi12hip_bfloat16EEPiN6hipcub22TransformInputIteratorIS5_NS8_6CastOpIS5_EEPS5_lEESC_S5_NS8_8EqualityENS8_3SumENS0_19lookback_scan_stateINS_5tupleIJS5_bEEELb1ELb1EEES5_EEvT2_T3_T4_T5_T6_T7_T8_mmmPKNSH_IJT9_bEEE
	.p2align	8
	.type	_ZN7rocprim6detail25device_scan_by_key_kernelILNS0_25lookback_scan_determinismE0ELb1ENS0_26wrapped_scan_by_key_configINS_14default_configEi12hip_bfloat16EEPiN6hipcub22TransformInputIteratorIS5_NS8_6CastOpIS5_EEPS5_lEESC_S5_NS8_8EqualityENS8_3SumENS0_19lookback_scan_stateINS_5tupleIJS5_bEEELb1ELb1EEES5_EEvT2_T3_T4_T5_T6_T7_T8_mmmPKNSH_IJT9_bEEE,@function
_ZN7rocprim6detail25device_scan_by_key_kernelILNS0_25lookback_scan_determinismE0ELb1ENS0_26wrapped_scan_by_key_configINS_14default_configEi12hip_bfloat16EEPiN6hipcub22TransformInputIteratorIS5_NS8_6CastOpIS5_EEPS5_lEESC_S5_NS8_8EqualityENS8_3SumENS0_19lookback_scan_stateINS_5tupleIJS5_bEEELb1ELb1EEES5_EEvT2_T3_T4_T5_T6_T7_T8_mmmPKNSH_IJT9_bEEE: ; @_ZN7rocprim6detail25device_scan_by_key_kernelILNS0_25lookback_scan_determinismE0ELb1ENS0_26wrapped_scan_by_key_configINS_14default_configEi12hip_bfloat16EEPiN6hipcub22TransformInputIteratorIS5_NS8_6CastOpIS5_EEPS5_lEESC_S5_NS8_8EqualityENS8_3SumENS0_19lookback_scan_stateINS_5tupleIJS5_bEEELb1ELb1EEES5_EEvT2_T3_T4_T5_T6_T7_T8_mmmPKNSH_IJT9_bEEE
; %bb.0:
	s_endpgm
	.section	.rodata,"a",@progbits
	.p2align	6, 0x0
	.amdhsa_kernel _ZN7rocprim6detail25device_scan_by_key_kernelILNS0_25lookback_scan_determinismE0ELb1ENS0_26wrapped_scan_by_key_configINS_14default_configEi12hip_bfloat16EEPiN6hipcub22TransformInputIteratorIS5_NS8_6CastOpIS5_EEPS5_lEESC_S5_NS8_8EqualityENS8_3SumENS0_19lookback_scan_stateINS_5tupleIJS5_bEEELb1ELb1EEES5_EEvT2_T3_T4_T5_T6_T7_T8_mmmPKNSH_IJT9_bEEE
		.amdhsa_group_segment_fixed_size 0
		.amdhsa_private_segment_fixed_size 0
		.amdhsa_kernarg_size 80
		.amdhsa_user_sgpr_count 6
		.amdhsa_user_sgpr_private_segment_buffer 1
		.amdhsa_user_sgpr_dispatch_ptr 0
		.amdhsa_user_sgpr_queue_ptr 0
		.amdhsa_user_sgpr_kernarg_segment_ptr 1
		.amdhsa_user_sgpr_dispatch_id 0
		.amdhsa_user_sgpr_flat_scratch_init 0
		.amdhsa_user_sgpr_kernarg_preload_length 0
		.amdhsa_user_sgpr_kernarg_preload_offset 0
		.amdhsa_user_sgpr_private_segment_size 0
		.amdhsa_uses_dynamic_stack 0
		.amdhsa_system_sgpr_private_segment_wavefront_offset 0
		.amdhsa_system_sgpr_workgroup_id_x 1
		.amdhsa_system_sgpr_workgroup_id_y 0
		.amdhsa_system_sgpr_workgroup_id_z 0
		.amdhsa_system_sgpr_workgroup_info 0
		.amdhsa_system_vgpr_workitem_id 0
		.amdhsa_next_free_vgpr 1
		.amdhsa_next_free_sgpr 0
		.amdhsa_accum_offset 4
		.amdhsa_reserve_vcc 0
		.amdhsa_reserve_flat_scratch 0
		.amdhsa_float_round_mode_32 0
		.amdhsa_float_round_mode_16_64 0
		.amdhsa_float_denorm_mode_32 3
		.amdhsa_float_denorm_mode_16_64 3
		.amdhsa_dx10_clamp 1
		.amdhsa_ieee_mode 1
		.amdhsa_fp16_overflow 0
		.amdhsa_tg_split 0
		.amdhsa_exception_fp_ieee_invalid_op 0
		.amdhsa_exception_fp_denorm_src 0
		.amdhsa_exception_fp_ieee_div_zero 0
		.amdhsa_exception_fp_ieee_overflow 0
		.amdhsa_exception_fp_ieee_underflow 0
		.amdhsa_exception_fp_ieee_inexact 0
		.amdhsa_exception_int_div_zero 0
	.end_amdhsa_kernel
	.section	.text._ZN7rocprim6detail25device_scan_by_key_kernelILNS0_25lookback_scan_determinismE0ELb1ENS0_26wrapped_scan_by_key_configINS_14default_configEi12hip_bfloat16EEPiN6hipcub22TransformInputIteratorIS5_NS8_6CastOpIS5_EEPS5_lEESC_S5_NS8_8EqualityENS8_3SumENS0_19lookback_scan_stateINS_5tupleIJS5_bEEELb1ELb1EEES5_EEvT2_T3_T4_T5_T6_T7_T8_mmmPKNSH_IJT9_bEEE,"axG",@progbits,_ZN7rocprim6detail25device_scan_by_key_kernelILNS0_25lookback_scan_determinismE0ELb1ENS0_26wrapped_scan_by_key_configINS_14default_configEi12hip_bfloat16EEPiN6hipcub22TransformInputIteratorIS5_NS8_6CastOpIS5_EEPS5_lEESC_S5_NS8_8EqualityENS8_3SumENS0_19lookback_scan_stateINS_5tupleIJS5_bEEELb1ELb1EEES5_EEvT2_T3_T4_T5_T6_T7_T8_mmmPKNSH_IJT9_bEEE,comdat
.Lfunc_end100:
	.size	_ZN7rocprim6detail25device_scan_by_key_kernelILNS0_25lookback_scan_determinismE0ELb1ENS0_26wrapped_scan_by_key_configINS_14default_configEi12hip_bfloat16EEPiN6hipcub22TransformInputIteratorIS5_NS8_6CastOpIS5_EEPS5_lEESC_S5_NS8_8EqualityENS8_3SumENS0_19lookback_scan_stateINS_5tupleIJS5_bEEELb1ELb1EEES5_EEvT2_T3_T4_T5_T6_T7_T8_mmmPKNSH_IJT9_bEEE, .Lfunc_end100-_ZN7rocprim6detail25device_scan_by_key_kernelILNS0_25lookback_scan_determinismE0ELb1ENS0_26wrapped_scan_by_key_configINS_14default_configEi12hip_bfloat16EEPiN6hipcub22TransformInputIteratorIS5_NS8_6CastOpIS5_EEPS5_lEESC_S5_NS8_8EqualityENS8_3SumENS0_19lookback_scan_stateINS_5tupleIJS5_bEEELb1ELb1EEES5_EEvT2_T3_T4_T5_T6_T7_T8_mmmPKNSH_IJT9_bEEE
                                        ; -- End function
	.section	.AMDGPU.csdata,"",@progbits
; Kernel info:
; codeLenInByte = 4
; NumSgprs: 4
; NumVgprs: 0
; NumAgprs: 0
; TotalNumVgprs: 0
; ScratchSize: 0
; MemoryBound: 0
; FloatMode: 240
; IeeeMode: 1
; LDSByteSize: 0 bytes/workgroup (compile time only)
; SGPRBlocks: 0
; VGPRBlocks: 0
; NumSGPRsForWavesPerEU: 4
; NumVGPRsForWavesPerEU: 1
; AccumOffset: 4
; Occupancy: 8
; WaveLimiterHint : 0
; COMPUTE_PGM_RSRC2:SCRATCH_EN: 0
; COMPUTE_PGM_RSRC2:USER_SGPR: 6
; COMPUTE_PGM_RSRC2:TRAP_HANDLER: 0
; COMPUTE_PGM_RSRC2:TGID_X_EN: 1
; COMPUTE_PGM_RSRC2:TGID_Y_EN: 0
; COMPUTE_PGM_RSRC2:TGID_Z_EN: 0
; COMPUTE_PGM_RSRC2:TIDIG_COMP_CNT: 0
; COMPUTE_PGM_RSRC3_GFX90A:ACCUM_OFFSET: 0
; COMPUTE_PGM_RSRC3_GFX90A:TG_SPLIT: 0
	.section	.text._ZN7rocprim6detail25device_scan_by_key_kernelILNS0_25lookback_scan_determinismE0ELb1ENS0_26wrapped_scan_by_key_configINS_14default_configEi12hip_bfloat16EEPiN6hipcub22TransformInputIteratorIS5_NS8_6CastOpIS5_EEPS5_lEESC_S5_NS8_8EqualityENS8_3SumENS0_19lookback_scan_stateINS_5tupleIJS5_bEEELb0ELb1EEES5_EEvT2_T3_T4_T5_T6_T7_T8_mmmPKNSH_IJT9_bEEE,"axG",@progbits,_ZN7rocprim6detail25device_scan_by_key_kernelILNS0_25lookback_scan_determinismE0ELb1ENS0_26wrapped_scan_by_key_configINS_14default_configEi12hip_bfloat16EEPiN6hipcub22TransformInputIteratorIS5_NS8_6CastOpIS5_EEPS5_lEESC_S5_NS8_8EqualityENS8_3SumENS0_19lookback_scan_stateINS_5tupleIJS5_bEEELb0ELb1EEES5_EEvT2_T3_T4_T5_T6_T7_T8_mmmPKNSH_IJT9_bEEE,comdat
	.protected	_ZN7rocprim6detail25device_scan_by_key_kernelILNS0_25lookback_scan_determinismE0ELb1ENS0_26wrapped_scan_by_key_configINS_14default_configEi12hip_bfloat16EEPiN6hipcub22TransformInputIteratorIS5_NS8_6CastOpIS5_EEPS5_lEESC_S5_NS8_8EqualityENS8_3SumENS0_19lookback_scan_stateINS_5tupleIJS5_bEEELb0ELb1EEES5_EEvT2_T3_T4_T5_T6_T7_T8_mmmPKNSH_IJT9_bEEE ; -- Begin function _ZN7rocprim6detail25device_scan_by_key_kernelILNS0_25lookback_scan_determinismE0ELb1ENS0_26wrapped_scan_by_key_configINS_14default_configEi12hip_bfloat16EEPiN6hipcub22TransformInputIteratorIS5_NS8_6CastOpIS5_EEPS5_lEESC_S5_NS8_8EqualityENS8_3SumENS0_19lookback_scan_stateINS_5tupleIJS5_bEEELb0ELb1EEES5_EEvT2_T3_T4_T5_T6_T7_T8_mmmPKNSH_IJT9_bEEE
	.globl	_ZN7rocprim6detail25device_scan_by_key_kernelILNS0_25lookback_scan_determinismE0ELb1ENS0_26wrapped_scan_by_key_configINS_14default_configEi12hip_bfloat16EEPiN6hipcub22TransformInputIteratorIS5_NS8_6CastOpIS5_EEPS5_lEESC_S5_NS8_8EqualityENS8_3SumENS0_19lookback_scan_stateINS_5tupleIJS5_bEEELb0ELb1EEES5_EEvT2_T3_T4_T5_T6_T7_T8_mmmPKNSH_IJT9_bEEE
	.p2align	8
	.type	_ZN7rocprim6detail25device_scan_by_key_kernelILNS0_25lookback_scan_determinismE0ELb1ENS0_26wrapped_scan_by_key_configINS_14default_configEi12hip_bfloat16EEPiN6hipcub22TransformInputIteratorIS5_NS8_6CastOpIS5_EEPS5_lEESC_S5_NS8_8EqualityENS8_3SumENS0_19lookback_scan_stateINS_5tupleIJS5_bEEELb0ELb1EEES5_EEvT2_T3_T4_T5_T6_T7_T8_mmmPKNSH_IJT9_bEEE,@function
_ZN7rocprim6detail25device_scan_by_key_kernelILNS0_25lookback_scan_determinismE0ELb1ENS0_26wrapped_scan_by_key_configINS_14default_configEi12hip_bfloat16EEPiN6hipcub22TransformInputIteratorIS5_NS8_6CastOpIS5_EEPS5_lEESC_S5_NS8_8EqualityENS8_3SumENS0_19lookback_scan_stateINS_5tupleIJS5_bEEELb0ELb1EEES5_EEvT2_T3_T4_T5_T6_T7_T8_mmmPKNSH_IJT9_bEEE: ; @_ZN7rocprim6detail25device_scan_by_key_kernelILNS0_25lookback_scan_determinismE0ELb1ENS0_26wrapped_scan_by_key_configINS_14default_configEi12hip_bfloat16EEPiN6hipcub22TransformInputIteratorIS5_NS8_6CastOpIS5_EEPS5_lEESC_S5_NS8_8EqualityENS8_3SumENS0_19lookback_scan_stateINS_5tupleIJS5_bEEELb0ELb1EEES5_EEvT2_T3_T4_T5_T6_T7_T8_mmmPKNSH_IJT9_bEEE
; %bb.0:
	s_load_dwordx4 s[0:3], s[4:5], 0x0
	s_load_dword s76, s[4:5], 0x20
	s_load_dwordx8 s[56:63], s[4:5], 0x28
	s_load_dwordx2 s[66:67], s[4:5], 0x48
	s_mul_i32 s8, s6, 0x600
	s_mov_b32 s9, 0
	s_lshl_b64 s[10:11], s[8:9], 2
	s_waitcnt lgkmcnt(0)
	s_add_u32 s70, s0, s10
	s_addc_u32 s71, s1, s11
	s_lshl_b64 s[64:65], s[8:9], 1
	s_add_u32 s68, s2, s64
	s_addc_u32 s69, s3, s65
	s_add_u32 s0, s6, s60
	s_addc_u32 s1, 0, s61
	s_add_u32 s2, s62, -1
	s_addc_u32 s3, s63, -1
	v_pk_mov_b32 v[2:3], s[2:3], s[2:3] op_sel:[0,1]
	v_cmp_ge_u64_e64 s[0:1], s[0:1], v[2:3]
	s_mov_b64 s[8:9], -1
	s_and_b64 vcc, exec, s[0:1]
	s_mul_i32 s33, s2, 0xfffffa00
	v_lshlrev_b32_e32 v1, 2, v0
	s_cbranch_vccz .LBB101_126
; %bb.1:
	s_load_dword s59, s[70:71], 0x0
	s_add_i32 s7, s33, s58
	v_mov_b32_e32 v3, s71
	v_add_co_u32_e32 v2, vcc, s70, v1
	v_addc_co_u32_e32 v3, vcc, 0, v3, vcc
	v_cmp_gt_u32_e64 s[2:3], s7, v0
	s_waitcnt lgkmcnt(0)
	v_mov_b32_e32 v4, s59
	s_and_saveexec_b64 s[8:9], s[2:3]
	s_cbranch_execz .LBB101_3
; %bb.2:
	global_load_dword v4, v[2:3], off
.LBB101_3:
	s_or_b64 exec, exec, s[8:9]
	v_or_b32_e32 v5, 64, v0
	v_cmp_gt_u32_e64 s[54:55], s7, v5
	v_mov_b32_e32 v5, s59
	s_and_saveexec_b64 s[8:9], s[54:55]
	s_cbranch_execz .LBB101_5
; %bb.4:
	global_load_dword v5, v[2:3], off offset:256
.LBB101_5:
	s_or_b64 exec, exec, s[8:9]
	v_or_b32_e32 v6, 0x80, v0
	v_cmp_gt_u32_e64 s[8:9], s7, v6
	v_mov_b32_e32 v6, s59
	s_and_saveexec_b64 s[10:11], s[8:9]
	s_cbranch_execz .LBB101_7
; %bb.6:
	global_load_dword v6, v[2:3], off offset:512
.LBB101_7:
	;; [unrolled: 9-line block ×15, first 2 shown]
	s_or_b64 exec, exec, s[38:39]
	v_or_b32_e32 v20, 0x400, v0
	v_cmp_gt_u32_e64 s[38:39], s7, v20
	v_mov_b32_e32 v20, s59
	s_and_saveexec_b64 s[40:41], s[38:39]
	s_cbranch_execz .LBB101_35
; %bb.34:
	v_add_co_u32_e32 v20, vcc, 0x1000, v2
	v_addc_co_u32_e32 v21, vcc, 0, v3, vcc
	global_load_dword v20, v[20:21], off
.LBB101_35:
	s_or_b64 exec, exec, s[40:41]
	v_or_b32_e32 v21, 0x440, v0
	v_cmp_gt_u32_e64 s[40:41], s7, v21
	v_mov_b32_e32 v21, s59
	s_and_saveexec_b64 s[42:43], s[40:41]
	s_cbranch_execz .LBB101_37
; %bb.36:
	v_add_co_u32_e32 v22, vcc, 0x1000, v2
	v_addc_co_u32_e32 v23, vcc, 0, v3, vcc
	global_load_dword v21, v[22:23], off offset:256
.LBB101_37:
	s_or_b64 exec, exec, s[42:43]
	v_or_b32_e32 v22, 0x480, v0
	v_cmp_gt_u32_e64 s[42:43], s7, v22
	v_mov_b32_e32 v22, s59
	s_and_saveexec_b64 s[44:45], s[42:43]
	s_cbranch_execz .LBB101_39
; %bb.38:
	v_add_co_u32_e32 v22, vcc, 0x1000, v2
	v_addc_co_u32_e32 v23, vcc, 0, v3, vcc
	global_load_dword v22, v[22:23], off offset:512
.LBB101_39:
	;; [unrolled: 11-line block ×7, first 2 shown]
	s_or_b64 exec, exec, s[60:61]
	s_movk_i32 s59, 0x5c
	v_mad_u32_u24 v2, v0, s59, v1
	s_waitcnt vmcnt(0)
	ds_write2st64_b32 v1, v4, v5 offset1:1
	ds_write2st64_b32 v1, v6, v7 offset0:2 offset1:3
	ds_write2st64_b32 v1, v8, v9 offset0:4 offset1:5
	;; [unrolled: 1-line block ×11, first 2 shown]
	s_waitcnt lgkmcnt(0)
	; wave barrier
	s_waitcnt lgkmcnt(0)
	ds_read_b128 v[26:29], v2
	ds_read_b128 v[22:25], v2 offset:16
	ds_read_b128 v[18:21], v2 offset:32
	;; [unrolled: 1-line block ×5, first 2 shown]
	s_load_dword s59, s[70:71], 0x0
	s_movk_i32 s60, 0xffa4
	v_mad_i32_i24 v4, v0, s60, v2
	v_cmp_ne_u32_e32 vcc, 63, v0
	s_waitcnt lgkmcnt(0)
	ds_write_b32 v4, v26 offset:6400
	v_mov_b32_e32 v57, s59
	s_waitcnt lgkmcnt(0)
	; wave barrier
	s_waitcnt lgkmcnt(0)
	s_and_saveexec_b64 s[60:61], vcc
	s_cbranch_execz .LBB101_51
; %bb.50:
	ds_read_b32 v57, v1 offset:6404
.LBB101_51:
	s_or_b64 exec, exec, s[60:61]
	v_lshlrev_b32_e32 v5, 1, v0
	v_mov_b32_e32 v3, s69
	v_add_co_u32_e32 v2, vcc, s68, v5
	v_addc_co_u32_e32 v3, vcc, 0, v3, vcc
	s_waitcnt lgkmcnt(0)
	; wave barrier
	s_waitcnt lgkmcnt(0)
                                        ; implicit-def: $vgpr30
	s_and_saveexec_b64 s[60:61], s[2:3]
	s_cbranch_execz .LBB101_595
; %bb.52:
	global_load_ushort v30, v[2:3], off
	s_or_b64 exec, exec, s[60:61]
                                        ; implicit-def: $vgpr31
	s_and_saveexec_b64 s[2:3], s[54:55]
	s_cbranch_execnz .LBB101_596
.LBB101_53:
	s_or_b64 exec, exec, s[2:3]
                                        ; implicit-def: $vgpr32
	s_and_saveexec_b64 s[2:3], s[8:9]
	s_cbranch_execz .LBB101_597
.LBB101_54:
	global_load_ushort v32, v[2:3], off offset:256
	s_or_b64 exec, exec, s[2:3]
                                        ; implicit-def: $vgpr33
	s_and_saveexec_b64 s[2:3], s[10:11]
	s_cbranch_execnz .LBB101_598
.LBB101_55:
	s_or_b64 exec, exec, s[2:3]
                                        ; implicit-def: $vgpr34
	s_and_saveexec_b64 s[2:3], s[12:13]
	s_cbranch_execz .LBB101_599
.LBB101_56:
	global_load_ushort v34, v[2:3], off offset:512
	s_or_b64 exec, exec, s[2:3]
                                        ; implicit-def: $vgpr35
	s_and_saveexec_b64 s[2:3], s[14:15]
	s_cbranch_execnz .LBB101_600
.LBB101_57:
	s_or_b64 exec, exec, s[2:3]
                                        ; implicit-def: $vgpr36
	s_and_saveexec_b64 s[2:3], s[16:17]
	s_cbranch_execz .LBB101_601
.LBB101_58:
	global_load_ushort v36, v[2:3], off offset:768
	s_or_b64 exec, exec, s[2:3]
                                        ; implicit-def: $vgpr37
	s_and_saveexec_b64 s[2:3], s[18:19]
	s_cbranch_execnz .LBB101_602
.LBB101_59:
	s_or_b64 exec, exec, s[2:3]
                                        ; implicit-def: $vgpr38
	s_and_saveexec_b64 s[2:3], s[20:21]
	s_cbranch_execz .LBB101_603
.LBB101_60:
	global_load_ushort v38, v[2:3], off offset:1024
	s_or_b64 exec, exec, s[2:3]
                                        ; implicit-def: $vgpr39
	s_and_saveexec_b64 s[2:3], s[22:23]
	s_cbranch_execnz .LBB101_604
.LBB101_61:
	s_or_b64 exec, exec, s[2:3]
                                        ; implicit-def: $vgpr40
	s_and_saveexec_b64 s[2:3], s[24:25]
	s_cbranch_execz .LBB101_605
.LBB101_62:
	global_load_ushort v40, v[2:3], off offset:1280
	s_or_b64 exec, exec, s[2:3]
                                        ; implicit-def: $vgpr41
	s_and_saveexec_b64 s[2:3], s[26:27]
	s_cbranch_execnz .LBB101_606
.LBB101_63:
	s_or_b64 exec, exec, s[2:3]
                                        ; implicit-def: $vgpr42
	s_and_saveexec_b64 s[2:3], s[28:29]
	s_cbranch_execz .LBB101_607
.LBB101_64:
	global_load_ushort v42, v[2:3], off offset:1536
	s_or_b64 exec, exec, s[2:3]
                                        ; implicit-def: $vgpr43
	s_and_saveexec_b64 s[2:3], s[30:31]
	s_cbranch_execnz .LBB101_608
.LBB101_65:
	s_or_b64 exec, exec, s[2:3]
                                        ; implicit-def: $vgpr44
	s_and_saveexec_b64 s[2:3], s[34:35]
	s_cbranch_execz .LBB101_609
.LBB101_66:
	global_load_ushort v44, v[2:3], off offset:1792
	s_or_b64 exec, exec, s[2:3]
                                        ; implicit-def: $vgpr45
	s_and_saveexec_b64 s[2:3], s[36:37]
	s_cbranch_execnz .LBB101_610
.LBB101_67:
	s_or_b64 exec, exec, s[2:3]
                                        ; implicit-def: $vgpr46
	s_and_saveexec_b64 s[2:3], s[38:39]
	s_cbranch_execz .LBB101_611
.LBB101_68:
	global_load_ushort v46, v[2:3], off offset:2048
	s_or_b64 exec, exec, s[2:3]
                                        ; implicit-def: $vgpr47
	s_and_saveexec_b64 s[2:3], s[40:41]
	s_cbranch_execnz .LBB101_612
.LBB101_69:
	s_or_b64 exec, exec, s[2:3]
                                        ; implicit-def: $vgpr48
	s_and_saveexec_b64 s[2:3], s[42:43]
	s_cbranch_execz .LBB101_613
.LBB101_70:
	global_load_ushort v48, v[2:3], off offset:2304
	s_or_b64 exec, exec, s[2:3]
                                        ; implicit-def: $vgpr49
	s_and_saveexec_b64 s[2:3], s[44:45]
	s_cbranch_execnz .LBB101_614
.LBB101_71:
	s_or_b64 exec, exec, s[2:3]
                                        ; implicit-def: $vgpr50
	s_and_saveexec_b64 s[2:3], s[46:47]
	s_cbranch_execz .LBB101_615
.LBB101_72:
	global_load_ushort v50, v[2:3], off offset:2560
	s_or_b64 exec, exec, s[2:3]
                                        ; implicit-def: $vgpr51
	s_and_saveexec_b64 s[2:3], s[48:49]
	s_cbranch_execnz .LBB101_616
.LBB101_73:
	s_or_b64 exec, exec, s[2:3]
                                        ; implicit-def: $vgpr52
	s_and_saveexec_b64 s[2:3], s[50:51]
	s_cbranch_execz .LBB101_75
.LBB101_74:
	global_load_ushort v52, v[2:3], off offset:2816
.LBB101_75:
	s_or_b64 exec, exec, s[2:3]
	v_mul_u32_u24_e32 v58, 24, v0
                                        ; implicit-def: $vgpr53
	s_and_saveexec_b64 s[2:3], s[52:53]
	s_cbranch_execz .LBB101_77
; %bb.76:
	global_load_ushort v53, v[2:3], off offset:2944
.LBB101_77:
	s_or_b64 exec, exec, s[2:3]
	s_mov_b32 s2, 0
	v_sub_u32_e32 v2, v4, v5
	s_mov_b32 s3, s2
	s_waitcnt vmcnt(0)
	ds_write_b16 v2, v30
	ds_write_b16 v2, v31 offset:128
	ds_write_b16 v2, v32 offset:256
	;; [unrolled: 1-line block ×23, first 2 shown]
	v_cmp_gt_u32_e32 vcc, s7, v58
	s_mov_b64 s[8:9], 0
	v_pk_mov_b32 v[46:47], s[2:3], s[2:3] op_sel:[0,1]
	v_mov_b32_e32 v5, 0
	s_mov_b64 s[14:15], 0
	v_pk_mov_b32 v[54:55], s[2:3], s[2:3] op_sel:[0,1]
	v_pk_mov_b32 v[52:53], s[2:3], s[2:3] op_sel:[0,1]
	v_pk_mov_b32 v[50:51], s[2:3], s[2:3] op_sel:[0,1]
	v_pk_mov_b32 v[48:49], s[2:3], s[2:3] op_sel:[0,1]
	v_pk_mov_b32 v[44:45], s[2:3], s[2:3] op_sel:[0,1]
	v_pk_mov_b32 v[42:43], s[2:3], s[2:3] op_sel:[0,1]
	v_pk_mov_b32 v[40:41], s[2:3], s[2:3] op_sel:[0,1]
	v_pk_mov_b32 v[38:39], s[2:3], s[2:3] op_sel:[0,1]
	v_pk_mov_b32 v[36:37], s[2:3], s[2:3] op_sel:[0,1]
	v_pk_mov_b32 v[34:35], s[2:3], s[2:3] op_sel:[0,1]
	s_waitcnt lgkmcnt(0)
	; wave barrier
	s_waitcnt lgkmcnt(0)
                                        ; implicit-def: $sgpr12_sgpr13
                                        ; implicit-def: $vgpr56
	s_and_saveexec_b64 s[10:11], vcc
	s_cbranch_execz .LBB101_125
; %bb.78:
	v_mad_u32_u24 v3, v0, 46, v2
	ds_read_u16 v3, v3
	v_mov_b32_e32 v5, s76
	v_cmp_eq_u32_e32 vcc, v26, v27
	s_mov_b32 s20, 0
	v_or_b32_e32 v4, 1, v58
	s_waitcnt lgkmcnt(0)
	v_cndmask_b32_e32 v3, v5, v3, vcc
	v_cmp_ne_u32_e32 vcc, v26, v27
	v_and_b32_e32 v3, 0xffff, v3
	v_cndmask_b32_e64 v5, 0, 1, vcc
	v_mov_b32_e32 v34, 0
	s_mov_b32 s21, s20
	v_lshl_or_b32 v35, v5, 16, v3
	v_cmp_gt_u32_e32 vcc, s7, v4
	v_pk_mov_b32 v[46:47], s[20:21], s[20:21] op_sel:[0,1]
	v_pk_mov_b32 v[54:55], s[20:21], s[20:21] op_sel:[0,1]
	;; [unrolled: 1-line block ×10, first 2 shown]
	v_mov_b32_e32 v5, v34
                                        ; implicit-def: $sgpr18_sgpr19
                                        ; implicit-def: $vgpr56
	s_and_saveexec_b64 s[12:13], vcc
	s_cbranch_execz .LBB101_124
; %bb.79:
	v_mul_u32_u24_e32 v3, 46, v0
	v_add_u32_e32 v26, v2, v3
	ds_read_b128 v[30:33], v26 offset:2
	v_mov_b32_e32 v3, s76
	v_cmp_eq_u32_e32 vcc, v27, v28
	v_or_b32_e32 v2, 2, v58
	v_pk_mov_b32 v[46:47], s[20:21], s[20:21] op_sel:[0,1]
	s_waitcnt lgkmcnt(0)
	v_cndmask_b32_e32 v3, v3, v30, vcc
	v_cmp_ne_u32_e32 vcc, v27, v28
	v_and_b32_e32 v3, 0xffff, v3
	v_cndmask_b32_e64 v4, 0, 1, vcc
	v_lshl_or_b32 v34, v4, 16, v3
	v_cmp_gt_u32_e32 vcc, s7, v2
	s_mov_b64 s[16:17], 0
	v_mov_b32_e32 v5, 0
	v_pk_mov_b32 v[54:55], v[46:47], v[46:47] op_sel:[0,1]
	v_pk_mov_b32 v[52:53], v[46:47], v[46:47] op_sel:[0,1]
	;; [unrolled: 1-line block ×9, first 2 shown]
                                        ; implicit-def: $sgpr20_sgpr21
                                        ; implicit-def: $vgpr56
	s_and_saveexec_b64 s[14:15], vcc
	s_cbranch_execz .LBB101_123
; %bb.80:
	v_lshrrev_b32_e32 v2, 16, v30
	v_mov_b32_e32 v4, s76
	v_cmp_eq_u32_e32 vcc, v28, v29
	v_cndmask_b32_e32 v2, v4, v2, vcc
	v_cmp_ne_u32_e32 vcc, v28, v29
	s_mov_b32 s24, 0
	v_or_b32_e32 v3, 3, v58
	v_and_b32_e32 v2, 0xffff, v2
	v_cndmask_b32_e64 v4, 0, 1, vcc
	v_mov_b32_e32 v37, 0
	s_mov_b32 s25, s24
	v_lshl_or_b32 v36, v4, 16, v2
	v_cmp_gt_u32_e32 vcc, s7, v3
	s_mov_b64 s[18:19], 0
	v_pk_mov_b32 v[46:47], s[24:25], s[24:25] op_sel:[0,1]
	v_pk_mov_b32 v[54:55], s[24:25], s[24:25] op_sel:[0,1]
	;; [unrolled: 1-line block ×9, first 2 shown]
	v_mov_b32_e32 v5, v37
                                        ; implicit-def: $sgpr22_sgpr23
                                        ; implicit-def: $vgpr56
	s_and_saveexec_b64 s[16:17], vcc
	s_cbranch_execz .LBB101_122
; %bb.81:
	v_mov_b32_e32 v3, s76
	v_cmp_eq_u32_e32 vcc, v29, v22
	v_cndmask_b32_e32 v3, v3, v31, vcc
	v_cmp_ne_u32_e32 vcc, v29, v22
	v_or_b32_e32 v2, 4, v58
	v_and_b32_e32 v3, 0xffff, v3
	v_cndmask_b32_e64 v4, 0, 1, vcc
	v_pk_mov_b32 v[46:47], s[24:25], s[24:25] op_sel:[0,1]
	v_lshl_or_b32 v37, v4, 16, v3
	v_cmp_gt_u32_e32 vcc, s7, v2
	s_mov_b64 s[20:21], 0
	v_mov_b32_e32 v5, 0
	v_pk_mov_b32 v[54:55], v[46:47], v[46:47] op_sel:[0,1]
	v_pk_mov_b32 v[52:53], v[46:47], v[46:47] op_sel:[0,1]
	;; [unrolled: 1-line block ×8, first 2 shown]
                                        ; implicit-def: $sgpr24_sgpr25
                                        ; implicit-def: $vgpr56
	s_and_saveexec_b64 s[18:19], vcc
	s_cbranch_execz .LBB101_121
; %bb.82:
	v_lshrrev_b32_e32 v2, 16, v31
	v_mov_b32_e32 v4, s76
	v_cmp_eq_u32_e32 vcc, v22, v23
	v_cndmask_b32_e32 v2, v4, v2, vcc
	v_cmp_ne_u32_e32 vcc, v22, v23
	s_mov_b32 s28, 0
	v_or_b32_e32 v3, 5, v58
	v_and_b32_e32 v2, 0xffff, v2
	v_cndmask_b32_e64 v4, 0, 1, vcc
	v_mov_b32_e32 v39, 0
	s_mov_b32 s29, s28
	v_lshl_or_b32 v38, v4, 16, v2
	v_cmp_gt_u32_e32 vcc, s7, v3
	s_mov_b64 s[22:23], 0
	v_pk_mov_b32 v[46:47], s[28:29], s[28:29] op_sel:[0,1]
	v_pk_mov_b32 v[54:55], s[28:29], s[28:29] op_sel:[0,1]
	;; [unrolled: 1-line block ×8, first 2 shown]
	v_mov_b32_e32 v5, v39
                                        ; implicit-def: $sgpr26_sgpr27
                                        ; implicit-def: $vgpr56
	s_and_saveexec_b64 s[20:21], vcc
	s_cbranch_execz .LBB101_120
; %bb.83:
	v_mov_b32_e32 v3, s76
	v_cmp_eq_u32_e32 vcc, v23, v24
	v_cndmask_b32_e32 v3, v3, v32, vcc
	v_cmp_ne_u32_e32 vcc, v23, v24
	v_or_b32_e32 v2, 6, v58
	v_and_b32_e32 v3, 0xffff, v3
	v_cndmask_b32_e64 v4, 0, 1, vcc
	v_pk_mov_b32 v[46:47], s[28:29], s[28:29] op_sel:[0,1]
	v_lshl_or_b32 v39, v4, 16, v3
	v_cmp_gt_u32_e32 vcc, s7, v2
	s_mov_b64 s[24:25], 0
	v_mov_b32_e32 v5, 0
	v_pk_mov_b32 v[54:55], v[46:47], v[46:47] op_sel:[0,1]
	v_pk_mov_b32 v[52:53], v[46:47], v[46:47] op_sel:[0,1]
	v_pk_mov_b32 v[50:51], v[46:47], v[46:47] op_sel:[0,1]
	v_pk_mov_b32 v[48:49], v[46:47], v[46:47] op_sel:[0,1]
	v_pk_mov_b32 v[44:45], v[46:47], v[46:47] op_sel:[0,1]
	v_pk_mov_b32 v[42:43], v[46:47], v[46:47] op_sel:[0,1]
	v_pk_mov_b32 v[40:41], v[46:47], v[46:47] op_sel:[0,1]
                                        ; implicit-def: $sgpr28_sgpr29
                                        ; implicit-def: $vgpr56
	s_and_saveexec_b64 s[22:23], vcc
	s_cbranch_execz .LBB101_119
; %bb.84:
	v_lshrrev_b32_e32 v2, 16, v32
	v_mov_b32_e32 v4, s76
	v_cmp_eq_u32_e32 vcc, v24, v25
	v_cndmask_b32_e32 v2, v4, v2, vcc
	v_cmp_ne_u32_e32 vcc, v24, v25
	s_mov_b32 s34, 0
	v_or_b32_e32 v3, 7, v58
	v_and_b32_e32 v2, 0xffff, v2
	v_cndmask_b32_e64 v4, 0, 1, vcc
	v_mov_b32_e32 v41, 0
	s_mov_b32 s35, s34
	v_lshl_or_b32 v40, v4, 16, v2
	v_cmp_gt_u32_e32 vcc, s7, v3
	s_mov_b64 s[26:27], 0
	v_pk_mov_b32 v[46:47], s[34:35], s[34:35] op_sel:[0,1]
	v_pk_mov_b32 v[54:55], s[34:35], s[34:35] op_sel:[0,1]
	;; [unrolled: 1-line block ×7, first 2 shown]
	v_mov_b32_e32 v5, v41
                                        ; implicit-def: $sgpr30_sgpr31
                                        ; implicit-def: $vgpr56
	s_and_saveexec_b64 s[24:25], vcc
	s_cbranch_execz .LBB101_118
; %bb.85:
	v_mov_b32_e32 v3, s76
	v_cmp_eq_u32_e32 vcc, v25, v18
	v_cndmask_b32_e32 v3, v3, v33, vcc
	v_cmp_ne_u32_e32 vcc, v25, v18
	v_add_u32_e32 v2, 8, v58
	v_and_b32_e32 v3, 0xffff, v3
	v_cndmask_b32_e64 v4, 0, 1, vcc
	v_pk_mov_b32 v[46:47], s[34:35], s[34:35] op_sel:[0,1]
	v_lshl_or_b32 v41, v4, 16, v3
	v_cmp_gt_u32_e32 vcc, s7, v2
	s_mov_b64 s[28:29], 0
	v_mov_b32_e32 v5, 0
	v_pk_mov_b32 v[54:55], v[46:47], v[46:47] op_sel:[0,1]
	v_pk_mov_b32 v[52:53], v[46:47], v[46:47] op_sel:[0,1]
	;; [unrolled: 1-line block ×6, first 2 shown]
                                        ; implicit-def: $sgpr34_sgpr35
                                        ; implicit-def: $vgpr56
	s_and_saveexec_b64 s[26:27], vcc
	s_cbranch_execz .LBB101_117
; %bb.86:
	v_lshrrev_b32_e32 v2, 16, v33
	v_mov_b32_e32 v4, s76
	v_cmp_eq_u32_e32 vcc, v18, v19
	v_cndmask_b32_e32 v2, v4, v2, vcc
	v_cmp_ne_u32_e32 vcc, v18, v19
	s_mov_b32 s38, 0
	v_add_u32_e32 v3, 9, v58
	v_and_b32_e32 v2, 0xffff, v2
	v_cndmask_b32_e64 v4, 0, 1, vcc
	v_mov_b32_e32 v43, 0
	s_mov_b32 s39, s38
	v_lshl_or_b32 v42, v4, 16, v2
	v_cmp_gt_u32_e32 vcc, s7, v3
	s_mov_b64 s[30:31], 0
	v_pk_mov_b32 v[46:47], s[38:39], s[38:39] op_sel:[0,1]
	v_pk_mov_b32 v[54:55], s[38:39], s[38:39] op_sel:[0,1]
	;; [unrolled: 1-line block ×6, first 2 shown]
	v_mov_b32_e32 v5, v43
                                        ; implicit-def: $sgpr36_sgpr37
                                        ; implicit-def: $vgpr56
	s_and_saveexec_b64 s[28:29], vcc
	s_cbranch_execz .LBB101_116
; %bb.87:
	ds_read_b128 v[22:25], v26 offset:18
	v_mov_b32_e32 v3, s76
	v_cmp_eq_u32_e32 vcc, v19, v20
	v_add_u32_e32 v2, 10, v58
	v_pk_mov_b32 v[46:47], s[38:39], s[38:39] op_sel:[0,1]
	s_waitcnt lgkmcnt(0)
	v_cndmask_b32_e32 v3, v3, v22, vcc
	v_cmp_ne_u32_e32 vcc, v19, v20
	v_and_b32_e32 v3, 0xffff, v3
	v_cndmask_b32_e64 v4, 0, 1, vcc
	v_lshl_or_b32 v43, v4, 16, v3
	v_cmp_gt_u32_e32 vcc, s7, v2
	s_mov_b64 s[34:35], 0
	v_mov_b32_e32 v5, 0
	v_pk_mov_b32 v[54:55], v[46:47], v[46:47] op_sel:[0,1]
	v_pk_mov_b32 v[52:53], v[46:47], v[46:47] op_sel:[0,1]
	;; [unrolled: 1-line block ×5, first 2 shown]
                                        ; implicit-def: $sgpr38_sgpr39
                                        ; implicit-def: $vgpr56
	s_and_saveexec_b64 s[30:31], vcc
	s_cbranch_execz .LBB101_115
; %bb.88:
	v_lshrrev_b32_e32 v2, 16, v22
	v_mov_b32_e32 v4, s76
	v_cmp_eq_u32_e32 vcc, v20, v21
	v_cndmask_b32_e32 v2, v4, v2, vcc
	v_cmp_ne_u32_e32 vcc, v20, v21
	s_mov_b32 s42, 0
	v_add_u32_e32 v3, 11, v58
	v_and_b32_e32 v2, 0xffff, v2
	v_cndmask_b32_e64 v4, 0, 1, vcc
	v_mov_b32_e32 v45, 0
	s_mov_b32 s43, s42
	v_lshl_or_b32 v44, v4, 16, v2
	v_cmp_gt_u32_e32 vcc, s7, v3
	s_mov_b64 s[36:37], 0
	v_pk_mov_b32 v[46:47], s[42:43], s[42:43] op_sel:[0,1]
	v_pk_mov_b32 v[54:55], s[42:43], s[42:43] op_sel:[0,1]
	;; [unrolled: 1-line block ×5, first 2 shown]
	v_mov_b32_e32 v5, v45
                                        ; implicit-def: $sgpr40_sgpr41
                                        ; implicit-def: $vgpr56
	s_and_saveexec_b64 s[34:35], vcc
	s_cbranch_execz .LBB101_114
; %bb.89:
	v_mov_b32_e32 v3, s76
	v_cmp_eq_u32_e32 vcc, v21, v14
	v_cndmask_b32_e32 v3, v3, v23, vcc
	v_cmp_ne_u32_e32 vcc, v21, v14
	v_add_u32_e32 v2, 12, v58
	v_and_b32_e32 v3, 0xffff, v3
	v_cndmask_b32_e64 v4, 0, 1, vcc
	v_pk_mov_b32 v[46:47], s[42:43], s[42:43] op_sel:[0,1]
	v_lshl_or_b32 v45, v4, 16, v3
	v_cmp_gt_u32_e32 vcc, s7, v2
	s_mov_b64 s[38:39], 0
	v_mov_b32_e32 v5, 0
	v_pk_mov_b32 v[54:55], v[46:47], v[46:47] op_sel:[0,1]
	v_pk_mov_b32 v[52:53], v[46:47], v[46:47] op_sel:[0,1]
	v_pk_mov_b32 v[50:51], v[46:47], v[46:47] op_sel:[0,1]
	v_pk_mov_b32 v[48:49], v[46:47], v[46:47] op_sel:[0,1]
                                        ; implicit-def: $sgpr42_sgpr43
                                        ; implicit-def: $vgpr56
	s_and_saveexec_b64 s[36:37], vcc
	s_cbranch_execz .LBB101_113
; %bb.90:
	v_lshrrev_b32_e32 v2, 16, v23
	v_mov_b32_e32 v4, s76
	v_cmp_eq_u32_e32 vcc, v14, v15
	v_cndmask_b32_e32 v2, v4, v2, vcc
	v_cmp_ne_u32_e32 vcc, v14, v15
	s_mov_b32 s46, 0
	v_add_u32_e32 v3, 13, v58
	v_and_b32_e32 v2, 0xffff, v2
	v_cndmask_b32_e64 v4, 0, 1, vcc
	v_mov_b32_e32 v49, 0
	s_mov_b32 s47, s46
	v_lshl_or_b32 v48, v4, 16, v2
	v_cmp_gt_u32_e32 vcc, s7, v3
	s_mov_b64 s[40:41], 0
	v_pk_mov_b32 v[46:47], s[46:47], s[46:47] op_sel:[0,1]
	v_pk_mov_b32 v[54:55], s[46:47], s[46:47] op_sel:[0,1]
	;; [unrolled: 1-line block ×4, first 2 shown]
	v_mov_b32_e32 v5, v49
                                        ; implicit-def: $sgpr44_sgpr45
                                        ; implicit-def: $vgpr56
	s_and_saveexec_b64 s[38:39], vcc
	s_cbranch_execz .LBB101_112
; %bb.91:
	v_mov_b32_e32 v3, s76
	v_cmp_eq_u32_e32 vcc, v15, v16
	v_cndmask_b32_e32 v3, v3, v24, vcc
	v_cmp_ne_u32_e32 vcc, v15, v16
	v_add_u32_e32 v2, 14, v58
	v_and_b32_e32 v3, 0xffff, v3
	v_cndmask_b32_e64 v4, 0, 1, vcc
	v_pk_mov_b32 v[46:47], s[46:47], s[46:47] op_sel:[0,1]
	v_lshl_or_b32 v49, v4, 16, v3
	v_cmp_gt_u32_e32 vcc, s7, v2
	s_mov_b64 s[42:43], 0
	v_mov_b32_e32 v5, 0
	v_pk_mov_b32 v[54:55], v[46:47], v[46:47] op_sel:[0,1]
	v_pk_mov_b32 v[52:53], v[46:47], v[46:47] op_sel:[0,1]
	;; [unrolled: 1-line block ×3, first 2 shown]
                                        ; implicit-def: $sgpr46_sgpr47
                                        ; implicit-def: $vgpr56
	s_and_saveexec_b64 s[40:41], vcc
	s_cbranch_execz .LBB101_111
; %bb.92:
	v_lshrrev_b32_e32 v2, 16, v24
	v_mov_b32_e32 v4, s76
	v_cmp_eq_u32_e32 vcc, v16, v17
	v_cndmask_b32_e32 v2, v4, v2, vcc
	v_cmp_ne_u32_e32 vcc, v16, v17
	s_mov_b32 s50, 0
	v_add_u32_e32 v3, 15, v58
	v_and_b32_e32 v2, 0xffff, v2
	v_cndmask_b32_e64 v4, 0, 1, vcc
	v_mov_b32_e32 v51, 0
	s_mov_b32 s51, s50
	v_lshl_or_b32 v50, v4, 16, v2
	v_cmp_gt_u32_e32 vcc, s7, v3
	s_mov_b64 s[44:45], 0
	v_pk_mov_b32 v[46:47], s[50:51], s[50:51] op_sel:[0,1]
	v_pk_mov_b32 v[54:55], s[50:51], s[50:51] op_sel:[0,1]
	;; [unrolled: 1-line block ×3, first 2 shown]
	v_mov_b32_e32 v5, v51
                                        ; implicit-def: $sgpr48_sgpr49
                                        ; implicit-def: $vgpr56
	s_and_saveexec_b64 s[42:43], vcc
	s_cbranch_execz .LBB101_110
; %bb.93:
	v_mov_b32_e32 v3, s76
	v_cmp_eq_u32_e32 vcc, v17, v10
	v_cndmask_b32_e32 v3, v3, v25, vcc
	v_cmp_ne_u32_e32 vcc, v17, v10
	v_add_u32_e32 v2, 16, v58
	v_and_b32_e32 v3, 0xffff, v3
	v_cndmask_b32_e64 v4, 0, 1, vcc
	v_pk_mov_b32 v[46:47], s[50:51], s[50:51] op_sel:[0,1]
	v_lshl_or_b32 v51, v4, 16, v3
	v_cmp_gt_u32_e32 vcc, s7, v2
	s_mov_b64 s[46:47], 0
	v_mov_b32_e32 v5, 0
	v_pk_mov_b32 v[54:55], v[46:47], v[46:47] op_sel:[0,1]
	v_pk_mov_b32 v[52:53], v[46:47], v[46:47] op_sel:[0,1]
                                        ; implicit-def: $sgpr50_sgpr51
                                        ; implicit-def: $vgpr56
	s_and_saveexec_b64 s[44:45], vcc
	s_cbranch_execz .LBB101_109
; %bb.94:
	v_lshrrev_b32_e32 v2, 16, v25
	v_mov_b32_e32 v4, s76
	v_cmp_eq_u32_e32 vcc, v10, v11
	v_cndmask_b32_e32 v2, v4, v2, vcc
	v_cmp_ne_u32_e32 vcc, v10, v11
	s_mov_b32 s54, 0
	v_add_u32_e32 v3, 17, v58
	v_and_b32_e32 v2, 0xffff, v2
	v_cndmask_b32_e64 v4, 0, 1, vcc
	v_mov_b32_e32 v53, 0
	s_mov_b32 s55, s54
	v_lshl_or_b32 v52, v4, 16, v2
	v_cmp_gt_u32_e32 vcc, s7, v3
	s_mov_b64 s[48:49], 0
	v_pk_mov_b32 v[46:47], s[54:55], s[54:55] op_sel:[0,1]
	v_pk_mov_b32 v[54:55], s[54:55], s[54:55] op_sel:[0,1]
	v_mov_b32_e32 v5, v53
                                        ; implicit-def: $sgpr52_sgpr53
                                        ; implicit-def: $vgpr56
	s_and_saveexec_b64 s[46:47], vcc
	s_cbranch_execz .LBB101_108
; %bb.95:
	ds_read_b96 v[2:4], v26 offset:34
	v_mov_b32_e32 v10, s76
	v_cmp_eq_u32_e32 vcc, v11, v12
	v_add_u32_e32 v5, 18, v58
	v_pk_mov_b32 v[46:47], s[54:55], s[54:55] op_sel:[0,1]
	s_waitcnt lgkmcnt(0)
	v_cndmask_b32_e32 v10, v10, v2, vcc
	v_cmp_ne_u32_e32 vcc, v11, v12
	v_and_b32_e32 v10, 0xffff, v10
	v_cndmask_b32_e64 v11, 0, 1, vcc
	v_lshl_or_b32 v53, v11, 16, v10
	v_cmp_gt_u32_e32 vcc, s7, v5
	s_mov_b64 s[50:51], 0
	v_mov_b32_e32 v5, 0
	v_pk_mov_b32 v[54:55], v[46:47], v[46:47] op_sel:[0,1]
                                        ; implicit-def: $sgpr54_sgpr55
                                        ; implicit-def: $vgpr56
	s_and_saveexec_b64 s[48:49], vcc
	s_cbranch_execz .LBB101_107
; %bb.96:
	v_lshrrev_b32_e32 v2, 16, v2
	v_mov_b32_e32 v10, s76
	v_cmp_eq_u32_e32 vcc, v12, v13
	v_cndmask_b32_e32 v2, v10, v2, vcc
	v_cmp_ne_u32_e32 vcc, v12, v13
	s_mov_b32 s62, 0
	v_add_u32_e32 v5, 19, v58
	v_and_b32_e32 v2, 0xffff, v2
	v_cndmask_b32_e64 v10, 0, 1, vcc
	v_mov_b32_e32 v55, 0
	s_mov_b32 s63, s62
	v_lshl_or_b32 v54, v10, 16, v2
	v_cmp_gt_u32_e32 vcc, s7, v5
	s_mov_b64 s[52:53], 0
	v_pk_mov_b32 v[46:47], s[62:63], s[62:63] op_sel:[0,1]
	v_mov_b32_e32 v5, v55
                                        ; implicit-def: $sgpr60_sgpr61
                                        ; implicit-def: $vgpr56
	s_and_saveexec_b64 s[50:51], vcc
	s_cbranch_execz .LBB101_106
; %bb.97:
	v_mov_b32_e32 v5, s76
	v_cmp_eq_u32_e32 vcc, v13, v6
	v_cndmask_b32_e32 v5, v5, v3, vcc
	v_cmp_ne_u32_e32 vcc, v13, v6
	v_add_u32_e32 v2, 20, v58
	v_and_b32_e32 v5, 0xffff, v5
	v_cndmask_b32_e64 v10, 0, 1, vcc
	v_lshl_or_b32 v55, v10, 16, v5
	v_cmp_gt_u32_e32 vcc, s7, v2
	s_mov_b64 s[54:55], 0
	v_pk_mov_b32 v[46:47], s[62:63], s[62:63] op_sel:[0,1]
	v_mov_b32_e32 v5, 0
                                        ; implicit-def: $sgpr62_sgpr63
                                        ; implicit-def: $vgpr56
	s_and_saveexec_b64 s[52:53], vcc
	s_cbranch_execz .LBB101_105
; %bb.98:
	v_lshrrev_b32_e32 v2, 16, v3
	v_mov_b32_e32 v5, s76
	v_cmp_eq_u32_e32 vcc, v6, v7
	v_cndmask_b32_e32 v2, v5, v2, vcc
	v_cmp_ne_u32_e32 vcc, v6, v7
	v_add_u32_e32 v3, 21, v58
	v_and_b32_e32 v2, 0xffff, v2
	v_cndmask_b32_e64 v5, 0, 1, vcc
	v_mov_b32_e32 v47, 0
	v_lshl_or_b32 v46, v5, 16, v2
	v_cmp_gt_u32_e32 vcc, s7, v3
	s_mov_b64 s[60:61], 0
	v_mov_b32_e32 v5, v47
                                        ; implicit-def: $sgpr62_sgpr63
                                        ; implicit-def: $vgpr56
	s_and_saveexec_b64 s[54:55], vcc
	s_cbranch_execz .LBB101_104
; %bb.99:
	v_mov_b32_e32 v3, s76
	v_cmp_eq_u32_e32 vcc, v7, v8
	v_cndmask_b32_e32 v3, v3, v4, vcc
	v_cmp_ne_u32_e32 vcc, v7, v8
	v_add_u32_e32 v2, 22, v58
	v_and_b32_e32 v3, 0xffff, v3
	v_cndmask_b32_e64 v5, 0, 1, vcc
	v_lshl_or_b32 v47, v5, 16, v3
	v_cmp_gt_u32_e32 vcc, s7, v2
	s_mov_b64 s[72:73], 0
	v_mov_b32_e32 v5, 0
                                        ; implicit-def: $sgpr74_sgpr75
                                        ; implicit-def: $vgpr56
	s_and_saveexec_b64 s[60:61], vcc
	s_cbranch_execz .LBB101_103
; %bb.100:
	v_lshrrev_b32_e32 v2, 16, v4
	v_mov_b32_e32 v4, s76
	v_cmp_eq_u32_e32 vcc, v8, v9
	v_cndmask_b32_e32 v2, v4, v2, vcc
	v_cmp_ne_u32_e32 vcc, v8, v9
	v_add_u32_e32 v3, 23, v58
	v_and_b32_e32 v2, 0xffff, v2
	v_cndmask_b32_e64 v4, 0, 1, vcc
	v_lshl_or_b32 v5, v4, 16, v2
	v_cmp_gt_u32_e32 vcc, s7, v3
	s_mov_b64 s[62:63], 0
                                        ; implicit-def: $sgpr72_sgpr73
                                        ; implicit-def: $vgpr56
	s_and_saveexec_b64 s[74:75], vcc
	s_xor_b64 s[74:75], exec, s[74:75]
	s_cbranch_execz .LBB101_102
; %bb.101:
	ds_read_u16 v2, v26 offset:46
	v_mov_b32_e32 v3, s76
	v_cmp_ne_u32_e32 vcc, v9, v57
	s_mov_b64 s[62:63], exec
	s_and_b64 s[72:73], vcc, exec
	s_waitcnt lgkmcnt(0)
	v_cndmask_b32_e32 v56, v2, v3, vcc
.LBB101_102:
	s_or_b64 exec, exec, s[74:75]
	s_and_b64 s[74:75], s[72:73], exec
	s_and_b64 s[72:73], s[62:63], exec
.LBB101_103:
	s_or_b64 exec, exec, s[60:61]
	s_and_b64 s[62:63], s[74:75], exec
	s_and_b64 s[60:61], s[72:73], exec
.LBB101_104:
	s_or_b64 exec, exec, s[54:55]
	s_and_b64 s[62:63], s[62:63], exec
	s_and_b64 s[54:55], s[60:61], exec
.LBB101_105:
	s_or_b64 exec, exec, s[52:53]
	s_and_b64 s[60:61], s[62:63], exec
	s_and_b64 s[52:53], s[54:55], exec
.LBB101_106:
	s_or_b64 exec, exec, s[50:51]
	s_and_b64 s[54:55], s[60:61], exec
	s_and_b64 s[50:51], s[52:53], exec
.LBB101_107:
	s_or_b64 exec, exec, s[48:49]
	s_and_b64 s[52:53], s[54:55], exec
	s_and_b64 s[48:49], s[50:51], exec
.LBB101_108:
	s_or_b64 exec, exec, s[46:47]
	s_and_b64 s[50:51], s[52:53], exec
	s_and_b64 s[46:47], s[48:49], exec
.LBB101_109:
	s_or_b64 exec, exec, s[44:45]
	s_and_b64 s[48:49], s[50:51], exec
	s_and_b64 s[44:45], s[46:47], exec
.LBB101_110:
	s_or_b64 exec, exec, s[42:43]
	s_and_b64 s[46:47], s[48:49], exec
	s_and_b64 s[42:43], s[44:45], exec
.LBB101_111:
	s_or_b64 exec, exec, s[40:41]
	s_and_b64 s[44:45], s[46:47], exec
	s_and_b64 s[40:41], s[42:43], exec
.LBB101_112:
	s_or_b64 exec, exec, s[38:39]
	s_and_b64 s[42:43], s[44:45], exec
	s_and_b64 s[38:39], s[40:41], exec
.LBB101_113:
	s_or_b64 exec, exec, s[36:37]
	s_and_b64 s[40:41], s[42:43], exec
	s_and_b64 s[36:37], s[38:39], exec
.LBB101_114:
	s_or_b64 exec, exec, s[34:35]
	s_and_b64 s[38:39], s[40:41], exec
	s_and_b64 s[34:35], s[36:37], exec
.LBB101_115:
	s_or_b64 exec, exec, s[30:31]
	s_and_b64 s[36:37], s[38:39], exec
	s_and_b64 s[30:31], s[34:35], exec
.LBB101_116:
	s_or_b64 exec, exec, s[28:29]
	s_and_b64 s[34:35], s[36:37], exec
	s_and_b64 s[28:29], s[30:31], exec
.LBB101_117:
	s_or_b64 exec, exec, s[26:27]
	s_and_b64 s[30:31], s[34:35], exec
	s_and_b64 s[26:27], s[28:29], exec
.LBB101_118:
	s_or_b64 exec, exec, s[24:25]
	s_and_b64 s[28:29], s[30:31], exec
	s_and_b64 s[24:25], s[26:27], exec
.LBB101_119:
	s_or_b64 exec, exec, s[22:23]
	s_and_b64 s[26:27], s[28:29], exec
	s_and_b64 s[22:23], s[24:25], exec
.LBB101_120:
	s_or_b64 exec, exec, s[20:21]
	s_and_b64 s[24:25], s[26:27], exec
	s_and_b64 s[20:21], s[22:23], exec
.LBB101_121:
	s_or_b64 exec, exec, s[18:19]
	s_and_b64 s[22:23], s[24:25], exec
	s_and_b64 s[18:19], s[20:21], exec
.LBB101_122:
	s_or_b64 exec, exec, s[16:17]
	s_and_b64 s[20:21], s[22:23], exec
	s_and_b64 s[16:17], s[18:19], exec
.LBB101_123:
	s_or_b64 exec, exec, s[14:15]
	s_and_b64 s[18:19], s[20:21], exec
	s_and_b64 s[14:15], s[16:17], exec
.LBB101_124:
	s_or_b64 exec, exec, s[12:13]
	s_and_b64 s[12:13], s[18:19], exec
	s_and_b64 s[14:15], s[14:15], exec
.LBB101_125:
	s_or_b64 exec, exec, s[10:11]
	s_and_b64 vcc, exec, s[8:9]
	s_cbranch_vccnz .LBB101_127
	s_branch .LBB101_132
.LBB101_126:
	s_mov_b64 s[14:15], 0
                                        ; implicit-def: $sgpr12_sgpr13
                                        ; implicit-def: $vgpr46_vgpr47
                                        ; implicit-def: $vgpr54_vgpr55
                                        ; implicit-def: $vgpr52_vgpr53
                                        ; implicit-def: $vgpr50_vgpr51
                                        ; implicit-def: $vgpr48_vgpr49
                                        ; implicit-def: $vgpr44_vgpr45
                                        ; implicit-def: $vgpr42_vgpr43
                                        ; implicit-def: $vgpr40_vgpr41
                                        ; implicit-def: $vgpr38_vgpr39
                                        ; implicit-def: $vgpr36_vgpr37
                                        ; implicit-def: $vgpr34_vgpr35
                                        ; implicit-def: $vgpr5
                                        ; implicit-def: $vgpr56
                                        ; implicit-def: $sgpr2
	s_and_b64 vcc, exec, s[8:9]
	s_cbranch_vccz .LBB101_132
.LBB101_127:
	v_mov_b32_e32 v2, s71
	v_add_co_u32_e32 v3, vcc, s70, v1
	v_addc_co_u32_e32 v4, vcc, 0, v2, vcc
	s_movk_i32 s2, 0x1000
	v_add_co_u32_e32 v2, vcc, s2, v3
	v_addc_co_u32_e32 v3, vcc, 0, v4, vcc
	global_load_dword v5, v1, s[70:71]
	global_load_dword v6, v1, s[70:71] offset:256
	global_load_dword v7, v1, s[70:71] offset:512
	;; [unrolled: 1-line block ×15, first 2 shown]
	global_load_dword v4, v[2:3], off
	global_load_dword v21, v[2:3], off offset:256
	global_load_dword v22, v[2:3], off offset:512
	;; [unrolled: 1-line block ×7, first 2 shown]
	s_movk_i32 s2, 0x5c
	v_mad_u32_u24 v3, v0, s2, v1
	s_movk_i32 s3, 0xffa4
	v_cmp_ne_u32_e32 vcc, 63, v0
	v_mad_i32_i24 v2, v0, s3, v3
	s_waitcnt vmcnt(22)
	ds_write2st64_b32 v1, v5, v6 offset1:1
	s_waitcnt vmcnt(20)
	ds_write2st64_b32 v1, v7, v8 offset0:2 offset1:3
	s_waitcnt vmcnt(18)
	ds_write2st64_b32 v1, v9, v10 offset0:4 offset1:5
	;; [unrolled: 2-line block ×11, first 2 shown]
	s_waitcnt lgkmcnt(0)
	; wave barrier
	s_waitcnt lgkmcnt(0)
	ds_read_b128 v[24:27], v3
	ds_read_b128 v[20:23], v3 offset:16
	ds_read_b128 v[16:19], v3 offset:32
	;; [unrolled: 1-line block ×3, first 2 shown]
	s_load_dword s2, s[70:71], 0x1800
	ds_read_b128 v[8:11], v3 offset:64
	ds_read_b128 v[4:7], v3 offset:80
	s_waitcnt lgkmcnt(0)
	ds_write_b32 v2, v24 offset:6400
	s_waitcnt lgkmcnt(0)
	; wave barrier
	s_waitcnt lgkmcnt(0)
	v_mov_b32_e32 v56, s2
	s_and_saveexec_b64 s[2:3], vcc
	s_cbranch_execz .LBB101_129
; %bb.128:
	ds_read_b32 v56, v1 offset:6404
.LBB101_129:
	s_or_b64 exec, exec, s[2:3]
	v_lshlrev_b32_e32 v1, 1, v0
	s_waitcnt lgkmcnt(0)
	; wave barrier
	s_waitcnt lgkmcnt(0)
	global_load_ushort v3, v1, s[68:69]
	global_load_ushort v28, v1, s[68:69] offset:128
	global_load_ushort v29, v1, s[68:69] offset:256
	;; [unrolled: 1-line block ×23, first 2 shown]
	v_sub_u32_e32 v34, v2, v1
	v_mad_u32_u24 v2, v0, 46, v34
	v_cmp_eq_u32_e32 vcc, v24, v25
	v_mov_b32_e32 v24, 0x10000
	s_waitcnt vmcnt(23)
	ds_write_b16 v34, v3
	s_waitcnt vmcnt(22)
	ds_write_b16 v34, v28 offset:128
	s_waitcnt vmcnt(21)
	ds_write_b16 v34, v29 offset:256
	;; [unrolled: 2-line block ×23, first 2 shown]
	s_waitcnt lgkmcnt(0)
	; wave barrier
	s_waitcnt lgkmcnt(0)
	ds_read_u16 v35, v2 offset:2
	ds_read2_b32 v[38:39], v2 offset0:1 offset1:2
	ds_read2_b32 v[32:33], v2 offset0:3 offset1:4
	;; [unrolled: 1-line block ×4, first 2 shown]
	ds_read_b32 v1, v2 offset:44
	ds_read2_b32 v[2:3], v2 offset0:9 offset1:10
	v_mov_b32_e32 v36, s76
	s_and_saveexec_b64 s[2:3], vcc
	s_cbranch_execz .LBB101_131
; %bb.130:
	v_mul_u32_u24_e32 v24, 46, v0
	v_add_u32_e32 v24, v34, v24
	ds_read_u16 v36, v24
	v_mov_b32_e32 v24, 0
.LBB101_131:
	s_or_b64 exec, exec, s[2:3]
	v_mov_b32_e32 v58, s76
	v_cmp_eq_u32_e32 vcc, v25, v26
	s_waitcnt lgkmcnt(6)
	v_cndmask_b32_e32 v34, v58, v35, vcc
	v_cmp_ne_u32_e32 vcc, v25, v26
	v_cndmask_b32_e64 v25, 0, 1, vcc
	s_waitcnt lgkmcnt(0)
	v_or_b32_sdwa v35, v24, v36 dst_sel:DWORD dst_unused:UNUSED_PAD src0_sel:DWORD src1_sel:WORD_0
	v_lshrrev_b32_e32 v24, 16, v38
	v_cmp_eq_u32_e32 vcc, v27, v20
	v_and_b32_e32 v34, 0xffff, v34
	v_cndmask_b32_e32 v24, v58, v24, vcc
	v_cmp_eq_u32_e32 vcc, v26, v27
	v_lshl_or_b32 v34, v25, 16, v34
	v_cndmask_b32_e32 v25, v58, v38, vcc
	v_cmp_ne_u32_e32 vcc, v26, v27
	v_and_b32_e32 v25, 0xffff, v25
	v_cndmask_b32_e64 v26, 0, 1, vcc
	v_cmp_ne_u32_e32 vcc, v27, v20
	v_and_b32_e32 v24, 0xffff, v24
	v_lshl_or_b32 v36, v26, 16, v25
	v_cndmask_b32_e64 v25, 0, 1, vcc
	v_lshl_or_b32 v37, v25, 16, v24
	v_lshrrev_b32_e32 v24, 16, v39
	v_cmp_eq_u32_e32 vcc, v21, v22
	v_cndmask_b32_e32 v24, v58, v24, vcc
	v_cmp_eq_u32_e32 vcc, v20, v21
	v_cndmask_b32_e32 v25, v58, v39, vcc
	v_cmp_ne_u32_e32 vcc, v20, v21
	v_and_b32_e32 v25, 0xffff, v25
	v_cndmask_b32_e64 v20, 0, 1, vcc
	v_cmp_ne_u32_e32 vcc, v21, v22
	v_and_b32_e32 v24, 0xffff, v24
	v_lshl_or_b32 v38, v20, 16, v25
	v_cndmask_b32_e64 v20, 0, 1, vcc
	v_lshl_or_b32 v39, v20, 16, v24
	v_lshrrev_b32_e32 v20, 16, v32
	v_cmp_eq_u32_e32 vcc, v23, v16
	v_cndmask_b32_e32 v20, v58, v20, vcc
	v_cmp_eq_u32_e32 vcc, v22, v23
	;; [unrolled: 13-line block ×9, first 2 shown]
	v_cndmask_b32_e32 v3, v58, v3, vcc
	v_cmp_ne_u32_e32 vcc, v4, v5
	v_and_b32_e32 v3, 0xffff, v3
	v_cndmask_b32_e64 v4, 0, 1, vcc
	v_cmp_ne_u32_e32 vcc, v5, v6
	v_lshl_or_b32 v46, v4, 16, v3
	v_cndmask_b32_e64 v3, 0, 1, vcc
	v_cmp_eq_u32_e32 vcc, v6, v7
	v_lshrrev_b32_e32 v57, 16, v1
	v_and_b32_e32 v2, 0xffff, v2
	v_cndmask_b32_e32 v1, v58, v1, vcc
	v_cmp_ne_u32_e32 vcc, v6, v7
	v_lshl_or_b32 v47, v3, 16, v2
	v_and_b32_e32 v1, 0xffff, v1
	v_cndmask_b32_e64 v2, 0, 1, vcc
	v_cmp_ne_u32_e64 s[12:13], v7, v56
	v_lshl_or_b32 v5, v2, 16, v1
	v_cndmask_b32_e64 v56, v57, v58, s[12:13]
	s_mov_b64 s[14:15], -1
                                        ; implicit-def: $sgpr2
.LBB101_132:
	v_mov_b32_e32 v1, s2
	s_and_saveexec_b64 s[2:3], s[14:15]
; %bb.133:
	v_mov_b32_e32 v1, 0x10000
	v_cndmask_b32_e64 v1, 0, v1, s[12:13]
	v_or_b32_sdwa v1, v1, v56 dst_sel:DWORD dst_unused:UNUSED_PAD src0_sel:DWORD src1_sel:WORD_0
; %bb.134:
	s_or_b64 exec, exec, s[2:3]
	s_cmp_lg_u32 s6, 0
	s_waitcnt lgkmcnt(0)
	; wave barrier
	s_waitcnt lgkmcnt(0)
	s_cbranch_scc0 .LBB101_617
; %bb.135:
	s_mov_b32 s2, 0x10000
	v_cmp_gt_u32_e64 s[2:3], s2, v34
	v_mov_b32_e32 v2, v34
	s_and_saveexec_b64 s[8:9], s[2:3]
	s_cbranch_execz .LBB101_141
; %bb.136:
	v_lshlrev_b32_e32 v2, 16, v35
	v_lshlrev_b32_e32 v4, 16, v34
	v_pk_add_f32 v[2:3], v[2:3], v[4:5] op_sel_hi:[0,1]
	s_mov_b32 s7, 0x7f800000
	v_and_b32_e32 v3, 0x7f800000, v2
	v_cmp_ne_u32_e32 vcc, s7, v3
                                        ; implicit-def: $vgpr4
	s_and_saveexec_b64 s[10:11], vcc
	s_xor_b64 s[10:11], exec, s[10:11]
; %bb.137:
	v_bfe_u32 v3, v2, 16, 1
	s_movk_i32 s7, 0x7fff
	v_add3_u32 v4, v2, v3, s7
                                        ; implicit-def: $vgpr2_vgpr3
; %bb.138:
	s_andn2_saveexec_b64 s[10:11], s[10:11]
; %bb.139:
	v_mov_b32_e32 v3, 0
	v_or_b32_e32 v4, 0x10000, v2
	v_cmp_eq_u32_sdwa vcc, v2, v3 src0_sel:WORD_0 src1_sel:DWORD
	v_cndmask_b32_e32 v4, v4, v2, vcc
; %bb.140:
	s_or_b64 exec, exec, s[10:11]
	v_lshrrev_b32_e32 v2, 16, v4
.LBB101_141:
	s_or_b64 exec, exec, s[8:9]
	s_mov_b32 s7, 0x10000
	v_cmp_gt_u32_e64 s[52:53], s7, v36
	v_mov_b32_e32 v3, v36
	s_and_saveexec_b64 s[8:9], s[52:53]
	s_cbranch_execz .LBB101_147
; %bb.142:
	v_lshlrev_b32_e32 v2, 16, v2
	v_lshlrev_b32_e32 v4, 16, v36
	v_pk_add_f32 v[2:3], v[2:3], v[4:5] op_sel_hi:[0,1]
	s_mov_b32 s7, 0x7f800000
	v_and_b32_e32 v3, 0x7f800000, v2
	v_cmp_ne_u32_e32 vcc, s7, v3
                                        ; implicit-def: $vgpr4
	s_and_saveexec_b64 s[10:11], vcc
	s_xor_b64 s[10:11], exec, s[10:11]
; %bb.143:
	v_bfe_u32 v3, v2, 16, 1
	s_movk_i32 s7, 0x7fff
	v_add3_u32 v4, v2, v3, s7
                                        ; implicit-def: $vgpr2_vgpr3
; %bb.144:
	s_andn2_saveexec_b64 s[10:11], s[10:11]
; %bb.145:
	v_mov_b32_e32 v3, 0
	v_or_b32_e32 v4, 0x10000, v2
	v_cmp_eq_u32_sdwa vcc, v2, v3 src0_sel:WORD_0 src1_sel:DWORD
	v_cndmask_b32_e32 v4, v4, v2, vcc
; %bb.146:
	s_or_b64 exec, exec, s[10:11]
	v_lshrrev_b32_e32 v3, 16, v4
.LBB101_147:
	s_or_b64 exec, exec, s[8:9]
	s_mov_b32 s7, 0x10000
	v_cmp_gt_u32_e64 s[8:9], s7, v37
	v_mov_b32_e32 v2, v37
	s_and_saveexec_b64 s[10:11], s[8:9]
	s_cbranch_execz .LBB101_153
; %bb.148:
	v_lshlrev_b32_e32 v2, 16, v3
	v_lshlrev_b32_e32 v4, 16, v37
	v_pk_add_f32 v[2:3], v[2:3], v[4:5] op_sel_hi:[0,1]
	s_mov_b32 s7, 0x7f800000
	v_and_b32_e32 v3, 0x7f800000, v2
	v_cmp_ne_u32_e32 vcc, s7, v3
                                        ; implicit-def: $vgpr4
	s_and_saveexec_b64 s[12:13], vcc
	s_xor_b64 s[12:13], exec, s[12:13]
; %bb.149:
	v_bfe_u32 v3, v2, 16, 1
	s_movk_i32 s7, 0x7fff
	v_add3_u32 v4, v2, v3, s7
                                        ; implicit-def: $vgpr2_vgpr3
; %bb.150:
	s_andn2_saveexec_b64 s[12:13], s[12:13]
; %bb.151:
	v_mov_b32_e32 v3, 0
	v_or_b32_e32 v4, 0x10000, v2
	v_cmp_eq_u32_sdwa vcc, v2, v3 src0_sel:WORD_0 src1_sel:DWORD
	v_cndmask_b32_e32 v4, v4, v2, vcc
; %bb.152:
	s_or_b64 exec, exec, s[12:13]
	v_lshrrev_b32_e32 v2, 16, v4
.LBB101_153:
	s_or_b64 exec, exec, s[10:11]
	s_mov_b32 s7, 0x10000
	v_cmp_gt_u32_e64 s[10:11], s7, v38
	v_mov_b32_e32 v3, v38
	s_and_saveexec_b64 s[12:13], s[10:11]
	s_cbranch_execz .LBB101_159
; %bb.154:
	v_lshlrev_b32_e32 v2, 16, v2
	v_lshlrev_b32_e32 v4, 16, v38
	v_pk_add_f32 v[2:3], v[2:3], v[4:5] op_sel_hi:[0,1]
	s_mov_b32 s7, 0x7f800000
	v_and_b32_e32 v3, 0x7f800000, v2
	v_cmp_ne_u32_e32 vcc, s7, v3
                                        ; implicit-def: $vgpr4
	s_and_saveexec_b64 s[14:15], vcc
	s_xor_b64 s[14:15], exec, s[14:15]
; %bb.155:
	v_bfe_u32 v3, v2, 16, 1
	s_movk_i32 s7, 0x7fff
	v_add3_u32 v4, v2, v3, s7
                                        ; implicit-def: $vgpr2_vgpr3
; %bb.156:
	s_andn2_saveexec_b64 s[14:15], s[14:15]
; %bb.157:
	v_mov_b32_e32 v3, 0
	v_or_b32_e32 v4, 0x10000, v2
	v_cmp_eq_u32_sdwa vcc, v2, v3 src0_sel:WORD_0 src1_sel:DWORD
	v_cndmask_b32_e32 v4, v4, v2, vcc
; %bb.158:
	s_or_b64 exec, exec, s[14:15]
	v_lshrrev_b32_e32 v3, 16, v4
.LBB101_159:
	s_or_b64 exec, exec, s[12:13]
	s_mov_b32 s7, 0x10000
	v_cmp_gt_u32_e64 s[12:13], s7, v39
	v_mov_b32_e32 v2, v39
	s_and_saveexec_b64 s[14:15], s[12:13]
	s_cbranch_execz .LBB101_165
; %bb.160:
	v_lshlrev_b32_e32 v2, 16, v3
	v_lshlrev_b32_e32 v4, 16, v39
	v_pk_add_f32 v[2:3], v[2:3], v[4:5] op_sel_hi:[0,1]
	s_mov_b32 s7, 0x7f800000
	v_and_b32_e32 v3, 0x7f800000, v2
	v_cmp_ne_u32_e32 vcc, s7, v3
                                        ; implicit-def: $vgpr4
	s_and_saveexec_b64 s[16:17], vcc
	s_xor_b64 s[16:17], exec, s[16:17]
; %bb.161:
	v_bfe_u32 v3, v2, 16, 1
	s_movk_i32 s7, 0x7fff
	v_add3_u32 v4, v2, v3, s7
                                        ; implicit-def: $vgpr2_vgpr3
; %bb.162:
	s_andn2_saveexec_b64 s[16:17], s[16:17]
; %bb.163:
	v_mov_b32_e32 v3, 0
	v_or_b32_e32 v4, 0x10000, v2
	v_cmp_eq_u32_sdwa vcc, v2, v3 src0_sel:WORD_0 src1_sel:DWORD
	v_cndmask_b32_e32 v4, v4, v2, vcc
; %bb.164:
	s_or_b64 exec, exec, s[16:17]
	v_lshrrev_b32_e32 v2, 16, v4
.LBB101_165:
	s_or_b64 exec, exec, s[14:15]
	s_mov_b32 s7, 0x10000
	v_cmp_gt_u32_e64 s[14:15], s7, v40
	v_mov_b32_e32 v3, v40
	s_and_saveexec_b64 s[16:17], s[14:15]
	s_cbranch_execz .LBB101_171
; %bb.166:
	v_lshlrev_b32_e32 v2, 16, v2
	v_lshlrev_b32_e32 v4, 16, v40
	v_pk_add_f32 v[2:3], v[2:3], v[4:5] op_sel_hi:[0,1]
	s_mov_b32 s7, 0x7f800000
	v_and_b32_e32 v3, 0x7f800000, v2
	v_cmp_ne_u32_e32 vcc, s7, v3
                                        ; implicit-def: $vgpr4
	s_and_saveexec_b64 s[18:19], vcc
	s_xor_b64 s[18:19], exec, s[18:19]
; %bb.167:
	v_bfe_u32 v3, v2, 16, 1
	s_movk_i32 s7, 0x7fff
	v_add3_u32 v4, v2, v3, s7
                                        ; implicit-def: $vgpr2_vgpr3
; %bb.168:
	s_andn2_saveexec_b64 s[18:19], s[18:19]
; %bb.169:
	v_mov_b32_e32 v3, 0
	v_or_b32_e32 v4, 0x10000, v2
	v_cmp_eq_u32_sdwa vcc, v2, v3 src0_sel:WORD_0 src1_sel:DWORD
	v_cndmask_b32_e32 v4, v4, v2, vcc
; %bb.170:
	s_or_b64 exec, exec, s[18:19]
	v_lshrrev_b32_e32 v3, 16, v4
.LBB101_171:
	s_or_b64 exec, exec, s[16:17]
	s_mov_b32 s7, 0x10000
	v_cmp_gt_u32_e64 s[16:17], s7, v41
	v_mov_b32_e32 v2, v41
	s_and_saveexec_b64 s[18:19], s[16:17]
	s_cbranch_execz .LBB101_177
; %bb.172:
	v_lshlrev_b32_e32 v2, 16, v3
	v_lshlrev_b32_e32 v4, 16, v41
	v_pk_add_f32 v[2:3], v[2:3], v[4:5] op_sel_hi:[0,1]
	s_mov_b32 s7, 0x7f800000
	v_and_b32_e32 v3, 0x7f800000, v2
	v_cmp_ne_u32_e32 vcc, s7, v3
                                        ; implicit-def: $vgpr4
	s_and_saveexec_b64 s[20:21], vcc
	s_xor_b64 s[20:21], exec, s[20:21]
; %bb.173:
	v_bfe_u32 v3, v2, 16, 1
	s_movk_i32 s7, 0x7fff
	v_add3_u32 v4, v2, v3, s7
                                        ; implicit-def: $vgpr2_vgpr3
; %bb.174:
	s_andn2_saveexec_b64 s[20:21], s[20:21]
; %bb.175:
	v_mov_b32_e32 v3, 0
	v_or_b32_e32 v4, 0x10000, v2
	v_cmp_eq_u32_sdwa vcc, v2, v3 src0_sel:WORD_0 src1_sel:DWORD
	v_cndmask_b32_e32 v4, v4, v2, vcc
; %bb.176:
	s_or_b64 exec, exec, s[20:21]
	v_lshrrev_b32_e32 v2, 16, v4
.LBB101_177:
	s_or_b64 exec, exec, s[18:19]
	s_mov_b32 s7, 0x10000
	v_cmp_gt_u32_e64 s[18:19], s7, v42
	v_mov_b32_e32 v3, v42
	s_and_saveexec_b64 s[20:21], s[18:19]
	s_cbranch_execz .LBB101_183
; %bb.178:
	v_lshlrev_b32_e32 v2, 16, v2
	v_lshlrev_b32_e32 v4, 16, v42
	v_pk_add_f32 v[2:3], v[2:3], v[4:5] op_sel_hi:[0,1]
	s_mov_b32 s7, 0x7f800000
	v_and_b32_e32 v3, 0x7f800000, v2
	v_cmp_ne_u32_e32 vcc, s7, v3
                                        ; implicit-def: $vgpr4
	s_and_saveexec_b64 s[22:23], vcc
	s_xor_b64 s[22:23], exec, s[22:23]
; %bb.179:
	v_bfe_u32 v3, v2, 16, 1
	s_movk_i32 s7, 0x7fff
	v_add3_u32 v4, v2, v3, s7
                                        ; implicit-def: $vgpr2_vgpr3
; %bb.180:
	s_andn2_saveexec_b64 s[22:23], s[22:23]
; %bb.181:
	v_mov_b32_e32 v3, 0
	v_or_b32_e32 v4, 0x10000, v2
	v_cmp_eq_u32_sdwa vcc, v2, v3 src0_sel:WORD_0 src1_sel:DWORD
	v_cndmask_b32_e32 v4, v4, v2, vcc
; %bb.182:
	s_or_b64 exec, exec, s[22:23]
	v_lshrrev_b32_e32 v3, 16, v4
.LBB101_183:
	s_or_b64 exec, exec, s[20:21]
	s_mov_b32 s7, 0x10000
	v_cmp_gt_u32_e64 s[20:21], s7, v43
	v_mov_b32_e32 v2, v43
	s_and_saveexec_b64 s[22:23], s[20:21]
	s_cbranch_execz .LBB101_189
; %bb.184:
	v_lshlrev_b32_e32 v2, 16, v3
	v_lshlrev_b32_e32 v4, 16, v43
	v_pk_add_f32 v[2:3], v[2:3], v[4:5] op_sel_hi:[0,1]
	s_mov_b32 s7, 0x7f800000
	v_and_b32_e32 v3, 0x7f800000, v2
	v_cmp_ne_u32_e32 vcc, s7, v3
                                        ; implicit-def: $vgpr4
	s_and_saveexec_b64 s[24:25], vcc
	s_xor_b64 s[24:25], exec, s[24:25]
; %bb.185:
	v_bfe_u32 v3, v2, 16, 1
	s_movk_i32 s7, 0x7fff
	v_add3_u32 v4, v2, v3, s7
                                        ; implicit-def: $vgpr2_vgpr3
; %bb.186:
	s_andn2_saveexec_b64 s[24:25], s[24:25]
; %bb.187:
	v_mov_b32_e32 v3, 0
	v_or_b32_e32 v4, 0x10000, v2
	v_cmp_eq_u32_sdwa vcc, v2, v3 src0_sel:WORD_0 src1_sel:DWORD
	v_cndmask_b32_e32 v4, v4, v2, vcc
; %bb.188:
	s_or_b64 exec, exec, s[24:25]
	v_lshrrev_b32_e32 v2, 16, v4
.LBB101_189:
	s_or_b64 exec, exec, s[22:23]
	s_mov_b32 s7, 0x10000
	v_cmp_gt_u32_e64 s[22:23], s7, v44
	v_mov_b32_e32 v3, v44
	s_and_saveexec_b64 s[24:25], s[22:23]
	s_cbranch_execz .LBB101_195
; %bb.190:
	v_lshlrev_b32_e32 v2, 16, v2
	v_lshlrev_b32_e32 v4, 16, v44
	v_pk_add_f32 v[2:3], v[2:3], v[4:5] op_sel_hi:[0,1]
	s_mov_b32 s7, 0x7f800000
	v_and_b32_e32 v3, 0x7f800000, v2
	v_cmp_ne_u32_e32 vcc, s7, v3
                                        ; implicit-def: $vgpr4
	s_and_saveexec_b64 s[26:27], vcc
	s_xor_b64 s[26:27], exec, s[26:27]
; %bb.191:
	v_bfe_u32 v3, v2, 16, 1
	s_movk_i32 s7, 0x7fff
	v_add3_u32 v4, v2, v3, s7
                                        ; implicit-def: $vgpr2_vgpr3
; %bb.192:
	s_andn2_saveexec_b64 s[26:27], s[26:27]
; %bb.193:
	v_mov_b32_e32 v3, 0
	v_or_b32_e32 v4, 0x10000, v2
	v_cmp_eq_u32_sdwa vcc, v2, v3 src0_sel:WORD_0 src1_sel:DWORD
	v_cndmask_b32_e32 v4, v4, v2, vcc
; %bb.194:
	s_or_b64 exec, exec, s[26:27]
	v_lshrrev_b32_e32 v3, 16, v4
.LBB101_195:
	s_or_b64 exec, exec, s[24:25]
	s_mov_b32 s7, 0x10000
	v_cmp_gt_u32_e64 s[24:25], s7, v45
	v_mov_b32_e32 v2, v45
	s_and_saveexec_b64 s[26:27], s[24:25]
	s_cbranch_execz .LBB101_201
; %bb.196:
	v_lshlrev_b32_e32 v2, 16, v3
	v_lshlrev_b32_e32 v4, 16, v45
	v_pk_add_f32 v[2:3], v[2:3], v[4:5] op_sel_hi:[0,1]
	s_mov_b32 s7, 0x7f800000
	v_and_b32_e32 v3, 0x7f800000, v2
	v_cmp_ne_u32_e32 vcc, s7, v3
                                        ; implicit-def: $vgpr4
	s_and_saveexec_b64 s[28:29], vcc
	s_xor_b64 s[28:29], exec, s[28:29]
; %bb.197:
	v_bfe_u32 v3, v2, 16, 1
	s_movk_i32 s7, 0x7fff
	v_add3_u32 v4, v2, v3, s7
                                        ; implicit-def: $vgpr2_vgpr3
; %bb.198:
	s_andn2_saveexec_b64 s[28:29], s[28:29]
; %bb.199:
	v_mov_b32_e32 v3, 0
	v_or_b32_e32 v4, 0x10000, v2
	v_cmp_eq_u32_sdwa vcc, v2, v3 src0_sel:WORD_0 src1_sel:DWORD
	v_cndmask_b32_e32 v4, v4, v2, vcc
; %bb.200:
	s_or_b64 exec, exec, s[28:29]
	v_lshrrev_b32_e32 v2, 16, v4
.LBB101_201:
	s_or_b64 exec, exec, s[26:27]
	s_mov_b32 s7, 0x10000
	v_cmp_gt_u32_e64 s[26:27], s7, v48
	v_mov_b32_e32 v3, v48
	s_and_saveexec_b64 s[28:29], s[26:27]
	s_cbranch_execz .LBB101_207
; %bb.202:
	v_lshlrev_b32_e32 v2, 16, v2
	v_lshlrev_b32_e32 v4, 16, v48
	v_pk_add_f32 v[2:3], v[2:3], v[4:5] op_sel_hi:[0,1]
	s_mov_b32 s7, 0x7f800000
	v_and_b32_e32 v3, 0x7f800000, v2
	v_cmp_ne_u32_e32 vcc, s7, v3
                                        ; implicit-def: $vgpr4
	s_and_saveexec_b64 s[30:31], vcc
	s_xor_b64 s[30:31], exec, s[30:31]
; %bb.203:
	v_bfe_u32 v3, v2, 16, 1
	s_movk_i32 s7, 0x7fff
	v_add3_u32 v4, v2, v3, s7
                                        ; implicit-def: $vgpr2_vgpr3
; %bb.204:
	s_andn2_saveexec_b64 s[30:31], s[30:31]
; %bb.205:
	v_mov_b32_e32 v3, 0
	v_or_b32_e32 v4, 0x10000, v2
	v_cmp_eq_u32_sdwa vcc, v2, v3 src0_sel:WORD_0 src1_sel:DWORD
	v_cndmask_b32_e32 v4, v4, v2, vcc
; %bb.206:
	s_or_b64 exec, exec, s[30:31]
	v_lshrrev_b32_e32 v3, 16, v4
.LBB101_207:
	s_or_b64 exec, exec, s[28:29]
	s_mov_b32 s7, 0x10000
	v_cmp_gt_u32_e64 s[28:29], s7, v49
	v_mov_b32_e32 v2, v49
	s_and_saveexec_b64 s[30:31], s[28:29]
	s_cbranch_execz .LBB101_213
; %bb.208:
	v_lshlrev_b32_e32 v2, 16, v3
	v_lshlrev_b32_e32 v4, 16, v49
	v_pk_add_f32 v[2:3], v[2:3], v[4:5] op_sel_hi:[0,1]
	s_mov_b32 s7, 0x7f800000
	v_and_b32_e32 v3, 0x7f800000, v2
	v_cmp_ne_u32_e32 vcc, s7, v3
                                        ; implicit-def: $vgpr4
	s_and_saveexec_b64 s[34:35], vcc
	s_xor_b64 s[34:35], exec, s[34:35]
; %bb.209:
	v_bfe_u32 v3, v2, 16, 1
	s_movk_i32 s7, 0x7fff
	v_add3_u32 v4, v2, v3, s7
                                        ; implicit-def: $vgpr2_vgpr3
; %bb.210:
	s_andn2_saveexec_b64 s[34:35], s[34:35]
; %bb.211:
	v_mov_b32_e32 v3, 0
	v_or_b32_e32 v4, 0x10000, v2
	v_cmp_eq_u32_sdwa vcc, v2, v3 src0_sel:WORD_0 src1_sel:DWORD
	v_cndmask_b32_e32 v4, v4, v2, vcc
; %bb.212:
	s_or_b64 exec, exec, s[34:35]
	v_lshrrev_b32_e32 v2, 16, v4
.LBB101_213:
	s_or_b64 exec, exec, s[30:31]
	s_mov_b32 s7, 0x10000
	v_cmp_gt_u32_e64 s[30:31], s7, v50
	v_mov_b32_e32 v3, v50
	s_and_saveexec_b64 s[34:35], s[30:31]
	s_cbranch_execz .LBB101_219
; %bb.214:
	v_lshlrev_b32_e32 v2, 16, v2
	v_lshlrev_b32_e32 v4, 16, v50
	v_pk_add_f32 v[2:3], v[2:3], v[4:5] op_sel_hi:[0,1]
	s_mov_b32 s7, 0x7f800000
	v_and_b32_e32 v3, 0x7f800000, v2
	v_cmp_ne_u32_e32 vcc, s7, v3
                                        ; implicit-def: $vgpr4
	s_and_saveexec_b64 s[36:37], vcc
	s_xor_b64 s[36:37], exec, s[36:37]
; %bb.215:
	v_bfe_u32 v3, v2, 16, 1
	s_movk_i32 s7, 0x7fff
	v_add3_u32 v4, v2, v3, s7
                                        ; implicit-def: $vgpr2_vgpr3
; %bb.216:
	s_andn2_saveexec_b64 s[36:37], s[36:37]
; %bb.217:
	v_mov_b32_e32 v3, 0
	v_or_b32_e32 v4, 0x10000, v2
	v_cmp_eq_u32_sdwa vcc, v2, v3 src0_sel:WORD_0 src1_sel:DWORD
	v_cndmask_b32_e32 v4, v4, v2, vcc
; %bb.218:
	s_or_b64 exec, exec, s[36:37]
	v_lshrrev_b32_e32 v3, 16, v4
.LBB101_219:
	s_or_b64 exec, exec, s[34:35]
	s_mov_b32 s7, 0x10000
	v_cmp_gt_u32_e64 s[34:35], s7, v51
	v_mov_b32_e32 v2, v51
	s_and_saveexec_b64 s[36:37], s[34:35]
	s_cbranch_execz .LBB101_225
; %bb.220:
	v_lshlrev_b32_e32 v2, 16, v3
	v_lshlrev_b32_e32 v4, 16, v51
	v_pk_add_f32 v[2:3], v[2:3], v[4:5] op_sel_hi:[0,1]
	s_mov_b32 s7, 0x7f800000
	v_and_b32_e32 v3, 0x7f800000, v2
	v_cmp_ne_u32_e32 vcc, s7, v3
                                        ; implicit-def: $vgpr4
	s_and_saveexec_b64 s[38:39], vcc
	s_xor_b64 s[38:39], exec, s[38:39]
; %bb.221:
	v_bfe_u32 v3, v2, 16, 1
	s_movk_i32 s7, 0x7fff
	v_add3_u32 v4, v2, v3, s7
                                        ; implicit-def: $vgpr2_vgpr3
; %bb.222:
	s_andn2_saveexec_b64 s[38:39], s[38:39]
; %bb.223:
	v_mov_b32_e32 v3, 0
	v_or_b32_e32 v4, 0x10000, v2
	v_cmp_eq_u32_sdwa vcc, v2, v3 src0_sel:WORD_0 src1_sel:DWORD
	v_cndmask_b32_e32 v4, v4, v2, vcc
; %bb.224:
	s_or_b64 exec, exec, s[38:39]
	v_lshrrev_b32_e32 v2, 16, v4
.LBB101_225:
	s_or_b64 exec, exec, s[36:37]
	s_mov_b32 s7, 0x10000
	v_cmp_gt_u32_e64 s[36:37], s7, v52
	v_mov_b32_e32 v3, v52
	s_and_saveexec_b64 s[38:39], s[36:37]
	s_cbranch_execz .LBB101_231
; %bb.226:
	v_lshlrev_b32_e32 v2, 16, v2
	v_lshlrev_b32_e32 v4, 16, v52
	v_pk_add_f32 v[2:3], v[2:3], v[4:5] op_sel_hi:[0,1]
	s_mov_b32 s7, 0x7f800000
	v_and_b32_e32 v3, 0x7f800000, v2
	v_cmp_ne_u32_e32 vcc, s7, v3
                                        ; implicit-def: $vgpr4
	s_and_saveexec_b64 s[40:41], vcc
	s_xor_b64 s[40:41], exec, s[40:41]
; %bb.227:
	v_bfe_u32 v3, v2, 16, 1
	s_movk_i32 s7, 0x7fff
	v_add3_u32 v4, v2, v3, s7
                                        ; implicit-def: $vgpr2_vgpr3
; %bb.228:
	s_andn2_saveexec_b64 s[40:41], s[40:41]
; %bb.229:
	v_mov_b32_e32 v3, 0
	v_or_b32_e32 v4, 0x10000, v2
	v_cmp_eq_u32_sdwa vcc, v2, v3 src0_sel:WORD_0 src1_sel:DWORD
	v_cndmask_b32_e32 v4, v4, v2, vcc
; %bb.230:
	s_or_b64 exec, exec, s[40:41]
	v_lshrrev_b32_e32 v3, 16, v4
.LBB101_231:
	s_or_b64 exec, exec, s[38:39]
	s_mov_b32 s7, 0x10000
	v_cmp_gt_u32_e64 s[38:39], s7, v53
	v_mov_b32_e32 v2, v53
	s_and_saveexec_b64 s[40:41], s[38:39]
	s_cbranch_execz .LBB101_237
; %bb.232:
	v_lshlrev_b32_e32 v2, 16, v3
	v_lshlrev_b32_e32 v4, 16, v53
	v_pk_add_f32 v[2:3], v[2:3], v[4:5] op_sel_hi:[0,1]
	s_mov_b32 s7, 0x7f800000
	v_and_b32_e32 v3, 0x7f800000, v2
	v_cmp_ne_u32_e32 vcc, s7, v3
                                        ; implicit-def: $vgpr4
	s_and_saveexec_b64 s[42:43], vcc
	s_xor_b64 s[42:43], exec, s[42:43]
; %bb.233:
	v_bfe_u32 v3, v2, 16, 1
	s_movk_i32 s7, 0x7fff
	v_add3_u32 v4, v2, v3, s7
                                        ; implicit-def: $vgpr2_vgpr3
; %bb.234:
	s_andn2_saveexec_b64 s[42:43], s[42:43]
; %bb.235:
	v_mov_b32_e32 v3, 0
	v_or_b32_e32 v4, 0x10000, v2
	v_cmp_eq_u32_sdwa vcc, v2, v3 src0_sel:WORD_0 src1_sel:DWORD
	v_cndmask_b32_e32 v4, v4, v2, vcc
; %bb.236:
	s_or_b64 exec, exec, s[42:43]
	v_lshrrev_b32_e32 v2, 16, v4
.LBB101_237:
	s_or_b64 exec, exec, s[40:41]
	s_mov_b32 s7, 0x10000
	v_cmp_gt_u32_e64 s[40:41], s7, v54
	v_mov_b32_e32 v3, v54
	s_and_saveexec_b64 s[42:43], s[40:41]
	s_cbranch_execz .LBB101_243
; %bb.238:
	v_lshlrev_b32_e32 v2, 16, v2
	v_lshlrev_b32_e32 v4, 16, v54
	v_pk_add_f32 v[2:3], v[2:3], v[4:5] op_sel_hi:[0,1]
	s_mov_b32 s7, 0x7f800000
	v_and_b32_e32 v3, 0x7f800000, v2
	v_cmp_ne_u32_e32 vcc, s7, v3
                                        ; implicit-def: $vgpr4
	s_and_saveexec_b64 s[44:45], vcc
	s_xor_b64 s[44:45], exec, s[44:45]
; %bb.239:
	v_bfe_u32 v3, v2, 16, 1
	s_movk_i32 s7, 0x7fff
	v_add3_u32 v4, v2, v3, s7
                                        ; implicit-def: $vgpr2_vgpr3
; %bb.240:
	s_andn2_saveexec_b64 s[44:45], s[44:45]
; %bb.241:
	v_mov_b32_e32 v3, 0
	v_or_b32_e32 v4, 0x10000, v2
	v_cmp_eq_u32_sdwa vcc, v2, v3 src0_sel:WORD_0 src1_sel:DWORD
	v_cndmask_b32_e32 v4, v4, v2, vcc
; %bb.242:
	s_or_b64 exec, exec, s[44:45]
	v_lshrrev_b32_e32 v3, 16, v4
.LBB101_243:
	s_or_b64 exec, exec, s[42:43]
	s_mov_b32 s7, 0x10000
	v_cmp_gt_u32_e64 s[42:43], s7, v55
	v_mov_b32_e32 v2, v55
	s_and_saveexec_b64 s[44:45], s[42:43]
	s_cbranch_execz .LBB101_249
; %bb.244:
	v_lshlrev_b32_e32 v2, 16, v3
	v_lshlrev_b32_e32 v4, 16, v55
	v_pk_add_f32 v[2:3], v[2:3], v[4:5] op_sel_hi:[0,1]
	s_mov_b32 s7, 0x7f800000
	v_and_b32_e32 v3, 0x7f800000, v2
	v_cmp_ne_u32_e32 vcc, s7, v3
                                        ; implicit-def: $vgpr4
	s_and_saveexec_b64 s[46:47], vcc
	s_xor_b64 s[46:47], exec, s[46:47]
; %bb.245:
	v_bfe_u32 v3, v2, 16, 1
	s_movk_i32 s7, 0x7fff
	v_add3_u32 v4, v2, v3, s7
                                        ; implicit-def: $vgpr2_vgpr3
; %bb.246:
	s_andn2_saveexec_b64 s[46:47], s[46:47]
; %bb.247:
	v_mov_b32_e32 v3, 0
	v_or_b32_e32 v4, 0x10000, v2
	v_cmp_eq_u32_sdwa vcc, v2, v3 src0_sel:WORD_0 src1_sel:DWORD
	v_cndmask_b32_e32 v4, v4, v2, vcc
; %bb.248:
	s_or_b64 exec, exec, s[46:47]
	v_lshrrev_b32_e32 v2, 16, v4
.LBB101_249:
	s_or_b64 exec, exec, s[44:45]
	s_mov_b32 s7, 0x10000
	v_cmp_gt_u32_e64 s[46:47], s7, v46
	v_mov_b32_e32 v3, v46
	s_and_saveexec_b64 s[44:45], s[46:47]
	s_cbranch_execz .LBB101_255
; %bb.250:
	v_lshlrev_b32_e32 v2, 16, v2
	v_lshlrev_b32_e32 v4, 16, v46
	v_pk_add_f32 v[2:3], v[2:3], v[4:5] op_sel_hi:[0,1]
	s_mov_b32 s7, 0x7f800000
	v_and_b32_e32 v3, 0x7f800000, v2
	v_cmp_ne_u32_e32 vcc, s7, v3
                                        ; implicit-def: $vgpr4
	s_and_saveexec_b64 s[48:49], vcc
	s_xor_b64 s[48:49], exec, s[48:49]
; %bb.251:
	v_bfe_u32 v3, v2, 16, 1
	s_movk_i32 s7, 0x7fff
	v_add3_u32 v4, v2, v3, s7
                                        ; implicit-def: $vgpr2_vgpr3
; %bb.252:
	s_andn2_saveexec_b64 s[48:49], s[48:49]
; %bb.253:
	v_mov_b32_e32 v3, 0
	v_or_b32_e32 v4, 0x10000, v2
	v_cmp_eq_u32_sdwa vcc, v2, v3 src0_sel:WORD_0 src1_sel:DWORD
	v_cndmask_b32_e32 v4, v4, v2, vcc
; %bb.254:
	s_or_b64 exec, exec, s[48:49]
	v_lshrrev_b32_e32 v3, 16, v4
.LBB101_255:
	s_or_b64 exec, exec, s[44:45]
	s_mov_b32 s7, 0x10000
	v_cmp_gt_u32_e64 s[48:49], s7, v47
	v_mov_b32_e32 v2, v47
	s_and_saveexec_b64 s[44:45], s[48:49]
	s_cbranch_execz .LBB101_261
; %bb.256:
	v_lshlrev_b32_e32 v2, 16, v3
	v_lshlrev_b32_e32 v4, 16, v47
	v_pk_add_f32 v[2:3], v[2:3], v[4:5] op_sel_hi:[0,1]
	s_mov_b32 s7, 0x7f800000
	v_and_b32_e32 v3, 0x7f800000, v2
	v_cmp_ne_u32_e32 vcc, s7, v3
                                        ; implicit-def: $vgpr4
	s_and_saveexec_b64 s[50:51], vcc
	s_xor_b64 s[50:51], exec, s[50:51]
; %bb.257:
	v_bfe_u32 v3, v2, 16, 1
	s_movk_i32 s7, 0x7fff
	v_add3_u32 v4, v2, v3, s7
                                        ; implicit-def: $vgpr2_vgpr3
; %bb.258:
	s_andn2_saveexec_b64 s[50:51], s[50:51]
; %bb.259:
	v_mov_b32_e32 v3, 0
	v_or_b32_e32 v4, 0x10000, v2
	v_cmp_eq_u32_sdwa vcc, v2, v3 src0_sel:WORD_0 src1_sel:DWORD
	v_cndmask_b32_e32 v4, v4, v2, vcc
; %bb.260:
	s_or_b64 exec, exec, s[50:51]
	v_lshrrev_b32_e32 v2, 16, v4
.LBB101_261:
	s_or_b64 exec, exec, s[44:45]
	s_mov_b32 s7, 0x10000
	v_cmp_gt_u32_e64 s[44:45], s7, v5
	v_mov_b32_e32 v3, v5
	s_and_saveexec_b64 s[50:51], s[44:45]
	s_cbranch_execz .LBB101_267
; %bb.262:
	v_lshlrev_b32_e32 v2, 16, v2
	v_lshlrev_b32_e32 v4, 16, v5
	v_pk_add_f32 v[2:3], v[2:3], v[4:5] op_sel_hi:[0,1]
	s_mov_b32 s7, 0x7f800000
	v_and_b32_e32 v3, 0x7f800000, v2
	v_cmp_ne_u32_e32 vcc, s7, v3
                                        ; implicit-def: $vgpr4
	s_and_saveexec_b64 s[54:55], vcc
	s_xor_b64 s[54:55], exec, s[54:55]
; %bb.263:
	v_bfe_u32 v3, v2, 16, 1
	s_movk_i32 s7, 0x7fff
	v_add3_u32 v4, v2, v3, s7
                                        ; implicit-def: $vgpr2_vgpr3
; %bb.264:
	s_andn2_saveexec_b64 s[54:55], s[54:55]
; %bb.265:
	v_mov_b32_e32 v3, 0
	v_or_b32_e32 v4, 0x10000, v2
	v_cmp_eq_u32_sdwa vcc, v2, v3 src0_sel:WORD_0 src1_sel:DWORD
	v_cndmask_b32_e32 v4, v4, v2, vcc
; %bb.266:
	s_or_b64 exec, exec, s[54:55]
	v_lshrrev_b32_e32 v3, 16, v4
.LBB101_267:
	s_or_b64 exec, exec, s[50:51]
	s_mov_b32 s7, 0x10000
	v_cmp_gt_u32_e32 vcc, s7, v1
	v_mov_b32_e32 v6, v1
	s_and_saveexec_b64 s[50:51], vcc
	s_cbranch_execz .LBB101_273
; %bb.268:
	v_lshlrev_b32_e32 v2, 16, v3
	v_lshlrev_b32_e32 v4, 16, v1
	v_pk_add_f32 v[2:3], v[2:3], v[4:5] op_sel_hi:[0,1]
	s_mov_b32 s7, 0x7f800000
	v_and_b32_e32 v3, 0x7f800000, v2
	v_cmp_ne_u32_e32 vcc, s7, v3
                                        ; implicit-def: $vgpr4
	s_and_saveexec_b64 s[54:55], vcc
	s_xor_b64 s[54:55], exec, s[54:55]
; %bb.269:
	v_bfe_u32 v3, v2, 16, 1
	s_movk_i32 s7, 0x7fff
	v_add3_u32 v4, v2, v3, s7
                                        ; implicit-def: $vgpr2_vgpr3
; %bb.270:
	s_andn2_saveexec_b64 s[54:55], s[54:55]
; %bb.271:
	v_mov_b32_e32 v3, 0
	v_or_b32_e32 v4, 0x10000, v2
	v_cmp_eq_u32_sdwa vcc, v2, v3 src0_sel:WORD_0 src1_sel:DWORD
	v_cndmask_b32_e32 v4, v4, v2, vcc
; %bb.272:
	s_or_b64 exec, exec, s[54:55]
	v_lshrrev_b32_e32 v6, 16, v4
.LBB101_273:
	s_or_b64 exec, exec, s[50:51]
	v_or3_b32 v3, v5, v47, v46
	v_or3_b32 v3, v3, v55, v54
	;; [unrolled: 1-line block ×11, first 2 shown]
	v_and_b32_e32 v3, 0x10000, v3
	v_and_b32_e32 v2, 0x10000, v35
	v_mov_b32_e32 v4, 0x10000
	v_cmp_ne_u32_e32 vcc, 0, v3
	v_cndmask_b32_e32 v8, v2, v4, vcc
	v_or_b32_sdwa v4, v6, v8 dst_sel:DWORD dst_unused:UNUSED_PAD src0_sel:WORD_0 src1_sel:DWORD
	v_mov_b32_e32 v7, v35
	v_cmp_eq_u32_e32 vcc, 0, v8
	v_mov_b32_dpp v10, v4 row_shr:1 row_mask:0xf bank_mask:0xf
	v_mov_b32_e32 v9, v6
	s_and_saveexec_b64 s[50:51], vcc
	s_xor_b64 s[50:51], exec, s[50:51]
	s_cbranch_execz .LBB101_279
; %bb.274:
	v_mov_b32_e32 v3, 16
	v_lshlrev_b32_e32 v2, 16, v10
	v_lshlrev_b32_sdwa v12, v3, v6 dst_sel:DWORD dst_unused:UNUSED_PAD src0_sel:DWORD src1_sel:WORD_0
	v_pk_add_f32 v[2:3], v[2:3], v[12:13] op_sel_hi:[0,1]
	s_mov_b32 s7, 0x7f800000
	v_and_b32_e32 v3, 0x7f800000, v2
	v_cmp_ne_u32_e32 vcc, s7, v3
                                        ; implicit-def: $vgpr9
	s_and_saveexec_b64 s[54:55], vcc
	s_xor_b64 s[54:55], exec, s[54:55]
; %bb.275:
	v_bfe_u32 v3, v2, 16, 1
	s_movk_i32 s7, 0x7fff
	v_add3_u32 v9, v2, v3, s7
                                        ; implicit-def: $vgpr2_vgpr3
; %bb.276:
	s_andn2_saveexec_b64 s[54:55], s[54:55]
; %bb.277:
	v_mov_b32_e32 v3, 0
	v_or_b32_e32 v9, 0x10000, v2
	v_cmp_eq_u32_sdwa vcc, v2, v3 src0_sel:WORD_0 src1_sel:DWORD
	v_cndmask_b32_e32 v9, v9, v2, vcc
; %bb.278:
	s_or_b64 exec, exec, s[54:55]
	v_lshrrev_b32_e32 v9, 16, v9
.LBB101_279:
	s_or_b64 exec, exec, s[50:51]
	v_mbcnt_lo_u32_b32 v2, -1, 0
	v_mbcnt_hi_u32_b32 v17, -1, v2
	v_and_b32_e32 v2, 0x10000, v8
	v_mov_b32_e32 v3, 1
	v_and_b32_sdwa v3, v10, v3 dst_sel:DWORD dst_unused:UNUSED_PAD src0_sel:WORD_1 src1_sel:DWORD
	v_cmp_ne_u32_e32 vcc, 0, v2
	v_cndmask_b32_e64 v10, v3, 1, vcc
	v_and_b32_e32 v11, 15, v17
	v_lshlrev_b32_e32 v2, 16, v10
	v_or_b32_sdwa v2, v2, v9 dst_sel:DWORD dst_unused:UNUSED_PAD src0_sel:DWORD src1_sel:WORD_0
	v_cmp_eq_u32_e32 vcc, 0, v11
	v_cndmask_b32_e32 v4, v2, v4, vcc
	s_mov_b32 s7, 0x10000
	v_cmp_gt_u32_e64 s[50:51], s7, v4
	v_mov_b32_dpp v12, v4 row_shr:2 row_mask:0xf bank_mask:0xf
	v_mov_b32_e32 v2, v4
	s_and_saveexec_b64 s[54:55], s[50:51]
	s_cbranch_execz .LBB101_285
; %bb.280:
	v_lshlrev_b32_e32 v2, 16, v4
	v_lshlrev_b32_e32 v14, 16, v12
	v_pk_add_f32 v[2:3], v[2:3], v[14:15] op_sel_hi:[0,1]
	s_mov_b32 s7, 0x7f800000
	v_and_b32_e32 v3, 0x7f800000, v2
	v_cmp_ne_u32_e64 s[50:51], s7, v3
                                        ; implicit-def: $vgpr13
	s_and_saveexec_b64 s[60:61], s[50:51]
	s_xor_b64 s[50:51], exec, s[60:61]
; %bb.281:
	v_bfe_u32 v3, v2, 16, 1
	s_movk_i32 s7, 0x7fff
	v_add3_u32 v13, v2, v3, s7
                                        ; implicit-def: $vgpr2_vgpr3
; %bb.282:
	s_andn2_saveexec_b64 s[60:61], s[50:51]
; %bb.283:
	v_mov_b32_e32 v3, 0
	v_or_b32_e32 v13, 0x10000, v2
	v_cmp_eq_u32_sdwa s[50:51], v2, v3 src0_sel:WORD_0 src1_sel:DWORD
	v_cndmask_b32_e64 v13, v13, v2, s[50:51]
; %bb.284:
	s_or_b64 exec, exec, s[60:61]
	v_lshrrev_b32_e32 v2, 16, v13
.LBB101_285:
	s_or_b64 exec, exec, s[54:55]
	v_lshrrev_b32_e32 v3, 16, v8
	v_cndmask_b32_e32 v8, v9, v6, vcc
	v_cndmask_b32_e32 v6, v10, v3, vcc
	v_lshrrev_b32_e32 v9, 16, v4
	v_cmp_lt_u32_e32 vcc, 1, v11
	v_mov_b32_e32 v10, v4
	s_and_saveexec_b64 s[50:51], vcc
; %bb.286:
	v_and_b32_e32 v3, 0x10000, v4
	v_mov_b32_e32 v4, 1
	v_and_b32_sdwa v4, v12, v4 dst_sel:DWORD dst_unused:UNUSED_PAD src0_sel:WORD_1 src1_sel:DWORD
	v_cmp_ne_u32_e32 vcc, 0, v3
	v_cndmask_b32_e64 v6, v4, 1, vcc
	v_lshlrev_b32_e32 v3, 16, v6
	v_or_b32_sdwa v10, v3, v2 dst_sel:DWORD dst_unused:UNUSED_PAD src0_sel:DWORD src1_sel:WORD_0
	v_mov_b32_e32 v8, v2
	v_mov_b32_e32 v9, v6
	;; [unrolled: 1-line block ×3, first 2 shown]
; %bb.287:
	s_or_b64 exec, exec, s[50:51]
	v_mov_b32_dpp v12, v10 row_shr:4 row_mask:0xf bank_mask:0xf
	v_cmp_eq_u16_e32 vcc, 0, v9
	v_mov_b32_e32 v2, v4
	s_and_saveexec_b64 s[50:51], vcc
	s_cbranch_execz .LBB101_293
; %bb.288:
	v_lshlrev_b32_e32 v2, 16, v12
	v_lshlrev_b32_e32 v14, 16, v4
	v_pk_add_f32 v[2:3], v[2:3], v[14:15] op_sel_hi:[0,1]
	s_mov_b32 s7, 0x7f800000
	v_and_b32_e32 v3, 0x7f800000, v2
	v_cmp_ne_u32_e32 vcc, s7, v3
                                        ; implicit-def: $vgpr13
	s_and_saveexec_b64 s[54:55], vcc
	s_xor_b64 s[54:55], exec, s[54:55]
; %bb.289:
	v_bfe_u32 v3, v2, 16, 1
	s_movk_i32 s7, 0x7fff
	v_add3_u32 v13, v2, v3, s7
                                        ; implicit-def: $vgpr2_vgpr3
; %bb.290:
	s_andn2_saveexec_b64 s[54:55], s[54:55]
; %bb.291:
	v_mov_b32_e32 v3, 0
	v_or_b32_e32 v13, 0x10000, v2
	v_cmp_eq_u32_sdwa vcc, v2, v3 src0_sel:WORD_0 src1_sel:DWORD
	v_cndmask_b32_e32 v13, v13, v2, vcc
; %bb.292:
	s_or_b64 exec, exec, s[54:55]
	v_lshrrev_b32_e32 v2, 16, v13
.LBB101_293:
	s_or_b64 exec, exec, s[50:51]
	v_cmp_lt_u32_e32 vcc, 3, v11
	s_and_saveexec_b64 s[50:51], vcc
; %bb.294:
	v_and_b32_e32 v3, 1, v9
	v_mov_b32_e32 v4, 1
	v_and_b32_sdwa v4, v12, v4 dst_sel:DWORD dst_unused:UNUSED_PAD src0_sel:WORD_1 src1_sel:DWORD
	v_cmp_eq_u32_e32 vcc, 1, v3
	v_cndmask_b32_e64 v6, v4, 1, vcc
	v_lshlrev_b32_e32 v3, 16, v6
	v_or_b32_sdwa v10, v3, v2 dst_sel:DWORD dst_unused:UNUSED_PAD src0_sel:DWORD src1_sel:WORD_0
	v_mov_b32_e32 v8, v2
	v_mov_b32_e32 v9, v6
	;; [unrolled: 1-line block ×3, first 2 shown]
; %bb.295:
	s_or_b64 exec, exec, s[50:51]
	v_mov_b32_dpp v12, v10 row_shr:8 row_mask:0xf bank_mask:0xf
	v_cmp_eq_u16_e32 vcc, 0, v9
	v_mov_b32_e32 v2, v4
	s_and_saveexec_b64 s[50:51], vcc
	s_cbranch_execz .LBB101_301
; %bb.296:
	v_lshlrev_b32_e32 v2, 16, v12
	v_lshlrev_b32_e32 v14, 16, v4
	v_pk_add_f32 v[2:3], v[2:3], v[14:15] op_sel_hi:[0,1]
	s_mov_b32 s7, 0x7f800000
	v_and_b32_e32 v3, 0x7f800000, v2
	v_cmp_ne_u32_e32 vcc, s7, v3
                                        ; implicit-def: $vgpr13
	s_and_saveexec_b64 s[54:55], vcc
	s_xor_b64 s[54:55], exec, s[54:55]
; %bb.297:
	v_bfe_u32 v3, v2, 16, 1
	s_movk_i32 s7, 0x7fff
	v_add3_u32 v13, v2, v3, s7
                                        ; implicit-def: $vgpr2_vgpr3
; %bb.298:
	s_andn2_saveexec_b64 s[54:55], s[54:55]
; %bb.299:
	v_mov_b32_e32 v3, 0
	v_or_b32_e32 v13, 0x10000, v2
	v_cmp_eq_u32_sdwa vcc, v2, v3 src0_sel:WORD_0 src1_sel:DWORD
	v_cndmask_b32_e32 v13, v13, v2, vcc
; %bb.300:
	s_or_b64 exec, exec, s[54:55]
	v_lshrrev_b32_e32 v2, 16, v13
.LBB101_301:
	s_or_b64 exec, exec, s[50:51]
	v_cmp_lt_u32_e32 vcc, 7, v11
	s_and_saveexec_b64 s[50:51], vcc
; %bb.302:
	v_and_b32_e32 v3, 1, v9
	v_mov_b32_e32 v4, 1
	v_and_b32_sdwa v4, v12, v4 dst_sel:DWORD dst_unused:UNUSED_PAD src0_sel:WORD_1 src1_sel:DWORD
	v_cmp_eq_u32_e32 vcc, 1, v3
	v_cndmask_b32_e64 v6, v4, 1, vcc
	v_lshlrev_b32_e32 v3, 16, v6
	v_or_b32_sdwa v10, v3, v2 dst_sel:DWORD dst_unused:UNUSED_PAD src0_sel:DWORD src1_sel:WORD_0
	v_mov_b32_e32 v8, v2
	v_mov_b32_e32 v9, v6
	;; [unrolled: 1-line block ×3, first 2 shown]
; %bb.303:
	s_or_b64 exec, exec, s[50:51]
	v_mov_b32_dpp v11, v10 row_bcast:15 row_mask:0xf bank_mask:0xf
	v_cmp_eq_u16_e32 vcc, 0, v9
	v_mov_b32_e32 v2, v4
	s_and_saveexec_b64 s[50:51], vcc
	s_cbranch_execz .LBB101_309
; %bb.304:
	v_lshlrev_b32_e32 v2, 16, v11
	v_lshlrev_b32_e32 v12, 16, v4
	v_pk_add_f32 v[2:3], v[2:3], v[12:13] op_sel_hi:[0,1]
	s_mov_b32 s7, 0x7f800000
	v_and_b32_e32 v3, 0x7f800000, v2
	v_cmp_ne_u32_e32 vcc, s7, v3
                                        ; implicit-def: $vgpr12
	s_and_saveexec_b64 s[54:55], vcc
	s_xor_b64 s[54:55], exec, s[54:55]
; %bb.305:
	v_bfe_u32 v3, v2, 16, 1
	s_movk_i32 s7, 0x7fff
	v_add3_u32 v12, v2, v3, s7
                                        ; implicit-def: $vgpr2_vgpr3
; %bb.306:
	s_andn2_saveexec_b64 s[54:55], s[54:55]
; %bb.307:
	v_mov_b32_e32 v3, 0
	v_or_b32_e32 v12, 0x10000, v2
	v_cmp_eq_u32_sdwa vcc, v2, v3 src0_sel:WORD_0 src1_sel:DWORD
	v_cndmask_b32_e32 v12, v12, v2, vcc
; %bb.308:
	s_or_b64 exec, exec, s[54:55]
	v_lshrrev_b32_e32 v2, 16, v12
.LBB101_309:
	s_or_b64 exec, exec, s[50:51]
	v_and_b32_e32 v3, 16, v17
	v_cmp_ne_u32_e32 vcc, 0, v3
	s_and_saveexec_b64 s[50:51], vcc
; %bb.310:
	v_and_b32_e32 v3, 1, v9
	v_mov_b32_e32 v4, 1
	v_and_b32_sdwa v4, v11, v4 dst_sel:DWORD dst_unused:UNUSED_PAD src0_sel:WORD_1 src1_sel:DWORD
	v_cmp_eq_u32_e32 vcc, 1, v3
	v_cndmask_b32_e64 v6, v4, 1, vcc
	v_lshlrev_b32_e32 v3, 16, v6
	v_or_b32_sdwa v10, v3, v2 dst_sel:DWORD dst_unused:UNUSED_PAD src0_sel:DWORD src1_sel:WORD_0
	v_mov_b32_e32 v8, v2
	v_mov_b32_e32 v9, v6
	;; [unrolled: 1-line block ×3, first 2 shown]
; %bb.311:
	s_or_b64 exec, exec, s[50:51]
	v_mov_b32_dpp v10, v10 row_bcast:31 row_mask:0xf bank_mask:0xf
	v_cmp_eq_u16_e32 vcc, 0, v9
	v_mov_b32_e32 v2, v4
	s_and_saveexec_b64 s[50:51], vcc
	s_cbranch_execz .LBB101_593
; %bb.312:
	v_lshlrev_b32_e32 v2, 16, v10
	v_lshlrev_b32_e32 v12, 16, v4
	v_pk_add_f32 v[2:3], v[2:3], v[12:13] op_sel_hi:[0,1]
	s_mov_b32 s7, 0x7f800000
	v_and_b32_e32 v3, 0x7f800000, v2
	v_cmp_ne_u32_e32 vcc, s7, v3
                                        ; implicit-def: $vgpr11
	s_and_saveexec_b64 s[54:55], vcc
	s_xor_b64 s[54:55], exec, s[54:55]
; %bb.313:
	v_bfe_u32 v3, v2, 16, 1
	s_movk_i32 s7, 0x7fff
	v_add3_u32 v11, v2, v3, s7
                                        ; implicit-def: $vgpr2_vgpr3
; %bb.314:
	s_andn2_saveexec_b64 s[54:55], s[54:55]
; %bb.315:
	v_mov_b32_e32 v3, 0
	v_or_b32_e32 v11, 0x10000, v2
	v_cmp_eq_u32_sdwa vcc, v2, v3 src0_sel:WORD_0 src1_sel:DWORD
	v_cndmask_b32_e32 v11, v11, v2, vcc
; %bb.316:
	s_or_b64 exec, exec, s[54:55]
	v_lshrrev_b32_e32 v2, 16, v11
	s_or_b64 exec, exec, s[50:51]
	v_cmp_lt_u32_e32 vcc, 31, v17
	s_and_saveexec_b64 s[50:51], vcc
	s_cbranch_execnz .LBB101_594
.LBB101_317:
	s_or_b64 exec, exec, s[50:51]
	v_cmp_eq_u32_e32 vcc, 63, v0
	s_and_saveexec_b64 s[50:51], vcc
	s_cbranch_execz .LBB101_319
.LBB101_318:
	v_mov_b32_e32 v2, 0
	ds_write_b16 v2, v4
	ds_write_b8 v2, v9 offset:2
.LBB101_319:
	s_or_b64 exec, exec, s[50:51]
	v_add_u32_e32 v3, -1, v17
	v_and_b32_e32 v4, 64, v17
	v_cmp_lt_i32_e32 vcc, v3, v4
	v_lshlrev_b32_e32 v2, 16, v6
	v_cndmask_b32_e32 v3, v3, v17, vcc
	v_or_b32_sdwa v2, v2, v8 dst_sel:DWORD dst_unused:UNUSED_PAD src0_sel:DWORD src1_sel:WORD_0
	v_lshlrev_b32_e32 v3, 2, v3
	ds_bpermute_b32 v4, v3, v2
	v_cmp_gt_u32_e32 vcc, 64, v0
	s_waitcnt lgkmcnt(0)
	; wave barrier
	s_waitcnt lgkmcnt(0)
	s_and_saveexec_b64 s[54:55], vcc
	s_cbranch_execz .LBB101_446
; %bb.320:
	v_mov_b32_e32 v11, 0
	ds_read_b32 v2, v11
	s_mov_b32 s63, 0
	v_cmp_eq_u32_e64 s[50:51], 0, v17
	s_waitcnt lgkmcnt(0)
	v_readfirstlane_b32 s7, v2
	s_and_saveexec_b64 s[60:61], s[50:51]
	s_cbranch_execz .LBB101_322
; %bb.321:
	s_add_i32 s62, s6, 64
	s_lshl_b64 s[62:63], s[62:63], 3
	s_add_u32 s62, s56, s62
	s_addc_u32 s63, s57, s63
	v_mov_b32_e32 v2, s7
	v_mov_b32_e32 v3, 1
	global_store_dwordx2 v11, v[2:3], s[62:63]
.LBB101_322:
	s_or_b64 exec, exec, s[60:61]
	v_xad_u32 v2, v17, -1, s6
	v_add_u32_e32 v10, 64, v2
	v_lshlrev_b64 v[8:9], 3, v[10:11]
	v_mov_b32_e32 v3, s57
	v_add_co_u32_e32 v14, vcc, s56, v8
	v_addc_co_u32_e32 v15, vcc, v3, v9, vcc
	global_load_dwordx2 v[8:9], v[14:15], off glc
	s_waitcnt vmcnt(0)
	v_cmp_eq_u16_sdwa s[62:63], v9, v11 src0_sel:BYTE_0 src1_sel:DWORD
	v_pk_mov_b32 v[12:13], v[8:9], v[8:9] op_sel:[0,1]
	s_and_saveexec_b64 s[60:61], s[62:63]
	s_cbranch_execz .LBB101_326
; %bb.323:
	s_mov_b64 s[62:63], 0
	v_mov_b32_e32 v3, 0
.LBB101_324:                            ; =>This Inner Loop Header: Depth=1
	global_load_dwordx2 v[8:9], v[14:15], off glc
	s_waitcnt vmcnt(0)
	v_cmp_ne_u16_sdwa s[68:69], v9, v3 src0_sel:BYTE_0 src1_sel:DWORD
	s_or_b64 s[62:63], s[68:69], s[62:63]
	s_andn2_b64 exec, exec, s[62:63]
	s_cbranch_execnz .LBB101_324
; %bb.325:
	s_or_b64 exec, exec, s[62:63]
	v_pk_mov_b32 v[12:13], v[8:9], v[8:9] op_sel:[0,1]
.LBB101_326:
	s_or_b64 exec, exec, s[60:61]
	v_mov_b32_e32 v3, 2
	v_cmp_eq_u16_sdwa s[60:61], v9, v3 src0_sel:BYTE_0 src1_sel:DWORD
	v_lshlrev_b64 v[10:11], v17, -1
	v_and_b32_e32 v3, s61, v11
	v_or_b32_e32 v3, 0x80000000, v3
	v_and_b32_e32 v6, s60, v10
	v_ffbl_b32_e32 v3, v3
	v_and_b32_e32 v8, 63, v17
	v_add_u32_e32 v3, 32, v3
	v_ffbl_b32_e32 v6, v6
	v_cmp_ne_u32_e32 vcc, 63, v8
	v_min_u32_e32 v3, v6, v3
	v_addc_co_u32_e32 v6, vcc, 0, v17, vcc
	v_and_b32_e32 v25, 0xffffff, v12
	v_lshlrev_b32_e32 v6, 2, v6
	ds_bpermute_b32 v15, v6, v25
	v_add_u32_e32 v14, 1, v17
	v_lshrrev_b32_e32 v13, 16, v12
	v_cmp_le_u32_e32 vcc, v14, v3
	v_bfe_u32 v26, v12, 16, 8
	s_and_saveexec_b64 s[60:61], vcc
	s_cbranch_execz .LBB101_334
; %bb.327:
	v_and_b32_e32 v16, 0xff0000, v12
	v_cmp_eq_u32_e32 vcc, 0, v16
	s_and_saveexec_b64 s[62:63], vcc
	s_cbranch_execz .LBB101_333
; %bb.328:
	s_waitcnt lgkmcnt(0)
	v_lshlrev_b32_e32 v18, 16, v15
	v_lshlrev_b32_e32 v12, 16, v12
	v_pk_add_f32 v[12:13], v[18:19], v[12:13] op_sel_hi:[0,1]
	s_mov_b32 s59, 0x7f800000
	v_and_b32_e32 v13, 0x7f800000, v12
	v_cmp_ne_u32_e32 vcc, s59, v13
                                        ; implicit-def: $vgpr18
	s_and_saveexec_b64 s[68:69], vcc
	s_xor_b64 s[68:69], exec, s[68:69]
; %bb.329:
	v_bfe_u32 v13, v12, 16, 1
	s_movk_i32 s59, 0x7fff
	v_add3_u32 v18, v12, v13, s59
                                        ; implicit-def: $vgpr12_vgpr13
; %bb.330:
	s_andn2_saveexec_b64 s[68:69], s[68:69]
; %bb.331:
	v_mov_b32_e32 v13, 0
	v_or_b32_e32 v18, 0x10000, v12
	v_cmp_eq_u32_sdwa vcc, v12, v13 src0_sel:WORD_0 src1_sel:DWORD
	v_cndmask_b32_e32 v18, v18, v12, vcc
; %bb.332:
	s_or_b64 exec, exec, s[68:69]
	v_lshrrev_b32_e32 v12, 16, v18
.LBB101_333:
	s_or_b64 exec, exec, s[62:63]
	v_and_b32_e32 v13, 0x10000, v16
	v_mov_b32_e32 v16, 1
	s_waitcnt lgkmcnt(0)
	v_and_b32_sdwa v15, v15, v16 dst_sel:DWORD dst_unused:UNUSED_PAD src0_sel:WORD_1 src1_sel:DWORD
	v_cmp_ne_u32_e32 vcc, 0, v13
	v_cndmask_b32_e64 v26, v15, 1, vcc
	v_lshlrev_b32_e32 v13, 16, v26
	v_or_b32_sdwa v25, v13, v12 dst_sel:DWORD dst_unused:UNUSED_PAD src0_sel:DWORD src1_sel:WORD_0
	v_mov_b32_e32 v13, v26
.LBB101_334:
	s_or_b64 exec, exec, s[60:61]
	v_cmp_gt_u32_e32 vcc, 62, v8
	s_waitcnt lgkmcnt(0)
	v_cndmask_b32_e64 v15, 0, 1, vcc
	v_lshlrev_b32_e32 v15, 1, v15
	v_add_lshl_u32 v15, v15, v17, 2
	ds_bpermute_b32 v18, v15, v25
	v_add_u32_e32 v16, 2, v17
	v_cmp_le_u32_e32 vcc, v16, v3
	s_and_saveexec_b64 s[60:61], vcc
	s_cbranch_execz .LBB101_342
; %bb.335:
	v_cmp_eq_u16_e32 vcc, 0, v26
	s_and_saveexec_b64 s[62:63], vcc
	s_cbranch_execz .LBB101_341
; %bb.336:
	s_waitcnt lgkmcnt(0)
	v_lshlrev_b32_e32 v20, 16, v18
	v_lshlrev_b32_e32 v12, 16, v12
	v_pk_add_f32 v[12:13], v[20:21], v[12:13] op_sel_hi:[0,1]
	s_mov_b32 s59, 0x7f800000
	v_and_b32_e32 v13, 0x7f800000, v12
	v_cmp_ne_u32_e32 vcc, s59, v13
                                        ; implicit-def: $vgpr19
	s_and_saveexec_b64 s[68:69], vcc
	s_xor_b64 s[68:69], exec, s[68:69]
; %bb.337:
	v_bfe_u32 v13, v12, 16, 1
	s_movk_i32 s59, 0x7fff
	v_add3_u32 v19, v12, v13, s59
                                        ; implicit-def: $vgpr12_vgpr13
; %bb.338:
	s_andn2_saveexec_b64 s[68:69], s[68:69]
; %bb.339:
	v_mov_b32_e32 v13, 0
	v_or_b32_e32 v19, 0x10000, v12
	v_cmp_eq_u32_sdwa vcc, v12, v13 src0_sel:WORD_0 src1_sel:DWORD
	v_cndmask_b32_e32 v19, v19, v12, vcc
; %bb.340:
	s_or_b64 exec, exec, s[68:69]
	v_lshrrev_b32_e32 v12, 16, v19
.LBB101_341:
	s_or_b64 exec, exec, s[62:63]
	v_and_b32_e32 v13, 1, v26
	v_mov_b32_e32 v19, 1
	s_waitcnt lgkmcnt(0)
	v_and_b32_sdwa v18, v18, v19 dst_sel:DWORD dst_unused:UNUSED_PAD src0_sel:WORD_1 src1_sel:DWORD
	v_cmp_eq_u32_e32 vcc, 1, v13
	v_cndmask_b32_e64 v26, v18, 1, vcc
	v_lshlrev_b32_e32 v13, 16, v26
	v_or_b32_sdwa v25, v13, v12 dst_sel:DWORD dst_unused:UNUSED_PAD src0_sel:DWORD src1_sel:WORD_0
	v_mov_b32_e32 v13, v26
.LBB101_342:
	s_or_b64 exec, exec, s[60:61]
	v_cmp_gt_u32_e32 vcc, 60, v8
	s_waitcnt lgkmcnt(0)
	v_cndmask_b32_e64 v18, 0, 1, vcc
	v_lshlrev_b32_e32 v18, 2, v18
	v_add_lshl_u32 v18, v18, v17, 2
	ds_bpermute_b32 v20, v18, v25
	v_add_u32_e32 v19, 4, v17
	v_cmp_le_u32_e32 vcc, v19, v3
	s_and_saveexec_b64 s[60:61], vcc
	s_cbranch_execz .LBB101_350
; %bb.343:
	v_cmp_eq_u16_e32 vcc, 0, v26
	s_and_saveexec_b64 s[62:63], vcc
	s_cbranch_execz .LBB101_349
; %bb.344:
	s_waitcnt lgkmcnt(0)
	v_lshlrev_b32_e32 v22, 16, v20
	v_lshlrev_b32_e32 v12, 16, v12
	v_pk_add_f32 v[12:13], v[22:23], v[12:13] op_sel_hi:[0,1]
	s_mov_b32 s59, 0x7f800000
	v_and_b32_e32 v13, 0x7f800000, v12
	v_cmp_ne_u32_e32 vcc, s59, v13
                                        ; implicit-def: $vgpr21
	s_and_saveexec_b64 s[68:69], vcc
	s_xor_b64 s[68:69], exec, s[68:69]
; %bb.345:
	v_bfe_u32 v13, v12, 16, 1
	s_movk_i32 s59, 0x7fff
	v_add3_u32 v21, v12, v13, s59
                                        ; implicit-def: $vgpr12_vgpr13
; %bb.346:
	s_andn2_saveexec_b64 s[68:69], s[68:69]
; %bb.347:
	v_mov_b32_e32 v13, 0
	v_or_b32_e32 v21, 0x10000, v12
	v_cmp_eq_u32_sdwa vcc, v12, v13 src0_sel:WORD_0 src1_sel:DWORD
	v_cndmask_b32_e32 v21, v21, v12, vcc
; %bb.348:
	s_or_b64 exec, exec, s[68:69]
	v_lshrrev_b32_e32 v12, 16, v21
.LBB101_349:
	s_or_b64 exec, exec, s[62:63]
	v_and_b32_e32 v13, 1, v26
	v_mov_b32_e32 v21, 1
	s_waitcnt lgkmcnt(0)
	v_and_b32_sdwa v20, v20, v21 dst_sel:DWORD dst_unused:UNUSED_PAD src0_sel:WORD_1 src1_sel:DWORD
	v_cmp_eq_u32_e32 vcc, 1, v13
	v_cndmask_b32_e64 v26, v20, 1, vcc
	v_lshlrev_b32_e32 v13, 16, v26
	v_or_b32_sdwa v25, v13, v12 dst_sel:DWORD dst_unused:UNUSED_PAD src0_sel:DWORD src1_sel:WORD_0
	v_mov_b32_e32 v13, v26
.LBB101_350:
	s_or_b64 exec, exec, s[60:61]
	v_cmp_gt_u32_e32 vcc, 56, v8
	s_waitcnt lgkmcnt(0)
	v_cndmask_b32_e64 v20, 0, 1, vcc
	v_lshlrev_b32_e32 v20, 3, v20
	v_add_lshl_u32 v20, v20, v17, 2
	ds_bpermute_b32 v22, v20, v25
	v_add_u32_e32 v21, 8, v17
	v_cmp_le_u32_e32 vcc, v21, v3
	s_and_saveexec_b64 s[60:61], vcc
	s_cbranch_execz .LBB101_358
; %bb.351:
	v_cmp_eq_u16_e32 vcc, 0, v26
	s_and_saveexec_b64 s[62:63], vcc
	s_cbranch_execz .LBB101_357
; %bb.352:
	s_waitcnt lgkmcnt(0)
	v_lshlrev_b32_e32 v24, 16, v22
	v_lshlrev_b32_e32 v12, 16, v12
	v_pk_add_f32 v[12:13], v[24:25], v[12:13] op_sel_hi:[0,1]
	s_mov_b32 s59, 0x7f800000
	v_and_b32_e32 v13, 0x7f800000, v12
	v_cmp_ne_u32_e32 vcc, s59, v13
                                        ; implicit-def: $vgpr23
	s_and_saveexec_b64 s[68:69], vcc
	s_xor_b64 s[68:69], exec, s[68:69]
; %bb.353:
	v_bfe_u32 v13, v12, 16, 1
	s_movk_i32 s59, 0x7fff
	v_add3_u32 v23, v12, v13, s59
                                        ; implicit-def: $vgpr12_vgpr13
; %bb.354:
	s_andn2_saveexec_b64 s[68:69], s[68:69]
; %bb.355:
	v_mov_b32_e32 v13, 0
	v_or_b32_e32 v23, 0x10000, v12
	v_cmp_eq_u32_sdwa vcc, v12, v13 src0_sel:WORD_0 src1_sel:DWORD
	v_cndmask_b32_e32 v23, v23, v12, vcc
; %bb.356:
	s_or_b64 exec, exec, s[68:69]
	v_lshrrev_b32_e32 v12, 16, v23
.LBB101_357:
	s_or_b64 exec, exec, s[62:63]
	v_and_b32_e32 v13, 1, v26
	v_mov_b32_e32 v23, 1
	s_waitcnt lgkmcnt(0)
	v_and_b32_sdwa v22, v22, v23 dst_sel:DWORD dst_unused:UNUSED_PAD src0_sel:WORD_1 src1_sel:DWORD
	v_cmp_eq_u32_e32 vcc, 1, v13
	v_cndmask_b32_e64 v26, v22, 1, vcc
	v_lshlrev_b32_e32 v13, 16, v26
	v_or_b32_sdwa v25, v13, v12 dst_sel:DWORD dst_unused:UNUSED_PAD src0_sel:DWORD src1_sel:WORD_0
	v_mov_b32_e32 v13, v26
.LBB101_358:
	s_or_b64 exec, exec, s[60:61]
	v_cmp_gt_u32_e32 vcc, 48, v8
	s_waitcnt lgkmcnt(0)
	v_cndmask_b32_e64 v22, 0, 1, vcc
	v_lshlrev_b32_e32 v22, 4, v22
	v_add_lshl_u32 v22, v22, v17, 2
	ds_bpermute_b32 v24, v22, v25
	v_add_u32_e32 v23, 16, v17
	v_cmp_le_u32_e32 vcc, v23, v3
	s_and_saveexec_b64 s[60:61], vcc
	s_cbranch_execz .LBB101_366
; %bb.359:
	v_cmp_eq_u16_e32 vcc, 0, v26
	s_and_saveexec_b64 s[62:63], vcc
	s_cbranch_execz .LBB101_365
; %bb.360:
	s_waitcnt lgkmcnt(0)
	v_lshlrev_b32_e32 v28, 16, v24
	v_lshlrev_b32_e32 v12, 16, v12
	v_pk_add_f32 v[12:13], v[28:29], v[12:13] op_sel_hi:[0,1]
	s_mov_b32 s59, 0x7f800000
	v_and_b32_e32 v13, 0x7f800000, v12
	v_cmp_ne_u32_e32 vcc, s59, v13
                                        ; implicit-def: $vgpr25
	s_and_saveexec_b64 s[68:69], vcc
	s_xor_b64 s[68:69], exec, s[68:69]
; %bb.361:
	v_bfe_u32 v13, v12, 16, 1
	s_movk_i32 s59, 0x7fff
	v_add3_u32 v25, v12, v13, s59
                                        ; implicit-def: $vgpr12_vgpr13
; %bb.362:
	s_andn2_saveexec_b64 s[68:69], s[68:69]
; %bb.363:
	v_mov_b32_e32 v13, 0
	v_or_b32_e32 v25, 0x10000, v12
	v_cmp_eq_u32_sdwa vcc, v12, v13 src0_sel:WORD_0 src1_sel:DWORD
	v_cndmask_b32_e32 v25, v25, v12, vcc
; %bb.364:
	s_or_b64 exec, exec, s[68:69]
	v_lshrrev_b32_e32 v12, 16, v25
.LBB101_365:
	s_or_b64 exec, exec, s[62:63]
	v_and_b32_e32 v13, 1, v26
	v_mov_b32_e32 v25, 1
	s_waitcnt lgkmcnt(0)
	v_and_b32_sdwa v24, v24, v25 dst_sel:DWORD dst_unused:UNUSED_PAD src0_sel:WORD_1 src1_sel:DWORD
	v_cmp_eq_u32_e32 vcc, 1, v13
	v_cndmask_b32_e64 v26, v24, 1, vcc
	v_lshlrev_b32_e32 v13, 16, v26
	v_or_b32_sdwa v25, v13, v12 dst_sel:DWORD dst_unused:UNUSED_PAD src0_sel:DWORD src1_sel:WORD_0
	v_mov_b32_e32 v13, v26
.LBB101_366:
	s_or_b64 exec, exec, s[60:61]
	v_cmp_gt_u32_e32 vcc, 32, v8
	v_cndmask_b32_e64 v8, 0, 1, vcc
	v_lshlrev_b32_e32 v8, 5, v8
	s_waitcnt lgkmcnt(0)
	v_add_lshl_u32 v24, v8, v17, 2
	ds_bpermute_b32 v8, v24, v25
	v_add_u32_e32 v25, 32, v17
	v_cmp_le_u32_e32 vcc, v25, v3
	s_and_saveexec_b64 s[60:61], vcc
	s_cbranch_execz .LBB101_374
; %bb.367:
	v_cmp_eq_u16_e32 vcc, 0, v26
	s_and_saveexec_b64 s[62:63], vcc
	s_cbranch_execz .LBB101_373
; %bb.368:
	s_waitcnt lgkmcnt(0)
	v_lshlrev_b32_e32 v28, 16, v8
	v_lshlrev_b32_e32 v12, 16, v12
	v_pk_add_f32 v[12:13], v[28:29], v[12:13] op_sel_hi:[0,1]
	s_mov_b32 s59, 0x7f800000
	v_and_b32_e32 v3, 0x7f800000, v12
	v_cmp_ne_u32_e32 vcc, s59, v3
                                        ; implicit-def: $vgpr3
	s_and_saveexec_b64 s[68:69], vcc
	s_xor_b64 s[68:69], exec, s[68:69]
; %bb.369:
	v_bfe_u32 v3, v12, 16, 1
	s_movk_i32 s59, 0x7fff
	v_add3_u32 v3, v12, v3, s59
                                        ; implicit-def: $vgpr12_vgpr13
; %bb.370:
	s_andn2_saveexec_b64 s[68:69], s[68:69]
; %bb.371:
	v_mov_b32_e32 v3, 0
	v_or_b32_e32 v13, 0x10000, v12
	v_cmp_eq_u32_sdwa vcc, v12, v3 src0_sel:WORD_0 src1_sel:DWORD
	v_cndmask_b32_e32 v3, v13, v12, vcc
; %bb.372:
	s_or_b64 exec, exec, s[68:69]
	v_lshrrev_b32_e32 v12, 16, v3
.LBB101_373:
	s_or_b64 exec, exec, s[62:63]
	v_and_b32_e32 v3, 1, v26
	v_mov_b32_e32 v13, 1
	s_waitcnt lgkmcnt(0)
	v_and_b32_sdwa v8, v8, v13 dst_sel:DWORD dst_unused:UNUSED_PAD src0_sel:WORD_1 src1_sel:DWORD
	v_cmp_eq_u32_e32 vcc, 1, v3
	v_cndmask_b32_e64 v13, v8, 1, vcc
.LBB101_374:
	s_or_b64 exec, exec, s[60:61]
	v_mov_b32_e32 v3, 0
	s_mov_b32 s59, 0x7f800000
	s_movk_i32 s70, 0x7fff
	v_mov_b32_e32 v27, 2
	v_mov_b32_e32 v28, 1
	s_branch .LBB101_376
.LBB101_375:                            ;   in Loop: Header=BB101_376 Depth=1
                                        ; implicit-def: $vgpr13
                                        ; implicit-def: $vgpr12
                                        ; implicit-def: $vgpr9
	s_cbranch_execnz .LBB101_436
.LBB101_376:                            ; =>This Loop Header: Depth=1
                                        ;     Child Loop BB101_379 Depth 2
	v_cmp_ne_u16_sdwa s[60:61], v9, v27 src0_sel:BYTE_0 src1_sel:DWORD
	s_waitcnt lgkmcnt(0)
	v_cndmask_b32_e64 v8, 0, 1, s[60:61]
	;;#ASMSTART
	;;#ASMEND
	v_cmp_ne_u32_e32 vcc, 0, v8
	v_mov_b32_e32 v17, v13
	s_cmp_lg_u64 vcc, exec
	v_mov_b32_e32 v26, v12
	s_cbranch_scc1 .LBB101_375
; %bb.377:                              ;   in Loop: Header=BB101_376 Depth=1
	v_lshlrev_b64 v[8:9], 3, v[2:3]
	v_mov_b32_e32 v13, s57
	v_add_co_u32_e32 v12, vcc, s56, v8
	v_addc_co_u32_e32 v13, vcc, v13, v9, vcc
	global_load_dwordx2 v[8:9], v[12:13], off glc
	s_waitcnt vmcnt(0)
	v_cmp_eq_u16_sdwa s[62:63], v9, v3 src0_sel:BYTE_0 src1_sel:DWORD
	s_and_saveexec_b64 s[60:61], s[62:63]
	s_cbranch_execz .LBB101_381
; %bb.378:                              ;   in Loop: Header=BB101_376 Depth=1
	s_mov_b64 s[62:63], 0
.LBB101_379:                            ;   Parent Loop BB101_376 Depth=1
                                        ; =>  This Inner Loop Header: Depth=2
	global_load_dwordx2 v[8:9], v[12:13], off glc
	s_waitcnt vmcnt(0)
	v_cmp_ne_u16_sdwa s[68:69], v9, v3 src0_sel:BYTE_0 src1_sel:DWORD
	s_or_b64 s[62:63], s[68:69], s[62:63]
	s_andn2_b64 exec, exec, s[62:63]
	s_cbranch_execnz .LBB101_379
; %bb.380:                              ;   in Loop: Header=BB101_376 Depth=1
	s_or_b64 exec, exec, s[62:63]
.LBB101_381:                            ;   in Loop: Header=BB101_376 Depth=1
	s_or_b64 exec, exec, s[60:61]
	v_cmp_eq_u16_sdwa s[60:61], v9, v27 src0_sel:BYTE_0 src1_sel:DWORD
	v_and_b32_e32 v12, s61, v11
	v_or_b32_e32 v12, 0x80000000, v12
	v_ffbl_b32_e32 v12, v12
	v_add_u32_e32 v29, 32, v12
	v_and_b32_e32 v12, 0xffffff, v8
	ds_bpermute_b32 v32, v6, v12
	v_and_b32_e32 v13, s60, v10
	v_ffbl_b32_e32 v13, v13
	v_min_u32_e32 v29, v13, v29
	v_lshrrev_b32_e32 v31, 16, v8
	v_cmp_le_u32_e32 vcc, v14, v29
	v_bfe_u32 v30, v8, 16, 8
	s_and_saveexec_b64 s[60:61], vcc
	s_cbranch_execz .LBB101_389
; %bb.382:                              ;   in Loop: Header=BB101_376 Depth=1
	v_and_b32_e32 v30, 0xff0000, v8
	v_cmp_eq_u32_e32 vcc, 0, v30
	s_and_saveexec_b64 s[62:63], vcc
	s_cbranch_execz .LBB101_388
; %bb.383:                              ;   in Loop: Header=BB101_376 Depth=1
	s_waitcnt lgkmcnt(0)
	v_lshlrev_b32_e32 v12, 16, v32
	v_lshlrev_b32_e32 v8, 16, v8
	v_pk_add_f32 v[12:13], v[12:13], v[8:9] op_sel_hi:[0,1]
	v_and_b32_e32 v8, 0x7f800000, v12
	v_cmp_ne_u32_e32 vcc, s59, v8
                                        ; implicit-def: $vgpr8
	s_and_saveexec_b64 s[68:69], vcc
	s_xor_b64 s[68:69], exec, s[68:69]
; %bb.384:                              ;   in Loop: Header=BB101_376 Depth=1
	v_bfe_u32 v8, v12, 16, 1
	v_add3_u32 v8, v12, v8, s70
                                        ; implicit-def: $vgpr12_vgpr13
; %bb.385:                              ;   in Loop: Header=BB101_376 Depth=1
	s_andn2_saveexec_b64 s[68:69], s[68:69]
; %bb.386:                              ;   in Loop: Header=BB101_376 Depth=1
	v_or_b32_e32 v8, 0x10000, v12
	v_cmp_eq_u32_sdwa vcc, v12, v3 src0_sel:WORD_0 src1_sel:DWORD
	v_cndmask_b32_e32 v8, v8, v12, vcc
; %bb.387:                              ;   in Loop: Header=BB101_376 Depth=1
	s_or_b64 exec, exec, s[68:69]
	v_lshrrev_b32_e32 v8, 16, v8
.LBB101_388:                            ;   in Loop: Header=BB101_376 Depth=1
	s_or_b64 exec, exec, s[62:63]
	v_and_b32_e32 v12, 0x10000, v30
	s_waitcnt lgkmcnt(0)
	v_and_b32_sdwa v13, v32, v28 dst_sel:DWORD dst_unused:UNUSED_PAD src0_sel:WORD_1 src1_sel:DWORD
	v_cmp_ne_u32_e32 vcc, 0, v12
	v_cndmask_b32_e64 v30, v13, 1, vcc
	v_lshlrev_b32_e32 v12, 16, v30
	v_or_b32_sdwa v12, v12, v8 dst_sel:DWORD dst_unused:UNUSED_PAD src0_sel:DWORD src1_sel:WORD_0
	v_mov_b32_e32 v31, v30
.LBB101_389:                            ;   in Loop: Header=BB101_376 Depth=1
	s_or_b64 exec, exec, s[60:61]
	s_waitcnt lgkmcnt(0)
	ds_bpermute_b32 v32, v15, v12
	v_cmp_le_u32_e32 vcc, v16, v29
	s_and_saveexec_b64 s[60:61], vcc
	s_cbranch_execz .LBB101_397
; %bb.390:                              ;   in Loop: Header=BB101_376 Depth=1
	v_cmp_eq_u16_e32 vcc, 0, v30
	s_and_saveexec_b64 s[62:63], vcc
	s_cbranch_execz .LBB101_396
; %bb.391:                              ;   in Loop: Header=BB101_376 Depth=1
	s_waitcnt lgkmcnt(0)
	v_lshlrev_b32_e32 v12, 16, v32
	v_lshlrev_b32_e32 v8, 16, v8
	v_pk_add_f32 v[12:13], v[12:13], v[8:9] op_sel_hi:[0,1]
	v_and_b32_e32 v8, 0x7f800000, v12
	v_cmp_ne_u32_e32 vcc, s59, v8
                                        ; implicit-def: $vgpr8
	s_and_saveexec_b64 s[68:69], vcc
	s_xor_b64 s[68:69], exec, s[68:69]
; %bb.392:                              ;   in Loop: Header=BB101_376 Depth=1
	v_bfe_u32 v8, v12, 16, 1
	v_add3_u32 v8, v12, v8, s70
                                        ; implicit-def: $vgpr12_vgpr13
; %bb.393:                              ;   in Loop: Header=BB101_376 Depth=1
	s_andn2_saveexec_b64 s[68:69], s[68:69]
; %bb.394:                              ;   in Loop: Header=BB101_376 Depth=1
	v_or_b32_e32 v8, 0x10000, v12
	v_cmp_eq_u32_sdwa vcc, v12, v3 src0_sel:WORD_0 src1_sel:DWORD
	v_cndmask_b32_e32 v8, v8, v12, vcc
; %bb.395:                              ;   in Loop: Header=BB101_376 Depth=1
	s_or_b64 exec, exec, s[68:69]
	v_lshrrev_b32_e32 v8, 16, v8
.LBB101_396:                            ;   in Loop: Header=BB101_376 Depth=1
	s_or_b64 exec, exec, s[62:63]
	v_and_b32_e32 v12, 1, v30
	s_waitcnt lgkmcnt(0)
	v_and_b32_sdwa v13, v32, v28 dst_sel:DWORD dst_unused:UNUSED_PAD src0_sel:WORD_1 src1_sel:DWORD
	v_cmp_eq_u32_e32 vcc, 1, v12
	v_cndmask_b32_e64 v30, v13, 1, vcc
	v_lshlrev_b32_e32 v12, 16, v30
	v_or_b32_sdwa v12, v12, v8 dst_sel:DWORD dst_unused:UNUSED_PAD src0_sel:DWORD src1_sel:WORD_0
	v_mov_b32_e32 v31, v30
.LBB101_397:                            ;   in Loop: Header=BB101_376 Depth=1
	s_or_b64 exec, exec, s[60:61]
	s_waitcnt lgkmcnt(0)
	ds_bpermute_b32 v32, v18, v12
	v_cmp_le_u32_e32 vcc, v19, v29
	s_and_saveexec_b64 s[60:61], vcc
	s_cbranch_execz .LBB101_405
; %bb.398:                              ;   in Loop: Header=BB101_376 Depth=1
	v_cmp_eq_u16_e32 vcc, 0, v30
	s_and_saveexec_b64 s[62:63], vcc
	s_cbranch_execz .LBB101_404
; %bb.399:                              ;   in Loop: Header=BB101_376 Depth=1
	s_waitcnt lgkmcnt(0)
	v_lshlrev_b32_e32 v12, 16, v32
	v_lshlrev_b32_e32 v8, 16, v8
	v_pk_add_f32 v[12:13], v[12:13], v[8:9] op_sel_hi:[0,1]
	v_and_b32_e32 v8, 0x7f800000, v12
	v_cmp_ne_u32_e32 vcc, s59, v8
                                        ; implicit-def: $vgpr8
	s_and_saveexec_b64 s[68:69], vcc
	s_xor_b64 s[68:69], exec, s[68:69]
; %bb.400:                              ;   in Loop: Header=BB101_376 Depth=1
	v_bfe_u32 v8, v12, 16, 1
	v_add3_u32 v8, v12, v8, s70
                                        ; implicit-def: $vgpr12_vgpr13
; %bb.401:                              ;   in Loop: Header=BB101_376 Depth=1
	s_andn2_saveexec_b64 s[68:69], s[68:69]
; %bb.402:                              ;   in Loop: Header=BB101_376 Depth=1
	v_or_b32_e32 v8, 0x10000, v12
	v_cmp_eq_u32_sdwa vcc, v12, v3 src0_sel:WORD_0 src1_sel:DWORD
	v_cndmask_b32_e32 v8, v8, v12, vcc
; %bb.403:                              ;   in Loop: Header=BB101_376 Depth=1
	s_or_b64 exec, exec, s[68:69]
	v_lshrrev_b32_e32 v8, 16, v8
.LBB101_404:                            ;   in Loop: Header=BB101_376 Depth=1
	s_or_b64 exec, exec, s[62:63]
	v_and_b32_e32 v12, 1, v30
	s_waitcnt lgkmcnt(0)
	v_and_b32_sdwa v13, v32, v28 dst_sel:DWORD dst_unused:UNUSED_PAD src0_sel:WORD_1 src1_sel:DWORD
	v_cmp_eq_u32_e32 vcc, 1, v12
	v_cndmask_b32_e64 v30, v13, 1, vcc
	v_lshlrev_b32_e32 v12, 16, v30
	v_or_b32_sdwa v12, v12, v8 dst_sel:DWORD dst_unused:UNUSED_PAD src0_sel:DWORD src1_sel:WORD_0
	v_mov_b32_e32 v31, v30
.LBB101_405:                            ;   in Loop: Header=BB101_376 Depth=1
	;; [unrolled: 44-line block ×4, first 2 shown]
	s_or_b64 exec, exec, s[60:61]
	s_waitcnt lgkmcnt(0)
	ds_bpermute_b32 v32, v24, v12
	v_cmp_le_u32_e32 vcc, v25, v29
	s_and_saveexec_b64 s[60:61], vcc
	s_cbranch_execz .LBB101_429
; %bb.422:                              ;   in Loop: Header=BB101_376 Depth=1
	v_cmp_eq_u16_e32 vcc, 0, v30
	s_and_saveexec_b64 s[62:63], vcc
	s_cbranch_execz .LBB101_428
; %bb.423:                              ;   in Loop: Header=BB101_376 Depth=1
	s_waitcnt lgkmcnt(0)
	v_lshlrev_b32_e32 v12, 16, v32
	v_lshlrev_b32_e32 v8, 16, v8
	v_pk_add_f32 v[12:13], v[12:13], v[8:9] op_sel_hi:[0,1]
	v_and_b32_e32 v8, 0x7f800000, v12
	v_cmp_ne_u32_e32 vcc, s59, v8
                                        ; implicit-def: $vgpr8
	s_and_saveexec_b64 s[68:69], vcc
	s_xor_b64 s[68:69], exec, s[68:69]
; %bb.424:                              ;   in Loop: Header=BB101_376 Depth=1
	v_bfe_u32 v8, v12, 16, 1
	v_add3_u32 v8, v12, v8, s70
                                        ; implicit-def: $vgpr12_vgpr13
; %bb.425:                              ;   in Loop: Header=BB101_376 Depth=1
	s_andn2_saveexec_b64 s[68:69], s[68:69]
; %bb.426:                              ;   in Loop: Header=BB101_376 Depth=1
	v_or_b32_e32 v8, 0x10000, v12
	v_cmp_eq_u32_sdwa vcc, v12, v3 src0_sel:WORD_0 src1_sel:DWORD
	v_cndmask_b32_e32 v8, v8, v12, vcc
; %bb.427:                              ;   in Loop: Header=BB101_376 Depth=1
	s_or_b64 exec, exec, s[68:69]
	v_lshrrev_b32_e32 v8, 16, v8
.LBB101_428:                            ;   in Loop: Header=BB101_376 Depth=1
	s_or_b64 exec, exec, s[62:63]
	v_and_b32_e32 v12, 1, v30
	s_waitcnt lgkmcnt(0)
	v_lshrrev_b32_e32 v13, 16, v32
	v_cmp_eq_u32_e32 vcc, 1, v12
	v_cndmask_b32_e64 v31, v13, 1, vcc
.LBB101_429:                            ;   in Loop: Header=BB101_376 Depth=1
	s_or_b64 exec, exec, s[60:61]
	v_cmp_eq_u16_sdwa s[62:63], v17, v3 src0_sel:BYTE_0 src1_sel:DWORD
	v_mov_b32_e32 v12, v26
	s_and_saveexec_b64 s[60:61], s[62:63]
	s_cbranch_execz .LBB101_435
; %bb.430:                              ;   in Loop: Header=BB101_376 Depth=1
	v_lshlrev_b32_e32 v8, 16, v8
	v_lshlrev_b32_e32 v12, 16, v26
	v_pk_add_f32 v[12:13], v[8:9], v[12:13] op_sel_hi:[0,1]
	v_and_b32_e32 v8, 0x7f800000, v12
	v_cmp_ne_u32_e32 vcc, s59, v8
                                        ; implicit-def: $vgpr8
	s_and_saveexec_b64 s[62:63], vcc
	s_xor_b64 s[62:63], exec, s[62:63]
; %bb.431:                              ;   in Loop: Header=BB101_376 Depth=1
	v_bfe_u32 v8, v12, 16, 1
	v_add3_u32 v8, v12, v8, s70
                                        ; implicit-def: $vgpr12_vgpr13
; %bb.432:                              ;   in Loop: Header=BB101_376 Depth=1
	s_andn2_saveexec_b64 s[62:63], s[62:63]
; %bb.433:                              ;   in Loop: Header=BB101_376 Depth=1
	v_or_b32_e32 v8, 0x10000, v12
	v_cmp_eq_u32_sdwa vcc, v12, v3 src0_sel:WORD_0 src1_sel:DWORD
	v_cndmask_b32_e32 v8, v8, v12, vcc
; %bb.434:                              ;   in Loop: Header=BB101_376 Depth=1
	s_or_b64 exec, exec, s[62:63]
	v_lshrrev_b32_e32 v12, 16, v8
.LBB101_435:                            ;   in Loop: Header=BB101_376 Depth=1
	s_or_b64 exec, exec, s[60:61]
	v_and_b32_e32 v8, 1, v17
	v_and_b32_e32 v13, 1, v31
	v_cmp_eq_u32_e32 vcc, 1, v8
	v_subrev_u32_e32 v2, 64, v2
	v_cndmask_b32_e64 v13, v13, 1, vcc
	s_branch .LBB101_376
.LBB101_436:
	s_and_saveexec_b64 s[60:61], s[50:51]
	s_cbranch_execz .LBB101_444
; %bb.437:
	s_and_b32 s50, s7, 0xff0000
	s_cmp_lg_u32 s50, 0
	v_mov_b32_e32 v2, s7
	s_cbranch_scc1 .LBB101_443
; %bb.438:
	s_lshl_b32 s50, s7, 16
	v_lshlrev_b32_e32 v2, 16, v26
	v_pk_add_f32 v[2:3], v[2:3], s[50:51] op_sel_hi:[0,1]
	s_mov_b32 s50, 0x7f800000
	v_and_b32_e32 v3, 0x7f800000, v2
	v_cmp_ne_u32_e32 vcc, s50, v3
                                        ; implicit-def: $vgpr6
	s_and_saveexec_b64 s[50:51], vcc
	s_xor_b64 s[50:51], exec, s[50:51]
; %bb.439:
	v_bfe_u32 v3, v2, 16, 1
	s_movk_i32 s59, 0x7fff
	v_add3_u32 v6, v2, v3, s59
                                        ; implicit-def: $vgpr2_vgpr3
; %bb.440:
	s_andn2_saveexec_b64 s[50:51], s[50:51]
; %bb.441:
	v_mov_b32_e32 v3, 0
	v_or_b32_e32 v6, 0x10000, v2
	v_cmp_eq_u32_sdwa vcc, v2, v3 src0_sel:WORD_0 src1_sel:DWORD
	v_cndmask_b32_e32 v6, v6, v2, vcc
; %bb.442:
	s_or_b64 exec, exec, s[50:51]
	v_lshrrev_b32_e32 v2, 16, v6
.LBB101_443:
	s_bitcmp0_b32 s7, 16
	s_mov_b32 s7, 0
	v_mov_b32_e32 v3, 1
	s_cselect_b64 vcc, -1, 0
	s_add_i32 s6, s6, 64
	v_and_b32_sdwa v3, v17, v3 dst_sel:WORD_1 dst_unused:UNUSED_PAD src0_sel:DWORD src1_sel:DWORD
	v_mov_b32_e32 v6, 0x10000
	s_lshl_b64 s[6:7], s[6:7], 3
	v_cndmask_b32_e32 v3, v6, v3, vcc
	s_mov_b32 s50, 0xffff
	s_add_u32 s6, s56, s6
	v_and_or_b32 v2, v2, s50, v3
	s_addc_u32 s7, s57, s7
	v_mov_b32_e32 v6, 0
	v_mov_b32_e32 v3, 2
	global_store_dwordx2 v6, v[2:3], s[6:7]
.LBB101_444:
	s_or_b64 exec, exec, s[60:61]
	v_cmp_eq_u32_e32 vcc, 0, v0
	s_and_b64 exec, exec, vcc
	s_cbranch_execz .LBB101_446
; %bb.445:
	v_mov_b32_e32 v2, 0
	ds_write_b16 v2, v26
	ds_write_b8 v2, v17 offset:2
.LBB101_446:
	s_or_b64 exec, exec, s[54:55]
	v_mov_b32_e32 v2, 0
	s_waitcnt lgkmcnt(0)
	; wave barrier
	s_waitcnt lgkmcnt(0)
	ds_read_b32 v6, v2
	v_cmp_ne_u32_e32 vcc, 0, v0
	s_and_saveexec_b64 s[6:7], vcc
	s_cbranch_execz .LBB101_454
; %bb.447:
	v_and_b32_e32 v2, 0xff0000, v4
	v_cmp_eq_u32_e32 vcc, 0, v2
	s_and_saveexec_b64 s[50:51], vcc
	s_cbranch_execz .LBB101_453
; %bb.448:
	s_waitcnt lgkmcnt(0)
	v_lshlrev_b32_e32 v2, 16, v6
	v_lshlrev_b32_e32 v4, 16, v4
	v_pk_add_f32 v[2:3], v[2:3], v[4:5] op_sel_hi:[0,1]
	s_mov_b32 s54, 0x7f800000
	v_and_b32_e32 v3, 0x7f800000, v2
	v_cmp_ne_u32_e32 vcc, s54, v3
                                        ; implicit-def: $vgpr4
	s_and_saveexec_b64 s[54:55], vcc
	s_xor_b64 s[54:55], exec, s[54:55]
; %bb.449:
	v_bfe_u32 v3, v2, 16, 1
	s_movk_i32 s59, 0x7fff
	v_add3_u32 v4, v2, v3, s59
                                        ; implicit-def: $vgpr2_vgpr3
; %bb.450:
	s_andn2_saveexec_b64 s[54:55], s[54:55]
; %bb.451:
	v_mov_b32_e32 v3, 0
	v_or_b32_e32 v4, 0x10000, v2
	v_cmp_eq_u32_sdwa vcc, v2, v3 src0_sel:WORD_0 src1_sel:DWORD
	v_cndmask_b32_e32 v4, v4, v2, vcc
; %bb.452:
	s_or_b64 exec, exec, s[54:55]
	v_lshrrev_b32_e32 v4, 16, v4
.LBB101_453:
	s_or_b64 exec, exec, s[50:51]
	s_waitcnt lgkmcnt(0)
	v_mov_b32_e32 v6, v4
.LBB101_454:
	s_or_b64 exec, exec, s[6:7]
	v_and_b32_e32 v2, 0xff0000, v35
	v_cmp_eq_u32_e32 vcc, 0, v2
	s_and_saveexec_b64 s[6:7], vcc
	s_cbranch_execz .LBB101_460
; %bb.455:
	s_waitcnt lgkmcnt(0)
	v_lshlrev_b32_e32 v2, 16, v6
	v_lshlrev_b32_e32 v4, 16, v35
	v_pk_add_f32 v[2:3], v[2:3], v[4:5] op_sel_hi:[0,1]
	s_mov_b32 s50, 0x7f800000
	v_and_b32_e32 v3, 0x7f800000, v2
	v_cmp_ne_u32_e32 vcc, s50, v3
                                        ; implicit-def: $vgpr4
	s_and_saveexec_b64 s[50:51], vcc
	s_xor_b64 s[50:51], exec, s[50:51]
; %bb.456:
	v_bfe_u32 v3, v2, 16, 1
	s_movk_i32 s54, 0x7fff
	v_add3_u32 v4, v2, v3, s54
                                        ; implicit-def: $vgpr2_vgpr3
; %bb.457:
	s_andn2_saveexec_b64 s[50:51], s[50:51]
; %bb.458:
	v_mov_b32_e32 v3, 0
	v_or_b32_e32 v4, 0x10000, v2
	v_cmp_eq_u32_sdwa vcc, v2, v3 src0_sel:WORD_0 src1_sel:DWORD
	v_cndmask_b32_e32 v4, v4, v2, vcc
; %bb.459:
	s_or_b64 exec, exec, s[50:51]
	v_lshrrev_b32_e32 v7, 16, v4
.LBB101_460:
	s_or_b64 exec, exec, s[6:7]
	v_mov_b32_e32 v2, v34
	s_and_saveexec_b64 s[6:7], s[2:3]
	s_cbranch_execz .LBB101_466
; %bb.461:
	v_lshlrev_b32_e32 v2, 16, v7
	v_lshlrev_b32_e32 v4, 16, v34
	v_pk_add_f32 v[2:3], v[2:3], v[4:5] op_sel_hi:[0,1]
	s_mov_b32 s2, 0x7f800000
	v_and_b32_e32 v3, 0x7f800000, v2
	v_cmp_ne_u32_e32 vcc, s2, v3
                                        ; implicit-def: $vgpr4
	s_and_saveexec_b64 s[2:3], vcc
	s_xor_b64 s[2:3], exec, s[2:3]
; %bb.462:
	v_bfe_u32 v3, v2, 16, 1
	s_movk_i32 s50, 0x7fff
	v_add3_u32 v4, v2, v3, s50
                                        ; implicit-def: $vgpr2_vgpr3
; %bb.463:
	s_andn2_saveexec_b64 s[2:3], s[2:3]
; %bb.464:
	v_mov_b32_e32 v3, 0
	v_or_b32_e32 v4, 0x10000, v2
	v_cmp_eq_u32_sdwa vcc, v2, v3 src0_sel:WORD_0 src1_sel:DWORD
	v_cndmask_b32_e32 v4, v4, v2, vcc
; %bb.465:
	s_or_b64 exec, exec, s[2:3]
	v_lshrrev_b32_e32 v2, 16, v4
.LBB101_466:
	s_or_b64 exec, exec, s[6:7]
	v_and_b32_e32 v8, 0xffff, v2
	v_mov_b32_e32 v2, v36
	s_and_saveexec_b64 s[2:3], s[52:53]
	s_cbranch_execz .LBB101_472
; %bb.467:
	v_lshlrev_b32_e32 v2, 16, v8
	v_lshlrev_b32_e32 v4, 16, v36
	v_pk_add_f32 v[2:3], v[2:3], v[4:5] op_sel_hi:[0,1]
	s_mov_b32 s6, 0x7f800000
	v_and_b32_e32 v3, 0x7f800000, v2
	v_cmp_ne_u32_e32 vcc, s6, v3
                                        ; implicit-def: $vgpr4
	s_and_saveexec_b64 s[6:7], vcc
	s_xor_b64 s[6:7], exec, s[6:7]
; %bb.468:
	v_bfe_u32 v3, v2, 16, 1
	s_movk_i32 s50, 0x7fff
	v_add3_u32 v4, v2, v3, s50
                                        ; implicit-def: $vgpr2_vgpr3
; %bb.469:
	s_andn2_saveexec_b64 s[6:7], s[6:7]
; %bb.470:
	v_mov_b32_e32 v3, 0
	v_or_b32_e32 v4, 0x10000, v2
	v_cmp_eq_u32_sdwa vcc, v2, v3 src0_sel:WORD_0 src1_sel:DWORD
	v_cndmask_b32_e32 v4, v4, v2, vcc
; %bb.471:
	s_or_b64 exec, exec, s[6:7]
	v_lshrrev_b32_e32 v2, 16, v4
.LBB101_472:
	s_or_b64 exec, exec, s[2:3]
	v_and_b32_e32 v9, 0xffff, v2
	;; [unrolled: 31-line block ×19, first 2 shown]
	v_mov_b32_e32 v3, v46
	s_and_saveexec_b64 s[2:3], s[46:47]
	s_cbranch_execz .LBB101_580
; %bb.575:
	v_lshlrev_b32_e32 v4, 16, v2
	v_lshlrev_b32_e32 v26, 16, v46
	v_pk_add_f32 v[26:27], v[4:5], v[26:27] op_sel_hi:[0,1]
	s_mov_b32 s6, 0x7f800000
	v_and_b32_e32 v3, 0x7f800000, v26
	v_cmp_ne_u32_e32 vcc, s6, v3
                                        ; implicit-def: $vgpr3
	s_and_saveexec_b64 s[6:7], vcc
	s_xor_b64 s[6:7], exec, s[6:7]
; %bb.576:
	v_bfe_u32 v3, v26, 16, 1
	s_movk_i32 s8, 0x7fff
	v_add3_u32 v3, v26, v3, s8
                                        ; implicit-def: $vgpr26_vgpr27
; %bb.577:
	s_andn2_saveexec_b64 s[6:7], s[6:7]
; %bb.578:
	v_mov_b32_e32 v3, 0
	v_or_b32_e32 v4, 0x10000, v26
	v_cmp_eq_u32_sdwa vcc, v26, v3 src0_sel:WORD_0 src1_sel:DWORD
	v_cndmask_b32_e32 v3, v4, v26, vcc
; %bb.579:
	s_or_b64 exec, exec, s[6:7]
	v_lshrrev_b32_e32 v3, 16, v3
.LBB101_580:
	s_or_b64 exec, exec, s[2:3]
	v_and_b32_e32 v3, 0xffff, v3
	v_mov_b32_e32 v4, v47
	s_and_saveexec_b64 s[2:3], s[48:49]
	s_cbranch_execz .LBB101_586
; %bb.581:
	v_lshlrev_b32_e32 v4, 16, v3
	v_lshlrev_b32_e32 v26, 16, v47
	v_pk_add_f32 v[26:27], v[4:5], v[26:27] op_sel_hi:[0,1]
	s_mov_b32 s6, 0x7f800000
	v_and_b32_e32 v4, 0x7f800000, v26
	v_cmp_ne_u32_e32 vcc, s6, v4
                                        ; implicit-def: $vgpr4
	s_and_saveexec_b64 s[6:7], vcc
	s_xor_b64 s[6:7], exec, s[6:7]
; %bb.582:
	v_bfe_u32 v4, v26, 16, 1
	s_movk_i32 s8, 0x7fff
	v_add3_u32 v4, v26, v4, s8
                                        ; implicit-def: $vgpr26_vgpr27
; %bb.583:
	s_andn2_saveexec_b64 s[6:7], s[6:7]
; %bb.584:
	v_mov_b32_e32 v4, 0
	v_or_b32_e32 v27, 0x10000, v26
	v_cmp_eq_u32_sdwa vcc, v26, v4 src0_sel:WORD_0 src1_sel:DWORD
	v_cndmask_b32_e32 v4, v27, v26, vcc
; %bb.585:
	s_or_b64 exec, exec, s[6:7]
	v_lshrrev_b32_e32 v4, 16, v4
.LBB101_586:
	s_or_b64 exec, exec, s[2:3]
	v_and_b32_e32 v4, 0xffff, v4
	v_pk_mov_b32 v[28:29], v[4:5], v[4:5] op_sel:[0,1]
	v_pk_mov_b32 v[26:27], v[2:3], v[2:3] op_sel:[0,1]
	s_and_saveexec_b64 s[2:3], s[44:45]
	s_cbranch_execz .LBB101_592
; %bb.587:
	v_lshlrev_b32_e32 v26, 16, v4
	v_lshlrev_b32_e32 v28, 16, v5
	v_pk_add_f32 v[26:27], v[26:27], v[28:29] op_sel_hi:[0,1]
	s_mov_b32 s6, 0x7f800000
	v_and_b32_e32 v27, 0x7f800000, v26
	v_cmp_ne_u32_e32 vcc, s6, v27
                                        ; implicit-def: $vgpr28
	s_and_saveexec_b64 s[6:7], vcc
	s_xor_b64 s[6:7], exec, s[6:7]
; %bb.588:
	v_bfe_u32 v27, v26, 16, 1
	s_movk_i32 s8, 0x7fff
	v_add3_u32 v28, v26, v27, s8
                                        ; implicit-def: $vgpr26_vgpr27
; %bb.589:
	s_andn2_saveexec_b64 s[6:7], s[6:7]
; %bb.590:
	v_mov_b32_e32 v27, 0
	v_or_b32_e32 v28, 0x10000, v26
	v_cmp_eq_u32_sdwa vcc, v26, v27 src0_sel:WORD_0 src1_sel:DWORD
	v_cndmask_b32_e32 v28, v28, v26, vcc
; %bb.591:
	s_or_b64 exec, exec, s[6:7]
	v_lshrrev_b32_e32 v30, 16, v28
	v_pk_mov_b32 v[28:29], v[4:5], v[4:5] op_sel:[0,1]
	v_pk_mov_b32 v[26:27], v[2:3], v[2:3] op_sel:[0,1]
	v_mov_b32_e32 v29, v30
.LBB101_592:
	s_or_b64 exec, exec, s[2:3]
	s_branch .LBB101_954
.LBB101_593:
	s_or_b64 exec, exec, s[50:51]
	v_cmp_lt_u32_e32 vcc, 31, v17
	s_and_saveexec_b64 s[50:51], vcc
	s_cbranch_execz .LBB101_317
.LBB101_594:
	v_and_b32_e32 v3, 1, v9
	v_mov_b32_e32 v4, 1
	v_and_b32_sdwa v4, v10, v4 dst_sel:DWORD dst_unused:UNUSED_PAD src0_sel:WORD_1 src1_sel:DWORD
	v_cmp_eq_u32_e32 vcc, 1, v3
	v_cndmask_b32_e64 v6, v4, 1, vcc
	v_mov_b32_e32 v8, v2
	v_mov_b32_e32 v9, v6
	;; [unrolled: 1-line block ×3, first 2 shown]
	s_or_b64 exec, exec, s[50:51]
	v_cmp_eq_u32_e32 vcc, 63, v0
	s_and_saveexec_b64 s[50:51], vcc
	s_cbranch_execnz .LBB101_318
	s_branch .LBB101_319
.LBB101_595:
	s_or_b64 exec, exec, s[60:61]
                                        ; implicit-def: $vgpr31
	s_and_saveexec_b64 s[2:3], s[54:55]
	s_cbranch_execz .LBB101_53
.LBB101_596:
	global_load_ushort v31, v[2:3], off offset:128
	s_or_b64 exec, exec, s[2:3]
                                        ; implicit-def: $vgpr32
	s_and_saveexec_b64 s[2:3], s[8:9]
	s_cbranch_execnz .LBB101_54
.LBB101_597:
	s_or_b64 exec, exec, s[2:3]
                                        ; implicit-def: $vgpr33
	s_and_saveexec_b64 s[2:3], s[10:11]
	s_cbranch_execz .LBB101_55
.LBB101_598:
	global_load_ushort v33, v[2:3], off offset:384
	s_or_b64 exec, exec, s[2:3]
                                        ; implicit-def: $vgpr34
	s_and_saveexec_b64 s[2:3], s[12:13]
	s_cbranch_execnz .LBB101_56
.LBB101_599:
	s_or_b64 exec, exec, s[2:3]
                                        ; implicit-def: $vgpr35
	s_and_saveexec_b64 s[2:3], s[14:15]
	s_cbranch_execz .LBB101_57
.LBB101_600:
	global_load_ushort v35, v[2:3], off offset:640
	s_or_b64 exec, exec, s[2:3]
                                        ; implicit-def: $vgpr36
	s_and_saveexec_b64 s[2:3], s[16:17]
	s_cbranch_execnz .LBB101_58
.LBB101_601:
	s_or_b64 exec, exec, s[2:3]
                                        ; implicit-def: $vgpr37
	s_and_saveexec_b64 s[2:3], s[18:19]
	s_cbranch_execz .LBB101_59
.LBB101_602:
	global_load_ushort v37, v[2:3], off offset:896
	s_or_b64 exec, exec, s[2:3]
                                        ; implicit-def: $vgpr38
	s_and_saveexec_b64 s[2:3], s[20:21]
	s_cbranch_execnz .LBB101_60
.LBB101_603:
	s_or_b64 exec, exec, s[2:3]
                                        ; implicit-def: $vgpr39
	s_and_saveexec_b64 s[2:3], s[22:23]
	s_cbranch_execz .LBB101_61
.LBB101_604:
	global_load_ushort v39, v[2:3], off offset:1152
	s_or_b64 exec, exec, s[2:3]
                                        ; implicit-def: $vgpr40
	s_and_saveexec_b64 s[2:3], s[24:25]
	s_cbranch_execnz .LBB101_62
.LBB101_605:
	s_or_b64 exec, exec, s[2:3]
                                        ; implicit-def: $vgpr41
	s_and_saveexec_b64 s[2:3], s[26:27]
	s_cbranch_execz .LBB101_63
.LBB101_606:
	global_load_ushort v41, v[2:3], off offset:1408
	s_or_b64 exec, exec, s[2:3]
                                        ; implicit-def: $vgpr42
	s_and_saveexec_b64 s[2:3], s[28:29]
	s_cbranch_execnz .LBB101_64
.LBB101_607:
	s_or_b64 exec, exec, s[2:3]
                                        ; implicit-def: $vgpr43
	s_and_saveexec_b64 s[2:3], s[30:31]
	s_cbranch_execz .LBB101_65
.LBB101_608:
	global_load_ushort v43, v[2:3], off offset:1664
	s_or_b64 exec, exec, s[2:3]
                                        ; implicit-def: $vgpr44
	s_and_saveexec_b64 s[2:3], s[34:35]
	s_cbranch_execnz .LBB101_66
.LBB101_609:
	s_or_b64 exec, exec, s[2:3]
                                        ; implicit-def: $vgpr45
	s_and_saveexec_b64 s[2:3], s[36:37]
	s_cbranch_execz .LBB101_67
.LBB101_610:
	global_load_ushort v45, v[2:3], off offset:1920
	s_or_b64 exec, exec, s[2:3]
                                        ; implicit-def: $vgpr46
	s_and_saveexec_b64 s[2:3], s[38:39]
	s_cbranch_execnz .LBB101_68
.LBB101_611:
	s_or_b64 exec, exec, s[2:3]
                                        ; implicit-def: $vgpr47
	s_and_saveexec_b64 s[2:3], s[40:41]
	s_cbranch_execz .LBB101_69
.LBB101_612:
	global_load_ushort v47, v[2:3], off offset:2176
	s_or_b64 exec, exec, s[2:3]
                                        ; implicit-def: $vgpr48
	s_and_saveexec_b64 s[2:3], s[42:43]
	s_cbranch_execnz .LBB101_70
.LBB101_613:
	s_or_b64 exec, exec, s[2:3]
                                        ; implicit-def: $vgpr49
	s_and_saveexec_b64 s[2:3], s[44:45]
	s_cbranch_execz .LBB101_71
.LBB101_614:
	global_load_ushort v49, v[2:3], off offset:2432
	s_or_b64 exec, exec, s[2:3]
                                        ; implicit-def: $vgpr50
	s_and_saveexec_b64 s[2:3], s[46:47]
	s_cbranch_execnz .LBB101_72
.LBB101_615:
	s_or_b64 exec, exec, s[2:3]
                                        ; implicit-def: $vgpr51
	s_and_saveexec_b64 s[2:3], s[48:49]
	s_cbranch_execz .LBB101_73
.LBB101_616:
	global_load_ushort v51, v[2:3], off offset:2688
	s_or_b64 exec, exec, s[2:3]
                                        ; implicit-def: $vgpr52
	s_and_saveexec_b64 s[2:3], s[50:51]
	s_cbranch_execz .LBB101_75
	s_branch .LBB101_74
.LBB101_617:
                                        ; implicit-def: $vgpr26_vgpr27_vgpr28_vgpr29
                                        ; implicit-def: $vgpr22_vgpr23_vgpr24_vgpr25
                                        ; implicit-def: $vgpr18_vgpr19_vgpr20_vgpr21
                                        ; implicit-def: $vgpr14_vgpr15_vgpr16_vgpr17
                                        ; implicit-def: $vgpr10_vgpr11_vgpr12_vgpr13
                                        ; implicit-def: $vgpr6_vgpr7_vgpr8_vgpr9
	s_cbranch_execz .LBB101_954
; %bb.618:
	s_cmp_eq_u64 s[66:67], 0
	v_mov_b32_e32 v3, s76
	s_cbranch_scc1 .LBB101_620
; %bb.619:
	v_mov_b32_e32 v2, 0
	global_load_ushort v3, v2, s[66:67]
.LBB101_620:
	s_mov_b32 s2, 0x10000
	v_cmp_gt_u32_e32 vcc, s2, v34
	v_lshlrev_b32_e32 v8, 16, v35
	v_lshlrev_b32_e32 v2, 16, v34
	s_waitcnt lgkmcnt(0)
	v_mov_b32_e32 v6, v34
	s_and_saveexec_b64 s[6:7], vcc
	s_cbranch_execz .LBB101_626
; %bb.621:
	s_waitcnt vmcnt(0)
	v_pk_add_f32 v[6:7], v[8:9], v[2:3] op_sel_hi:[0,1]
	s_mov_b32 s2, 0x7f800000
	v_and_b32_e32 v4, 0x7f800000, v6
	v_cmp_ne_u32_e64 s[2:3], s2, v4
                                        ; implicit-def: $vgpr4
	s_and_saveexec_b64 s[8:9], s[2:3]
	s_xor_b64 s[2:3], exec, s[8:9]
; %bb.622:
	v_bfe_u32 v4, v6, 16, 1
	s_movk_i32 s8, 0x7fff
	v_add3_u32 v4, v6, v4, s8
                                        ; implicit-def: $vgpr6_vgpr7
; %bb.623:
	s_andn2_saveexec_b64 s[8:9], s[2:3]
; %bb.624:
	v_mov_b32_e32 v4, 0
	v_or_b32_e32 v7, 0x10000, v6
	v_cmp_eq_u32_sdwa s[2:3], v6, v4 src0_sel:WORD_0 src1_sel:DWORD
	v_cndmask_b32_e64 v4, v7, v6, s[2:3]
; %bb.625:
	s_or_b64 exec, exec, s[8:9]
	v_lshrrev_b32_e32 v6, 16, v4
.LBB101_626:
	s_or_b64 exec, exec, s[6:7]
	s_mov_b32 s2, 0x10000
	v_cmp_gt_u32_e64 s[2:3], s2, v36
	v_lshlrev_b32_e32 v4, 16, v36
	v_mov_b32_e32 v7, v36
	s_and_saveexec_b64 s[8:9], s[2:3]
	s_cbranch_execz .LBB101_632
; %bb.627:
	v_lshlrev_b32_e32 v6, 16, v6
	v_pk_add_f32 v[6:7], v[6:7], v[4:5] op_sel_hi:[0,1]
	s_mov_b32 s6, 0x7f800000
	v_and_b32_e32 v7, 0x7f800000, v6
	v_cmp_ne_u32_e64 s[6:7], s6, v7
                                        ; implicit-def: $vgpr9
	s_and_saveexec_b64 s[10:11], s[6:7]
	s_xor_b64 s[6:7], exec, s[10:11]
; %bb.628:
	v_bfe_u32 v7, v6, 16, 1
	s_movk_i32 s10, 0x7fff
	v_add3_u32 v9, v6, v7, s10
                                        ; implicit-def: $vgpr6_vgpr7
; %bb.629:
	s_andn2_saveexec_b64 s[10:11], s[6:7]
; %bb.630:
	v_mov_b32_e32 v7, 0
	v_or_b32_e32 v9, 0x10000, v6
	v_cmp_eq_u32_sdwa s[6:7], v6, v7 src0_sel:WORD_0 src1_sel:DWORD
	v_cndmask_b32_e64 v9, v9, v6, s[6:7]
; %bb.631:
	s_or_b64 exec, exec, s[10:11]
	v_lshrrev_b32_e32 v7, 16, v9
.LBB101_632:
	s_or_b64 exec, exec, s[8:9]
	s_mov_b32 s6, 0x10000
	v_cmp_gt_u32_e64 s[6:7], s6, v37
	v_lshlrev_b32_e32 v12, 16, v37
	v_mov_b32_e32 v6, v37
	s_and_saveexec_b64 s[10:11], s[6:7]
	s_cbranch_execz .LBB101_638
; %bb.633:
	v_lshlrev_b32_e32 v6, 16, v7
	v_pk_add_f32 v[6:7], v[6:7], v[12:13] op_sel_hi:[0,1]
	s_mov_b32 s8, 0x7f800000
	v_and_b32_e32 v7, 0x7f800000, v6
	v_cmp_ne_u32_e64 s[8:9], s8, v7
                                        ; implicit-def: $vgpr9
	s_and_saveexec_b64 s[12:13], s[8:9]
	s_xor_b64 s[8:9], exec, s[12:13]
; %bb.634:
	v_bfe_u32 v7, v6, 16, 1
	s_movk_i32 s12, 0x7fff
	v_add3_u32 v9, v6, v7, s12
                                        ; implicit-def: $vgpr6_vgpr7
; %bb.635:
	s_andn2_saveexec_b64 s[12:13], s[8:9]
; %bb.636:
	v_mov_b32_e32 v7, 0
	v_or_b32_e32 v9, 0x10000, v6
	v_cmp_eq_u32_sdwa s[8:9], v6, v7 src0_sel:WORD_0 src1_sel:DWORD
	v_cndmask_b32_e64 v9, v9, v6, s[8:9]
; %bb.637:
	s_or_b64 exec, exec, s[12:13]
	v_lshrrev_b32_e32 v6, 16, v9
.LBB101_638:
	;; [unrolled: 32-line block ×21, first 2 shown]
	s_or_b64 exec, exec, s[50:51]
	s_mov_b32 s48, 0x10000
	v_cmp_gt_u32_e64 s[48:49], s48, v1
	v_mov_b32_e32 v9, v1
	s_and_saveexec_b64 s[50:51], s[48:49]
	s_cbranch_execz .LBB101_758
; %bb.753:
	v_lshlrev_b32_e32 v6, 16, v7
	v_lshlrev_b32_e32 v10, 16, v1
	v_pk_add_f32 v[6:7], v[6:7], v[10:11] op_sel_hi:[0,1]
	s_mov_b32 s48, 0x7f800000
	v_and_b32_e32 v7, 0x7f800000, v6
	v_cmp_ne_u32_e64 s[48:49], s48, v7
                                        ; implicit-def: $vgpr9
	s_and_saveexec_b64 s[52:53], s[48:49]
	s_xor_b64 s[48:49], exec, s[52:53]
; %bb.754:
	v_bfe_u32 v7, v6, 16, 1
	s_movk_i32 s52, 0x7fff
	v_add3_u32 v9, v6, v7, s52
                                        ; implicit-def: $vgpr6_vgpr7
; %bb.755:
	s_andn2_saveexec_b64 s[52:53], s[48:49]
; %bb.756:
	v_mov_b32_e32 v7, 0
	v_or_b32_e32 v9, 0x10000, v6
	v_cmp_eq_u32_sdwa s[48:49], v6, v7 src0_sel:WORD_0 src1_sel:DWORD
	v_cndmask_b32_e64 v9, v9, v6, s[48:49]
; %bb.757:
	s_or_b64 exec, exec, s[52:53]
	v_lshrrev_b32_e32 v9, 16, v9
.LBB101_758:
	s_or_b64 exec, exec, s[50:51]
	v_or3_b32 v7, v5, v47, v46
	v_or3_b32 v7, v7, v55, v54
	;; [unrolled: 1-line block ×11, first 2 shown]
	v_and_b32_e32 v1, 0x10000, v1
	v_and_b32_e32 v6, 0x10000, v35
	v_mov_b32_e32 v7, 0x10000
	v_cmp_ne_u32_e64 s[48:49], 0, v1
	v_cndmask_b32_e64 v11, v6, v7, s[48:49]
	v_or_b32_sdwa v10, v9, v11 dst_sel:DWORD dst_unused:UNUSED_PAD src0_sel:WORD_0 src1_sel:DWORD
	v_cmp_eq_u32_e64 s[48:49], 0, v11
	v_mov_b32_e32 v13, v9
	v_mov_b32_dpp v15, v10 row_shr:1 row_mask:0xf bank_mask:0xf
	s_and_saveexec_b64 s[50:51], s[48:49]
	s_xor_b64 s[50:51], exec, s[50:51]
	s_cbranch_execz .LBB101_764
; %bb.759:
	v_mov_b32_e32 v1, 16
	v_lshlrev_b32_e32 v6, 16, v15
	v_lshlrev_b32_sdwa v74, v1, v9 dst_sel:DWORD dst_unused:UNUSED_PAD src0_sel:DWORD src1_sel:WORD_0
	v_pk_add_f32 v[6:7], v[6:7], v[74:75] op_sel_hi:[0,1]
	s_mov_b32 s48, 0x7f800000
	v_and_b32_e32 v1, 0x7f800000, v6
	v_cmp_ne_u32_e64 s[48:49], s48, v1
                                        ; implicit-def: $vgpr1
	s_and_saveexec_b64 s[52:53], s[48:49]
	s_xor_b64 s[48:49], exec, s[52:53]
; %bb.760:
	v_bfe_u32 v1, v6, 16, 1
	s_movk_i32 s52, 0x7fff
	v_add3_u32 v1, v6, v1, s52
                                        ; implicit-def: $vgpr6_vgpr7
; %bb.761:
	s_andn2_saveexec_b64 s[52:53], s[48:49]
; %bb.762:
	v_mov_b32_e32 v1, 0
	v_or_b32_e32 v7, 0x10000, v6
	v_cmp_eq_u32_sdwa s[48:49], v6, v1 src0_sel:WORD_0 src1_sel:DWORD
	v_cndmask_b32_e64 v1, v7, v6, s[48:49]
; %bb.763:
	s_or_b64 exec, exec, s[52:53]
	v_lshrrev_b32_e32 v13, 16, v1
.LBB101_764:
	s_or_b64 exec, exec, s[50:51]
	v_and_b32_e32 v6, 0x10000, v11
	v_mov_b32_e32 v7, 1
	v_mbcnt_lo_u32_b32 v1, -1, 0
	v_and_b32_sdwa v7, v15, v7 dst_sel:DWORD dst_unused:UNUSED_PAD src0_sel:WORD_1 src1_sel:DWORD
	v_cmp_ne_u32_e64 s[48:49], 0, v6
	v_mbcnt_hi_u32_b32 v1, -1, v1
	v_cndmask_b32_e64 v15, v7, 1, s[48:49]
	v_and_b32_e32 v17, 15, v1
	v_lshlrev_b32_e32 v6, 16, v15
	v_or_b32_sdwa v6, v6, v13 dst_sel:DWORD dst_unused:UNUSED_PAD src0_sel:DWORD src1_sel:WORD_0
	v_cmp_eq_u32_e64 s[48:49], 0, v17
	v_cndmask_b32_e64 v10, v6, v10, s[48:49]
	s_mov_b32 s50, 0x10000
	v_cmp_gt_u32_e64 s[50:51], s50, v10
	v_mov_b32_dpp v19, v10 row_shr:2 row_mask:0xf bank_mask:0xf
	v_mov_b32_e32 v6, v10
	s_and_saveexec_b64 s[52:53], s[50:51]
	s_cbranch_execz .LBB101_770
; %bb.765:
	v_lshlrev_b32_e32 v6, 16, v10
	v_lshlrev_b32_e32 v74, 16, v19
	v_pk_add_f32 v[6:7], v[6:7], v[74:75] op_sel_hi:[0,1]
	s_mov_b32 s50, 0x7f800000
	v_and_b32_e32 v7, 0x7f800000, v6
	v_cmp_ne_u32_e64 s[50:51], s50, v7
                                        ; implicit-def: $vgpr21
	s_and_saveexec_b64 s[54:55], s[50:51]
	s_xor_b64 s[50:51], exec, s[54:55]
; %bb.766:
	v_bfe_u32 v7, v6, 16, 1
	s_movk_i32 s54, 0x7fff
	v_add3_u32 v21, v6, v7, s54
                                        ; implicit-def: $vgpr6_vgpr7
; %bb.767:
	s_andn2_saveexec_b64 s[54:55], s[50:51]
; %bb.768:
	v_mov_b32_e32 v7, 0
	v_or_b32_e32 v21, 0x10000, v6
	v_cmp_eq_u32_sdwa s[50:51], v6, v7 src0_sel:WORD_0 src1_sel:DWORD
	v_cndmask_b32_e64 v21, v21, v6, s[50:51]
; %bb.769:
	s_or_b64 exec, exec, s[54:55]
	v_lshrrev_b32_e32 v6, 16, v21
.LBB101_770:
	s_or_b64 exec, exec, s[52:53]
	v_lshrrev_b32_e32 v7, 16, v11
	v_cndmask_b32_e64 v11, v13, v9, s[48:49]
	v_cndmask_b32_e64 v9, v15, v7, s[48:49]
	v_lshrrev_b32_e32 v13, 16, v10
	v_cmp_lt_u32_e64 s[48:49], 1, v17
	v_mov_b32_e32 v15, v10
	s_and_saveexec_b64 s[50:51], s[48:49]
; %bb.771:
	v_and_b32_e32 v7, 0x10000, v10
	v_mov_b32_e32 v9, 1
	v_and_b32_sdwa v9, v19, v9 dst_sel:DWORD dst_unused:UNUSED_PAD src0_sel:WORD_1 src1_sel:DWORD
	v_cmp_ne_u32_e64 s[48:49], 0, v7
	v_cndmask_b32_e64 v9, v9, 1, s[48:49]
	v_lshlrev_b32_e32 v7, 16, v9
	v_or_b32_sdwa v15, v7, v6 dst_sel:DWORD dst_unused:UNUSED_PAD src0_sel:DWORD src1_sel:WORD_0
	v_mov_b32_e32 v11, v6
	v_mov_b32_e32 v13, v9
	v_mov_b32_e32 v10, v6
; %bb.772:
	s_or_b64 exec, exec, s[50:51]
	v_mov_b32_dpp v19, v15 row_shr:4 row_mask:0xf bank_mask:0xf
	v_cmp_eq_u16_e64 s[48:49], 0, v13
	v_mov_b32_e32 v6, v10
	s_and_saveexec_b64 s[50:51], s[48:49]
	s_cbranch_execz .LBB101_778
; %bb.773:
	v_lshlrev_b32_e32 v6, 16, v19
	v_lshlrev_b32_e32 v74, 16, v10
	v_pk_add_f32 v[6:7], v[6:7], v[74:75] op_sel_hi:[0,1]
	s_mov_b32 s48, 0x7f800000
	v_and_b32_e32 v7, 0x7f800000, v6
	v_cmp_ne_u32_e64 s[48:49], s48, v7
                                        ; implicit-def: $vgpr21
	s_and_saveexec_b64 s[52:53], s[48:49]
	s_xor_b64 s[48:49], exec, s[52:53]
; %bb.774:
	v_bfe_u32 v7, v6, 16, 1
	s_movk_i32 s52, 0x7fff
	v_add3_u32 v21, v6, v7, s52
                                        ; implicit-def: $vgpr6_vgpr7
; %bb.775:
	s_andn2_saveexec_b64 s[52:53], s[48:49]
; %bb.776:
	v_mov_b32_e32 v7, 0
	v_or_b32_e32 v21, 0x10000, v6
	v_cmp_eq_u32_sdwa s[48:49], v6, v7 src0_sel:WORD_0 src1_sel:DWORD
	v_cndmask_b32_e64 v21, v21, v6, s[48:49]
; %bb.777:
	s_or_b64 exec, exec, s[52:53]
	v_lshrrev_b32_e32 v6, 16, v21
.LBB101_778:
	s_or_b64 exec, exec, s[50:51]
	v_cmp_lt_u32_e64 s[48:49], 3, v17
	s_and_saveexec_b64 s[50:51], s[48:49]
; %bb.779:
	v_and_b32_e32 v7, 1, v13
	v_mov_b32_e32 v9, 1
	v_and_b32_sdwa v9, v19, v9 dst_sel:DWORD dst_unused:UNUSED_PAD src0_sel:WORD_1 src1_sel:DWORD
	v_cmp_eq_u32_e64 s[48:49], 1, v7
	v_cndmask_b32_e64 v9, v9, 1, s[48:49]
	v_lshlrev_b32_e32 v7, 16, v9
	v_or_b32_sdwa v15, v7, v6 dst_sel:DWORD dst_unused:UNUSED_PAD src0_sel:DWORD src1_sel:WORD_0
	v_mov_b32_e32 v11, v6
	v_mov_b32_e32 v13, v9
	;; [unrolled: 1-line block ×3, first 2 shown]
; %bb.780:
	s_or_b64 exec, exec, s[50:51]
	v_mov_b32_dpp v19, v15 row_shr:8 row_mask:0xf bank_mask:0xf
	v_cmp_eq_u16_e64 s[48:49], 0, v13
	v_mov_b32_e32 v6, v10
	s_and_saveexec_b64 s[50:51], s[48:49]
	s_cbranch_execz .LBB101_786
; %bb.781:
	v_lshlrev_b32_e32 v6, 16, v19
	v_lshlrev_b32_e32 v74, 16, v10
	v_pk_add_f32 v[6:7], v[6:7], v[74:75] op_sel_hi:[0,1]
	s_mov_b32 s48, 0x7f800000
	v_and_b32_e32 v7, 0x7f800000, v6
	v_cmp_ne_u32_e64 s[48:49], s48, v7
                                        ; implicit-def: $vgpr21
	s_and_saveexec_b64 s[52:53], s[48:49]
	s_xor_b64 s[48:49], exec, s[52:53]
; %bb.782:
	v_bfe_u32 v7, v6, 16, 1
	s_movk_i32 s52, 0x7fff
	v_add3_u32 v21, v6, v7, s52
                                        ; implicit-def: $vgpr6_vgpr7
; %bb.783:
	s_andn2_saveexec_b64 s[52:53], s[48:49]
; %bb.784:
	v_mov_b32_e32 v7, 0
	v_or_b32_e32 v21, 0x10000, v6
	v_cmp_eq_u32_sdwa s[48:49], v6, v7 src0_sel:WORD_0 src1_sel:DWORD
	v_cndmask_b32_e64 v21, v21, v6, s[48:49]
; %bb.785:
	s_or_b64 exec, exec, s[52:53]
	v_lshrrev_b32_e32 v6, 16, v21
.LBB101_786:
	s_or_b64 exec, exec, s[50:51]
	v_cmp_lt_u32_e64 s[48:49], 7, v17
	s_and_saveexec_b64 s[50:51], s[48:49]
; %bb.787:
	v_and_b32_e32 v7, 1, v13
	v_mov_b32_e32 v9, 1
	v_and_b32_sdwa v9, v19, v9 dst_sel:DWORD dst_unused:UNUSED_PAD src0_sel:WORD_1 src1_sel:DWORD
	v_cmp_eq_u32_e64 s[48:49], 1, v7
	v_cndmask_b32_e64 v9, v9, 1, s[48:49]
	v_lshlrev_b32_e32 v7, 16, v9
	v_or_b32_sdwa v15, v7, v6 dst_sel:DWORD dst_unused:UNUSED_PAD src0_sel:DWORD src1_sel:WORD_0
	v_mov_b32_e32 v11, v6
	v_mov_b32_e32 v13, v9
	;; [unrolled: 1-line block ×3, first 2 shown]
; %bb.788:
	s_or_b64 exec, exec, s[50:51]
	v_mov_b32_dpp v17, v15 row_bcast:15 row_mask:0xf bank_mask:0xf
	v_cmp_eq_u16_e64 s[48:49], 0, v13
	v_mov_b32_e32 v6, v10
	s_and_saveexec_b64 s[50:51], s[48:49]
	s_cbranch_execz .LBB101_794
; %bb.789:
	v_lshlrev_b32_e32 v6, 16, v17
	v_lshlrev_b32_e32 v74, 16, v10
	v_pk_add_f32 v[6:7], v[6:7], v[74:75] op_sel_hi:[0,1]
	s_mov_b32 s48, 0x7f800000
	v_and_b32_e32 v7, 0x7f800000, v6
	v_cmp_ne_u32_e64 s[48:49], s48, v7
                                        ; implicit-def: $vgpr19
	s_and_saveexec_b64 s[52:53], s[48:49]
	s_xor_b64 s[48:49], exec, s[52:53]
; %bb.790:
	v_bfe_u32 v7, v6, 16, 1
	s_movk_i32 s52, 0x7fff
	v_add3_u32 v19, v6, v7, s52
                                        ; implicit-def: $vgpr6_vgpr7
; %bb.791:
	s_andn2_saveexec_b64 s[52:53], s[48:49]
; %bb.792:
	v_mov_b32_e32 v7, 0
	v_or_b32_e32 v19, 0x10000, v6
	v_cmp_eq_u32_sdwa s[48:49], v6, v7 src0_sel:WORD_0 src1_sel:DWORD
	v_cndmask_b32_e64 v19, v19, v6, s[48:49]
; %bb.793:
	s_or_b64 exec, exec, s[52:53]
	v_lshrrev_b32_e32 v6, 16, v19
.LBB101_794:
	s_or_b64 exec, exec, s[50:51]
	v_and_b32_e32 v7, 16, v1
	v_cmp_ne_u32_e64 s[48:49], 0, v7
	s_and_saveexec_b64 s[50:51], s[48:49]
; %bb.795:
	v_and_b32_e32 v7, 1, v13
	v_mov_b32_e32 v9, 1
	v_and_b32_sdwa v9, v17, v9 dst_sel:DWORD dst_unused:UNUSED_PAD src0_sel:WORD_1 src1_sel:DWORD
	v_cmp_eq_u32_e64 s[48:49], 1, v7
	v_cndmask_b32_e64 v9, v9, 1, s[48:49]
	v_lshlrev_b32_e32 v7, 16, v9
	v_or_b32_sdwa v15, v7, v6 dst_sel:DWORD dst_unused:UNUSED_PAD src0_sel:DWORD src1_sel:WORD_0
	v_mov_b32_e32 v11, v6
	v_mov_b32_e32 v13, v9
	;; [unrolled: 1-line block ×3, first 2 shown]
; %bb.796:
	s_or_b64 exec, exec, s[50:51]
	v_mov_b32_dpp v15, v15 row_bcast:31 row_mask:0xf bank_mask:0xf
	v_cmp_eq_u16_e64 s[48:49], 0, v13
	v_mov_b32_e32 v6, v10
	s_and_saveexec_b64 s[50:51], s[48:49]
	s_cbranch_execz .LBB101_877
; %bb.797:
	v_lshlrev_b32_e32 v6, 16, v15
	v_lshlrev_b32_e32 v74, 16, v10
	v_pk_add_f32 v[6:7], v[6:7], v[74:75] op_sel_hi:[0,1]
	s_mov_b32 s48, 0x7f800000
	v_and_b32_e32 v7, 0x7f800000, v6
	v_cmp_ne_u32_e64 s[48:49], s48, v7
                                        ; implicit-def: $vgpr17
	s_and_saveexec_b64 s[52:53], s[48:49]
	s_xor_b64 s[48:49], exec, s[52:53]
; %bb.798:
	v_bfe_u32 v7, v6, 16, 1
	s_movk_i32 s52, 0x7fff
	v_add3_u32 v17, v6, v7, s52
                                        ; implicit-def: $vgpr6_vgpr7
; %bb.799:
	s_andn2_saveexec_b64 s[52:53], s[48:49]
; %bb.800:
	v_mov_b32_e32 v7, 0
	v_or_b32_e32 v17, 0x10000, v6
	v_cmp_eq_u32_sdwa s[48:49], v6, v7 src0_sel:WORD_0 src1_sel:DWORD
	v_cndmask_b32_e64 v17, v17, v6, s[48:49]
; %bb.801:
	s_or_b64 exec, exec, s[52:53]
	v_lshrrev_b32_e32 v6, 16, v17
	s_or_b64 exec, exec, s[50:51]
	v_cmp_lt_u32_e64 s[48:49], 31, v1
	s_and_saveexec_b64 s[50:51], s[48:49]
	s_cbranch_execnz .LBB101_878
.LBB101_802:
	s_or_b64 exec, exec, s[50:51]
	v_cmp_eq_u32_e64 s[48:49], 63, v0
	s_and_saveexec_b64 s[50:51], s[48:49]
	s_cbranch_execz .LBB101_804
.LBB101_803:
	v_mov_b32_e32 v6, 0
	ds_write_b16 v6, v10
	ds_write_b8 v6, v13 offset:2
.LBB101_804:
	s_or_b64 exec, exec, s[50:51]
	s_waitcnt vmcnt(0)
	v_and_b32_e32 v10, 0xffff, v3
	v_cmp_eq_u16_e64 s[48:49], 0, v9
	s_waitcnt lgkmcnt(0)
	; wave barrier
	s_waitcnt lgkmcnt(0)
	s_and_saveexec_b64 s[50:51], s[48:49]
	s_cbranch_execz .LBB101_810
; %bb.805:
	v_lshlrev_b32_e32 v6, 16, v10
	v_lshlrev_b32_e32 v74, 16, v11
	v_pk_add_f32 v[6:7], v[74:75], v[6:7] op_sel_hi:[0,1]
	s_mov_b32 s48, 0x7f800000
	v_and_b32_e32 v3, 0x7f800000, v6
	v_cmp_ne_u32_e64 s[48:49], s48, v3
                                        ; implicit-def: $vgpr3
	s_and_saveexec_b64 s[52:53], s[48:49]
	s_xor_b64 s[48:49], exec, s[52:53]
; %bb.806:
	v_bfe_u32 v3, v6, 16, 1
	s_movk_i32 s52, 0x7fff
	v_add3_u32 v3, v6, v3, s52
                                        ; implicit-def: $vgpr6_vgpr7
; %bb.807:
	s_andn2_saveexec_b64 s[52:53], s[48:49]
; %bb.808:
	v_mov_b32_e32 v3, 0
	v_or_b32_e32 v7, 0x10000, v6
	v_cmp_eq_u32_sdwa s[48:49], v6, v3 src0_sel:WORD_0 src1_sel:DWORD
	v_cndmask_b32_e64 v3, v7, v6, s[48:49]
; %bb.809:
	s_or_b64 exec, exec, s[52:53]
	v_lshrrev_b32_e32 v11, 16, v3
.LBB101_810:
	s_or_b64 exec, exec, s[50:51]
	v_and_b32_e32 v3, 1, v9
	v_mov_b32_e32 v6, 0x10000
	v_cmp_eq_u32_e64 s[48:49], 1, v3
	v_cndmask_b32_e64 v3, 0, v6, s[48:49]
	v_add_u32_e32 v6, -1, v1
	v_and_b32_e32 v7, 64, v1
	v_cmp_lt_i32_e64 s[48:49], v6, v7
	v_cndmask_b32_e64 v6, v6, v1, s[48:49]
	v_or_b32_sdwa v3, v3, v11 dst_sel:DWORD dst_unused:UNUSED_PAD src0_sel:DWORD src1_sel:WORD_0
	v_lshlrev_b32_e32 v6, 2, v6
	ds_bpermute_b32 v3, v6, v3
	v_cmp_eq_u32_e64 s[50:51], 0, v1
	v_cmp_eq_u32_e64 s[48:49], 0, v0
	s_or_b64 s[50:51], s[48:49], s[50:51]
	v_and_b32_e32 v1, 0xff0000, v35
	s_waitcnt lgkmcnt(0)
	v_cndmask_b32_e64 v6, v3, v10, s[50:51]
	v_cmp_eq_u32_e64 s[50:51], 0, v1
	s_and_saveexec_b64 s[52:53], s[50:51]
	s_cbranch_execz .LBB101_879
; %bb.811:
	v_lshlrev_b32_e32 v74, 16, v6
	v_pk_add_f32 v[8:9], v[74:75], v[8:9] op_sel_hi:[0,1]
	s_mov_b32 s50, 0x7f800000
	v_and_b32_e32 v1, 0x7f800000, v8
	v_cmp_ne_u32_e64 s[50:51], s50, v1
                                        ; implicit-def: $vgpr1
	s_and_saveexec_b64 s[54:55], s[50:51]
	s_xor_b64 s[50:51], exec, s[54:55]
; %bb.812:
	v_bfe_u32 v1, v8, 16, 1
	s_movk_i32 s54, 0x7fff
	v_add3_u32 v1, v8, v1, s54
                                        ; implicit-def: $vgpr8_vgpr9
; %bb.813:
	s_andn2_saveexec_b64 s[54:55], s[50:51]
; %bb.814:
	v_mov_b32_e32 v1, 0
	v_or_b32_e32 v3, 0x10000, v8
	v_cmp_eq_u32_sdwa s[50:51], v8, v1 src0_sel:WORD_0 src1_sel:DWORD
	v_cndmask_b32_e64 v1, v3, v8, s[50:51]
; %bb.815:
	s_or_b64 exec, exec, s[54:55]
	v_lshrrev_b32_e32 v35, 16, v1
	s_or_b64 exec, exec, s[52:53]
	s_and_saveexec_b64 s[50:51], vcc
	s_cbranch_execnz .LBB101_880
.LBB101_816:
	s_or_b64 exec, exec, s[50:51]
	v_and_b32_e32 v8, 0xffff, v34
	s_and_saveexec_b64 s[50:51], s[2:3]
	s_cbranch_execz .LBB101_885
.LBB101_817:
	v_lshlrev_b32_e32 v2, 16, v8
	v_pk_add_f32 v[2:3], v[2:3], v[4:5] op_sel_hi:[0,1]
	s_mov_b32 s2, 0x7f800000
	v_and_b32_e32 v1, 0x7f800000, v2
	v_cmp_ne_u32_e32 vcc, s2, v1
                                        ; implicit-def: $vgpr1
	s_and_saveexec_b64 s[2:3], vcc
	s_xor_b64 s[2:3], exec, s[2:3]
; %bb.818:
	v_bfe_u32 v1, v2, 16, 1
	s_movk_i32 s52, 0x7fff
	v_add3_u32 v1, v2, v1, s52
                                        ; implicit-def: $vgpr2_vgpr3
; %bb.819:
	s_andn2_saveexec_b64 s[2:3], s[2:3]
; %bb.820:
	v_mov_b32_e32 v1, 0
	v_or_b32_e32 v3, 0x10000, v2
	v_cmp_eq_u32_sdwa vcc, v2, v1 src0_sel:WORD_0 src1_sel:DWORD
	v_cndmask_b32_e32 v1, v3, v2, vcc
; %bb.821:
	s_or_b64 exec, exec, s[2:3]
	v_lshrrev_b32_e32 v36, 16, v1
	s_or_b64 exec, exec, s[50:51]
	v_and_b32_e32 v9, 0xffff, v36
	s_and_saveexec_b64 s[2:3], s[6:7]
	s_cbranch_execnz .LBB101_886
.LBB101_822:
	s_or_b64 exec, exec, s[2:3]
	s_and_saveexec_b64 s[2:3], s[8:9]
	s_cbranch_execz .LBB101_891
.LBB101_823:
	v_lshlrev_b32_e32 v2, 16, v37
	v_pk_add_f32 v[2:3], v[2:3], v[14:15] op_sel_hi:[0,1]
	s_mov_b32 s6, 0x7f800000
	v_and_b32_e32 v1, 0x7f800000, v2
	v_cmp_ne_u32_e32 vcc, s6, v1
                                        ; implicit-def: $vgpr1
	s_and_saveexec_b64 s[6:7], vcc
	s_xor_b64 s[6:7], exec, s[6:7]
; %bb.824:
	v_bfe_u32 v1, v2, 16, 1
	s_movk_i32 s8, 0x7fff
	v_add3_u32 v1, v2, v1, s8
                                        ; implicit-def: $vgpr2_vgpr3
; %bb.825:
	s_andn2_saveexec_b64 s[6:7], s[6:7]
; %bb.826:
	v_mov_b32_e32 v1, 0
	v_or_b32_e32 v3, 0x10000, v2
	v_cmp_eq_u32_sdwa vcc, v2, v1 src0_sel:WORD_0 src1_sel:DWORD
	v_cndmask_b32_e32 v1, v3, v2, vcc
; %bb.827:
	s_or_b64 exec, exec, s[6:7]
	v_lshrrev_b32_e32 v38, 16, v1
	s_or_b64 exec, exec, s[2:3]
	s_and_saveexec_b64 s[2:3], s[10:11]
	s_cbranch_execnz .LBB101_892
.LBB101_828:
	s_or_b64 exec, exec, s[2:3]
	s_and_saveexec_b64 s[2:3], s[12:13]
	s_cbranch_execz .LBB101_897
.LBB101_829:
	v_lshlrev_b32_e32 v2, 16, v39
	v_pk_add_f32 v[2:3], v[2:3], v[18:19] op_sel_hi:[0,1]
	s_mov_b32 s6, 0x7f800000
	v_and_b32_e32 v1, 0x7f800000, v2
	v_cmp_ne_u32_e32 vcc, s6, v1
                                        ; implicit-def: $vgpr1
	s_and_saveexec_b64 s[6:7], vcc
	s_xor_b64 s[6:7], exec, s[6:7]
; %bb.830:
	v_bfe_u32 v1, v2, 16, 1
	s_movk_i32 s8, 0x7fff
	v_add3_u32 v1, v2, v1, s8
                                        ; implicit-def: $vgpr2_vgpr3
; %bb.831:
	s_andn2_saveexec_b64 s[6:7], s[6:7]
; %bb.832:
	v_mov_b32_e32 v1, 0
	v_or_b32_e32 v3, 0x10000, v2
	v_cmp_eq_u32_sdwa vcc, v2, v1 src0_sel:WORD_0 src1_sel:DWORD
	v_cndmask_b32_e32 v1, v3, v2, vcc
; %bb.833:
	s_or_b64 exec, exec, s[6:7]
	v_lshrrev_b32_e32 v40, 16, v1
	s_or_b64 exec, exec, s[2:3]
	s_and_saveexec_b64 s[2:3], s[14:15]
	s_cbranch_execnz .LBB101_898
.LBB101_834:
	s_or_b64 exec, exec, s[2:3]
	s_and_saveexec_b64 s[2:3], s[16:17]
	s_cbranch_execz .LBB101_903
.LBB101_835:
	v_lshlrev_b32_e32 v2, 16, v41
	v_pk_add_f32 v[2:3], v[2:3], v[22:23] op_sel_hi:[0,1]
	s_mov_b32 s6, 0x7f800000
	v_and_b32_e32 v1, 0x7f800000, v2
	v_cmp_ne_u32_e32 vcc, s6, v1
                                        ; implicit-def: $vgpr1
	s_and_saveexec_b64 s[6:7], vcc
	s_xor_b64 s[6:7], exec, s[6:7]
; %bb.836:
	v_bfe_u32 v1, v2, 16, 1
	s_movk_i32 s8, 0x7fff
	v_add3_u32 v1, v2, v1, s8
                                        ; implicit-def: $vgpr2_vgpr3
; %bb.837:
	s_andn2_saveexec_b64 s[6:7], s[6:7]
; %bb.838:
	v_mov_b32_e32 v1, 0
	v_or_b32_e32 v3, 0x10000, v2
	v_cmp_eq_u32_sdwa vcc, v2, v1 src0_sel:WORD_0 src1_sel:DWORD
	v_cndmask_b32_e32 v1, v3, v2, vcc
; %bb.839:
	s_or_b64 exec, exec, s[6:7]
	v_lshrrev_b32_e32 v42, 16, v1
	s_or_b64 exec, exec, s[2:3]
	s_and_saveexec_b64 s[2:3], s[18:19]
	s_cbranch_execnz .LBB101_904
.LBB101_840:
	s_or_b64 exec, exec, s[2:3]
	s_and_saveexec_b64 s[2:3], s[20:21]
	s_cbranch_execz .LBB101_909
.LBB101_841:
	v_lshlrev_b32_e32 v2, 16, v43
	v_pk_add_f32 v[2:3], v[2:3], v[26:27] op_sel_hi:[0,1]
	s_mov_b32 s6, 0x7f800000
	v_and_b32_e32 v1, 0x7f800000, v2
	v_cmp_ne_u32_e32 vcc, s6, v1
                                        ; implicit-def: $vgpr1
	s_and_saveexec_b64 s[6:7], vcc
	s_xor_b64 s[6:7], exec, s[6:7]
; %bb.842:
	v_bfe_u32 v1, v2, 16, 1
	s_movk_i32 s8, 0x7fff
	v_add3_u32 v1, v2, v1, s8
                                        ; implicit-def: $vgpr2_vgpr3
; %bb.843:
	s_andn2_saveexec_b64 s[6:7], s[6:7]
; %bb.844:
	v_mov_b32_e32 v1, 0
	v_or_b32_e32 v3, 0x10000, v2
	v_cmp_eq_u32_sdwa vcc, v2, v1 src0_sel:WORD_0 src1_sel:DWORD
	v_cndmask_b32_e32 v1, v3, v2, vcc
; %bb.845:
	s_or_b64 exec, exec, s[6:7]
	v_lshrrev_b32_e32 v44, 16, v1
	s_or_b64 exec, exec, s[2:3]
	s_and_saveexec_b64 s[2:3], s[22:23]
	s_cbranch_execnz .LBB101_910
.LBB101_846:
	s_or_b64 exec, exec, s[2:3]
	s_and_saveexec_b64 s[2:3], s[24:25]
	s_cbranch_execz .LBB101_915
.LBB101_847:
	v_lshlrev_b32_e32 v2, 16, v45
	v_pk_add_f32 v[2:3], v[2:3], v[30:31] op_sel_hi:[0,1]
	s_mov_b32 s6, 0x7f800000
	v_and_b32_e32 v1, 0x7f800000, v2
	v_cmp_ne_u32_e32 vcc, s6, v1
                                        ; implicit-def: $vgpr1
	s_and_saveexec_b64 s[6:7], vcc
	s_xor_b64 s[6:7], exec, s[6:7]
; %bb.848:
	v_bfe_u32 v1, v2, 16, 1
	s_movk_i32 s8, 0x7fff
	v_add3_u32 v1, v2, v1, s8
                                        ; implicit-def: $vgpr2_vgpr3
; %bb.849:
	s_andn2_saveexec_b64 s[6:7], s[6:7]
; %bb.850:
	v_mov_b32_e32 v1, 0
	v_or_b32_e32 v3, 0x10000, v2
	v_cmp_eq_u32_sdwa vcc, v2, v1 src0_sel:WORD_0 src1_sel:DWORD
	v_cndmask_b32_e32 v1, v3, v2, vcc
; %bb.851:
	s_or_b64 exec, exec, s[6:7]
	v_lshrrev_b32_e32 v48, 16, v1
	s_or_b64 exec, exec, s[2:3]
	s_and_saveexec_b64 s[2:3], s[26:27]
	s_cbranch_execnz .LBB101_916
.LBB101_852:
	s_or_b64 exec, exec, s[2:3]
	s_and_saveexec_b64 s[2:3], s[28:29]
	s_cbranch_execz .LBB101_921
.LBB101_853:
	v_lshlrev_b32_e32 v2, 16, v49
	v_pk_add_f32 v[2:3], v[2:3], v[56:57] op_sel_hi:[0,1]
	s_mov_b32 s6, 0x7f800000
	v_and_b32_e32 v1, 0x7f800000, v2
	v_cmp_ne_u32_e32 vcc, s6, v1
                                        ; implicit-def: $vgpr1
	s_and_saveexec_b64 s[6:7], vcc
	s_xor_b64 s[6:7], exec, s[6:7]
; %bb.854:
	v_bfe_u32 v1, v2, 16, 1
	s_movk_i32 s8, 0x7fff
	v_add3_u32 v1, v2, v1, s8
                                        ; implicit-def: $vgpr2_vgpr3
; %bb.855:
	s_andn2_saveexec_b64 s[6:7], s[6:7]
; %bb.856:
	v_mov_b32_e32 v1, 0
	v_or_b32_e32 v3, 0x10000, v2
	v_cmp_eq_u32_sdwa vcc, v2, v1 src0_sel:WORD_0 src1_sel:DWORD
	v_cndmask_b32_e32 v1, v3, v2, vcc
; %bb.857:
	s_or_b64 exec, exec, s[6:7]
	v_lshrrev_b32_e32 v50, 16, v1
	s_or_b64 exec, exec, s[2:3]
	s_and_saveexec_b64 s[2:3], s[30:31]
	s_cbranch_execnz .LBB101_922
.LBB101_858:
	s_or_b64 exec, exec, s[2:3]
	s_and_saveexec_b64 s[2:3], s[34:35]
	s_cbranch_execz .LBB101_927
.LBB101_859:
	v_lshlrev_b32_e32 v2, 16, v51
	v_pk_add_f32 v[2:3], v[2:3], v[60:61] op_sel_hi:[0,1]
	s_mov_b32 s6, 0x7f800000
	v_and_b32_e32 v1, 0x7f800000, v2
	v_cmp_ne_u32_e32 vcc, s6, v1
                                        ; implicit-def: $vgpr1
	s_and_saveexec_b64 s[6:7], vcc
	s_xor_b64 s[6:7], exec, s[6:7]
; %bb.860:
	v_bfe_u32 v1, v2, 16, 1
	s_movk_i32 s8, 0x7fff
	v_add3_u32 v1, v2, v1, s8
                                        ; implicit-def: $vgpr2_vgpr3
; %bb.861:
	s_andn2_saveexec_b64 s[6:7], s[6:7]
; %bb.862:
	v_mov_b32_e32 v1, 0
	v_or_b32_e32 v3, 0x10000, v2
	v_cmp_eq_u32_sdwa vcc, v2, v1 src0_sel:WORD_0 src1_sel:DWORD
	v_cndmask_b32_e32 v1, v3, v2, vcc
; %bb.863:
	s_or_b64 exec, exec, s[6:7]
	v_lshrrev_b32_e32 v52, 16, v1
	s_or_b64 exec, exec, s[2:3]
	s_and_saveexec_b64 s[2:3], s[36:37]
	s_cbranch_execnz .LBB101_928
.LBB101_864:
	s_or_b64 exec, exec, s[2:3]
	s_and_saveexec_b64 s[2:3], s[38:39]
	s_cbranch_execz .LBB101_933
.LBB101_865:
	v_lshlrev_b32_e32 v2, 16, v53
	v_pk_add_f32 v[2:3], v[2:3], v[64:65] op_sel_hi:[0,1]
	s_mov_b32 s6, 0x7f800000
	v_and_b32_e32 v1, 0x7f800000, v2
	v_cmp_ne_u32_e32 vcc, s6, v1
                                        ; implicit-def: $vgpr1
	s_and_saveexec_b64 s[6:7], vcc
	s_xor_b64 s[6:7], exec, s[6:7]
; %bb.866:
	v_bfe_u32 v1, v2, 16, 1
	s_movk_i32 s8, 0x7fff
	v_add3_u32 v1, v2, v1, s8
                                        ; implicit-def: $vgpr2_vgpr3
; %bb.867:
	s_andn2_saveexec_b64 s[6:7], s[6:7]
; %bb.868:
	v_mov_b32_e32 v1, 0
	v_or_b32_e32 v3, 0x10000, v2
	v_cmp_eq_u32_sdwa vcc, v2, v1 src0_sel:WORD_0 src1_sel:DWORD
	v_cndmask_b32_e32 v1, v3, v2, vcc
; %bb.869:
	s_or_b64 exec, exec, s[6:7]
	v_lshrrev_b32_e32 v54, 16, v1
	s_or_b64 exec, exec, s[2:3]
	s_and_saveexec_b64 s[2:3], s[40:41]
	s_cbranch_execnz .LBB101_934
.LBB101_870:
	s_or_b64 exec, exec, s[2:3]
	s_and_saveexec_b64 s[2:3], s[42:43]
	s_cbranch_execz .LBB101_939
.LBB101_871:
	v_lshlrev_b32_e32 v2, 16, v55
	v_pk_add_f32 v[2:3], v[2:3], v[68:69] op_sel_hi:[0,1]
	s_mov_b32 s6, 0x7f800000
	v_and_b32_e32 v1, 0x7f800000, v2
	v_cmp_ne_u32_e32 vcc, s6, v1
                                        ; implicit-def: $vgpr1
	s_and_saveexec_b64 s[6:7], vcc
	s_xor_b64 s[6:7], exec, s[6:7]
; %bb.872:
	v_bfe_u32 v1, v2, 16, 1
	s_movk_i32 s8, 0x7fff
	v_add3_u32 v1, v2, v1, s8
                                        ; implicit-def: $vgpr2_vgpr3
; %bb.873:
	s_andn2_saveexec_b64 s[6:7], s[6:7]
; %bb.874:
	v_mov_b32_e32 v1, 0
	v_or_b32_e32 v3, 0x10000, v2
	v_cmp_eq_u32_sdwa vcc, v2, v1 src0_sel:WORD_0 src1_sel:DWORD
	v_cndmask_b32_e32 v1, v3, v2, vcc
; %bb.875:
	s_or_b64 exec, exec, s[6:7]
	v_lshrrev_b32_e32 v46, 16, v1
	s_or_b64 exec, exec, s[2:3]
	s_and_saveexec_b64 s[2:3], s[44:45]
	s_cbranch_execnz .LBB101_940
.LBB101_876:
	s_or_b64 exec, exec, s[2:3]
	s_and_saveexec_b64 s[2:3], s[46:47]
	s_cbranch_execnz .LBB101_945
	s_branch .LBB101_950
.LBB101_877:
	s_or_b64 exec, exec, s[50:51]
	v_cmp_lt_u32_e64 s[48:49], 31, v1
	s_and_saveexec_b64 s[50:51], s[48:49]
	s_cbranch_execz .LBB101_802
.LBB101_878:
	v_and_b32_e32 v7, 1, v13
	v_mov_b32_e32 v9, 1
	v_and_b32_sdwa v9, v15, v9 dst_sel:DWORD dst_unused:UNUSED_PAD src0_sel:WORD_1 src1_sel:DWORD
	v_cmp_eq_u32_e64 s[48:49], 1, v7
	v_cndmask_b32_e64 v9, v9, 1, s[48:49]
	v_mov_b32_e32 v11, v6
	v_mov_b32_e32 v13, v9
	;; [unrolled: 1-line block ×3, first 2 shown]
	s_or_b64 exec, exec, s[50:51]
	v_cmp_eq_u32_e64 s[48:49], 63, v0
	s_and_saveexec_b64 s[50:51], s[48:49]
	s_cbranch_execnz .LBB101_803
	s_branch .LBB101_804
.LBB101_879:
	s_or_b64 exec, exec, s[52:53]
	s_and_saveexec_b64 s[50:51], vcc
	s_cbranch_execz .LBB101_816
.LBB101_880:
	v_lshlrev_b32_e32 v8, 16, v35
	v_pk_add_f32 v[2:3], v[8:9], v[2:3] op_sel_hi:[0,1]
	s_mov_b32 s52, 0x7f800000
	v_and_b32_e32 v1, 0x7f800000, v2
	v_cmp_ne_u32_e32 vcc, s52, v1
                                        ; implicit-def: $vgpr1
	s_and_saveexec_b64 s[52:53], vcc
	s_xor_b64 s[52:53], exec, s[52:53]
; %bb.881:
	v_bfe_u32 v1, v2, 16, 1
	s_movk_i32 s54, 0x7fff
	v_add3_u32 v1, v2, v1, s54
                                        ; implicit-def: $vgpr2_vgpr3
; %bb.882:
	s_andn2_saveexec_b64 s[52:53], s[52:53]
; %bb.883:
	v_mov_b32_e32 v1, 0
	v_or_b32_e32 v3, 0x10000, v2
	v_cmp_eq_u32_sdwa vcc, v2, v1 src0_sel:WORD_0 src1_sel:DWORD
	v_cndmask_b32_e32 v1, v3, v2, vcc
; %bb.884:
	s_or_b64 exec, exec, s[52:53]
	v_lshrrev_b32_e32 v34, 16, v1
	s_or_b64 exec, exec, s[50:51]
	v_and_b32_e32 v8, 0xffff, v34
	s_and_saveexec_b64 s[50:51], s[2:3]
	s_cbranch_execnz .LBB101_817
.LBB101_885:
	s_or_b64 exec, exec, s[50:51]
	v_and_b32_e32 v9, 0xffff, v36
	s_and_saveexec_b64 s[2:3], s[6:7]
	s_cbranch_execz .LBB101_822
.LBB101_886:
	v_lshlrev_b32_e32 v2, 16, v9
	v_pk_add_f32 v[2:3], v[2:3], v[12:13] op_sel_hi:[0,1]
	s_mov_b32 s6, 0x7f800000
	v_and_b32_e32 v1, 0x7f800000, v2
	v_cmp_ne_u32_e32 vcc, s6, v1
                                        ; implicit-def: $vgpr1
	s_and_saveexec_b64 s[6:7], vcc
	s_xor_b64 s[6:7], exec, s[6:7]
; %bb.887:
	v_bfe_u32 v1, v2, 16, 1
	s_movk_i32 s50, 0x7fff
	v_add3_u32 v1, v2, v1, s50
                                        ; implicit-def: $vgpr2_vgpr3
; %bb.888:
	s_andn2_saveexec_b64 s[6:7], s[6:7]
; %bb.889:
	v_mov_b32_e32 v1, 0
	v_or_b32_e32 v3, 0x10000, v2
	v_cmp_eq_u32_sdwa vcc, v2, v1 src0_sel:WORD_0 src1_sel:DWORD
	v_cndmask_b32_e32 v1, v3, v2, vcc
; %bb.890:
	s_or_b64 exec, exec, s[6:7]
	v_lshrrev_b32_e32 v37, 16, v1
	s_or_b64 exec, exec, s[2:3]
	s_and_saveexec_b64 s[2:3], s[8:9]
	s_cbranch_execnz .LBB101_823
.LBB101_891:
	s_or_b64 exec, exec, s[2:3]
	s_and_saveexec_b64 s[2:3], s[10:11]
	s_cbranch_execz .LBB101_828
.LBB101_892:
	v_lshlrev_b32_e32 v2, 16, v38
	v_pk_add_f32 v[2:3], v[2:3], v[16:17] op_sel_hi:[0,1]
	s_mov_b32 s6, 0x7f800000
	v_and_b32_e32 v1, 0x7f800000, v2
	v_cmp_ne_u32_e32 vcc, s6, v1
                                        ; implicit-def: $vgpr1
	s_and_saveexec_b64 s[6:7], vcc
	s_xor_b64 s[6:7], exec, s[6:7]
; %bb.893:
	v_bfe_u32 v1, v2, 16, 1
	s_movk_i32 s8, 0x7fff
	v_add3_u32 v1, v2, v1, s8
                                        ; implicit-def: $vgpr2_vgpr3
; %bb.894:
	s_andn2_saveexec_b64 s[6:7], s[6:7]
; %bb.895:
	v_mov_b32_e32 v1, 0
	v_or_b32_e32 v3, 0x10000, v2
	v_cmp_eq_u32_sdwa vcc, v2, v1 src0_sel:WORD_0 src1_sel:DWORD
	v_cndmask_b32_e32 v1, v3, v2, vcc
; %bb.896:
	s_or_b64 exec, exec, s[6:7]
	v_lshrrev_b32_e32 v39, 16, v1
	s_or_b64 exec, exec, s[2:3]
	s_and_saveexec_b64 s[2:3], s[12:13]
	s_cbranch_execnz .LBB101_829
.LBB101_897:
	s_or_b64 exec, exec, s[2:3]
	s_and_saveexec_b64 s[2:3], s[14:15]
	s_cbranch_execz .LBB101_834
.LBB101_898:
	v_lshlrev_b32_e32 v2, 16, v40
	v_pk_add_f32 v[2:3], v[2:3], v[20:21] op_sel_hi:[0,1]
	s_mov_b32 s6, 0x7f800000
	v_and_b32_e32 v1, 0x7f800000, v2
	v_cmp_ne_u32_e32 vcc, s6, v1
                                        ; implicit-def: $vgpr1
	s_and_saveexec_b64 s[6:7], vcc
	s_xor_b64 s[6:7], exec, s[6:7]
; %bb.899:
	v_bfe_u32 v1, v2, 16, 1
	s_movk_i32 s8, 0x7fff
	v_add3_u32 v1, v2, v1, s8
                                        ; implicit-def: $vgpr2_vgpr3
; %bb.900:
	s_andn2_saveexec_b64 s[6:7], s[6:7]
; %bb.901:
	v_mov_b32_e32 v1, 0
	v_or_b32_e32 v3, 0x10000, v2
	v_cmp_eq_u32_sdwa vcc, v2, v1 src0_sel:WORD_0 src1_sel:DWORD
	v_cndmask_b32_e32 v1, v3, v2, vcc
; %bb.902:
	s_or_b64 exec, exec, s[6:7]
	v_lshrrev_b32_e32 v41, 16, v1
	s_or_b64 exec, exec, s[2:3]
	s_and_saveexec_b64 s[2:3], s[16:17]
	s_cbranch_execnz .LBB101_835
.LBB101_903:
	s_or_b64 exec, exec, s[2:3]
	s_and_saveexec_b64 s[2:3], s[18:19]
	s_cbranch_execz .LBB101_840
.LBB101_904:
	v_lshlrev_b32_e32 v2, 16, v42
	v_pk_add_f32 v[2:3], v[2:3], v[24:25] op_sel_hi:[0,1]
	s_mov_b32 s6, 0x7f800000
	v_and_b32_e32 v1, 0x7f800000, v2
	v_cmp_ne_u32_e32 vcc, s6, v1
                                        ; implicit-def: $vgpr1
	s_and_saveexec_b64 s[6:7], vcc
	s_xor_b64 s[6:7], exec, s[6:7]
; %bb.905:
	v_bfe_u32 v1, v2, 16, 1
	s_movk_i32 s8, 0x7fff
	v_add3_u32 v1, v2, v1, s8
                                        ; implicit-def: $vgpr2_vgpr3
; %bb.906:
	s_andn2_saveexec_b64 s[6:7], s[6:7]
; %bb.907:
	v_mov_b32_e32 v1, 0
	v_or_b32_e32 v3, 0x10000, v2
	v_cmp_eq_u32_sdwa vcc, v2, v1 src0_sel:WORD_0 src1_sel:DWORD
	v_cndmask_b32_e32 v1, v3, v2, vcc
; %bb.908:
	s_or_b64 exec, exec, s[6:7]
	v_lshrrev_b32_e32 v43, 16, v1
	s_or_b64 exec, exec, s[2:3]
	s_and_saveexec_b64 s[2:3], s[20:21]
	s_cbranch_execnz .LBB101_841
.LBB101_909:
	s_or_b64 exec, exec, s[2:3]
	s_and_saveexec_b64 s[2:3], s[22:23]
	s_cbranch_execz .LBB101_846
.LBB101_910:
	v_lshlrev_b32_e32 v2, 16, v44
	v_pk_add_f32 v[2:3], v[2:3], v[28:29] op_sel_hi:[0,1]
	s_mov_b32 s6, 0x7f800000
	v_and_b32_e32 v1, 0x7f800000, v2
	v_cmp_ne_u32_e32 vcc, s6, v1
                                        ; implicit-def: $vgpr1
	s_and_saveexec_b64 s[6:7], vcc
	s_xor_b64 s[6:7], exec, s[6:7]
; %bb.911:
	v_bfe_u32 v1, v2, 16, 1
	s_movk_i32 s8, 0x7fff
	v_add3_u32 v1, v2, v1, s8
                                        ; implicit-def: $vgpr2_vgpr3
; %bb.912:
	s_andn2_saveexec_b64 s[6:7], s[6:7]
; %bb.913:
	v_mov_b32_e32 v1, 0
	v_or_b32_e32 v3, 0x10000, v2
	v_cmp_eq_u32_sdwa vcc, v2, v1 src0_sel:WORD_0 src1_sel:DWORD
	v_cndmask_b32_e32 v1, v3, v2, vcc
; %bb.914:
	s_or_b64 exec, exec, s[6:7]
	v_lshrrev_b32_e32 v45, 16, v1
	s_or_b64 exec, exec, s[2:3]
	s_and_saveexec_b64 s[2:3], s[24:25]
	s_cbranch_execnz .LBB101_847
.LBB101_915:
	s_or_b64 exec, exec, s[2:3]
	s_and_saveexec_b64 s[2:3], s[26:27]
	s_cbranch_execz .LBB101_852
.LBB101_916:
	v_lshlrev_b32_e32 v2, 16, v48
	v_pk_add_f32 v[2:3], v[2:3], v[32:33] op_sel_hi:[0,1]
	s_mov_b32 s6, 0x7f800000
	v_and_b32_e32 v1, 0x7f800000, v2
	v_cmp_ne_u32_e32 vcc, s6, v1
                                        ; implicit-def: $vgpr1
	s_and_saveexec_b64 s[6:7], vcc
	s_xor_b64 s[6:7], exec, s[6:7]
; %bb.917:
	v_bfe_u32 v1, v2, 16, 1
	s_movk_i32 s8, 0x7fff
	v_add3_u32 v1, v2, v1, s8
                                        ; implicit-def: $vgpr2_vgpr3
; %bb.918:
	s_andn2_saveexec_b64 s[6:7], s[6:7]
; %bb.919:
	v_mov_b32_e32 v1, 0
	v_or_b32_e32 v3, 0x10000, v2
	v_cmp_eq_u32_sdwa vcc, v2, v1 src0_sel:WORD_0 src1_sel:DWORD
	v_cndmask_b32_e32 v1, v3, v2, vcc
; %bb.920:
	s_or_b64 exec, exec, s[6:7]
	v_lshrrev_b32_e32 v49, 16, v1
	s_or_b64 exec, exec, s[2:3]
	s_and_saveexec_b64 s[2:3], s[28:29]
	s_cbranch_execnz .LBB101_853
.LBB101_921:
	s_or_b64 exec, exec, s[2:3]
	s_and_saveexec_b64 s[2:3], s[30:31]
	s_cbranch_execz .LBB101_858
.LBB101_922:
	v_lshlrev_b32_e32 v2, 16, v50
	v_pk_add_f32 v[2:3], v[2:3], v[58:59] op_sel_hi:[0,1]
	s_mov_b32 s6, 0x7f800000
	v_and_b32_e32 v1, 0x7f800000, v2
	v_cmp_ne_u32_e32 vcc, s6, v1
                                        ; implicit-def: $vgpr1
	s_and_saveexec_b64 s[6:7], vcc
	s_xor_b64 s[6:7], exec, s[6:7]
; %bb.923:
	v_bfe_u32 v1, v2, 16, 1
	s_movk_i32 s8, 0x7fff
	v_add3_u32 v1, v2, v1, s8
                                        ; implicit-def: $vgpr2_vgpr3
; %bb.924:
	s_andn2_saveexec_b64 s[6:7], s[6:7]
; %bb.925:
	v_mov_b32_e32 v1, 0
	v_or_b32_e32 v3, 0x10000, v2
	v_cmp_eq_u32_sdwa vcc, v2, v1 src0_sel:WORD_0 src1_sel:DWORD
	v_cndmask_b32_e32 v1, v3, v2, vcc
; %bb.926:
	s_or_b64 exec, exec, s[6:7]
	v_lshrrev_b32_e32 v51, 16, v1
	s_or_b64 exec, exec, s[2:3]
	s_and_saveexec_b64 s[2:3], s[34:35]
	s_cbranch_execnz .LBB101_859
.LBB101_927:
	s_or_b64 exec, exec, s[2:3]
	s_and_saveexec_b64 s[2:3], s[36:37]
	s_cbranch_execz .LBB101_864
.LBB101_928:
	v_lshlrev_b32_e32 v2, 16, v52
	v_pk_add_f32 v[2:3], v[2:3], v[62:63] op_sel_hi:[0,1]
	s_mov_b32 s6, 0x7f800000
	v_and_b32_e32 v1, 0x7f800000, v2
	v_cmp_ne_u32_e32 vcc, s6, v1
                                        ; implicit-def: $vgpr1
	s_and_saveexec_b64 s[6:7], vcc
	s_xor_b64 s[6:7], exec, s[6:7]
; %bb.929:
	v_bfe_u32 v1, v2, 16, 1
	s_movk_i32 s8, 0x7fff
	v_add3_u32 v1, v2, v1, s8
                                        ; implicit-def: $vgpr2_vgpr3
; %bb.930:
	s_andn2_saveexec_b64 s[6:7], s[6:7]
; %bb.931:
	v_mov_b32_e32 v1, 0
	v_or_b32_e32 v3, 0x10000, v2
	v_cmp_eq_u32_sdwa vcc, v2, v1 src0_sel:WORD_0 src1_sel:DWORD
	v_cndmask_b32_e32 v1, v3, v2, vcc
; %bb.932:
	s_or_b64 exec, exec, s[6:7]
	v_lshrrev_b32_e32 v53, 16, v1
	s_or_b64 exec, exec, s[2:3]
	s_and_saveexec_b64 s[2:3], s[38:39]
	s_cbranch_execnz .LBB101_865
.LBB101_933:
	s_or_b64 exec, exec, s[2:3]
	s_and_saveexec_b64 s[2:3], s[40:41]
	s_cbranch_execz .LBB101_870
.LBB101_934:
	v_lshlrev_b32_e32 v2, 16, v54
	v_pk_add_f32 v[2:3], v[2:3], v[66:67] op_sel_hi:[0,1]
	s_mov_b32 s6, 0x7f800000
	v_and_b32_e32 v1, 0x7f800000, v2
	v_cmp_ne_u32_e32 vcc, s6, v1
                                        ; implicit-def: $vgpr1
	s_and_saveexec_b64 s[6:7], vcc
	s_xor_b64 s[6:7], exec, s[6:7]
; %bb.935:
	v_bfe_u32 v1, v2, 16, 1
	s_movk_i32 s8, 0x7fff
	v_add3_u32 v1, v2, v1, s8
                                        ; implicit-def: $vgpr2_vgpr3
; %bb.936:
	s_andn2_saveexec_b64 s[6:7], s[6:7]
; %bb.937:
	v_mov_b32_e32 v1, 0
	v_or_b32_e32 v3, 0x10000, v2
	v_cmp_eq_u32_sdwa vcc, v2, v1 src0_sel:WORD_0 src1_sel:DWORD
	v_cndmask_b32_e32 v1, v3, v2, vcc
; %bb.938:
	s_or_b64 exec, exec, s[6:7]
	v_lshrrev_b32_e32 v55, 16, v1
	s_or_b64 exec, exec, s[2:3]
	s_and_saveexec_b64 s[2:3], s[42:43]
	s_cbranch_execnz .LBB101_871
.LBB101_939:
	s_or_b64 exec, exec, s[2:3]
	s_and_saveexec_b64 s[2:3], s[44:45]
	s_cbranch_execz .LBB101_876
.LBB101_940:
	v_lshlrev_b32_e32 v2, 16, v46
	v_pk_add_f32 v[2:3], v[2:3], v[70:71] op_sel_hi:[0,1]
	s_mov_b32 s6, 0x7f800000
	v_and_b32_e32 v1, 0x7f800000, v2
	v_cmp_ne_u32_e32 vcc, s6, v1
                                        ; implicit-def: $vgpr1
	s_and_saveexec_b64 s[6:7], vcc
	s_xor_b64 s[6:7], exec, s[6:7]
; %bb.941:
	v_bfe_u32 v1, v2, 16, 1
	s_movk_i32 s8, 0x7fff
	v_add3_u32 v1, v2, v1, s8
                                        ; implicit-def: $vgpr2_vgpr3
; %bb.942:
	s_andn2_saveexec_b64 s[6:7], s[6:7]
; %bb.943:
	v_mov_b32_e32 v1, 0
	v_or_b32_e32 v3, 0x10000, v2
	v_cmp_eq_u32_sdwa vcc, v2, v1 src0_sel:WORD_0 src1_sel:DWORD
	v_cndmask_b32_e32 v1, v3, v2, vcc
; %bb.944:
	s_or_b64 exec, exec, s[6:7]
	v_lshrrev_b32_e32 v47, 16, v1
	s_or_b64 exec, exec, s[2:3]
	s_and_saveexec_b64 s[2:3], s[46:47]
	s_cbranch_execz .LBB101_950
.LBB101_945:
	v_lshlrev_b32_e32 v2, 16, v47
	v_pk_add_f32 v[2:3], v[2:3], v[72:73] op_sel_hi:[0,1]
	s_mov_b32 s6, 0x7f800000
	v_and_b32_e32 v1, 0x7f800000, v2
	v_cmp_ne_u32_e32 vcc, s6, v1
                                        ; implicit-def: $vgpr1
	s_and_saveexec_b64 s[6:7], vcc
	s_xor_b64 s[6:7], exec, s[6:7]
; %bb.946:
	v_bfe_u32 v1, v2, 16, 1
	s_movk_i32 s8, 0x7fff
	v_add3_u32 v1, v2, v1, s8
                                        ; implicit-def: $vgpr2_vgpr3
; %bb.947:
	s_andn2_saveexec_b64 s[6:7], s[6:7]
; %bb.948:
	v_mov_b32_e32 v1, 0
	v_or_b32_e32 v3, 0x10000, v2
	v_cmp_eq_u32_sdwa vcc, v2, v1 src0_sel:WORD_0 src1_sel:DWORD
	v_cndmask_b32_e32 v1, v3, v2, vcc
; %bb.949:
	s_or_b64 exec, exec, s[6:7]
	v_lshrrev_b32_e32 v5, 16, v1
.LBB101_950:
	s_or_b64 exec, exec, s[2:3]
	v_mov_b32_e32 v2, 0
	ds_read_u8 v1, v2 offset:2
	ds_read_u16 v2, v2
	s_waitcnt lgkmcnt(1)
	v_cmp_ne_u16_e32 vcc, 0, v1
	s_cbranch_vccz .LBB101_1051
; %bb.951:
	v_mov_b32_e32 v7, v35
	s_and_saveexec_b64 s[2:3], s[48:49]
	s_cbranch_execz .LBB101_953
.LBB101_952:
	v_mov_b32_e32 v11, v35
	v_lshlrev_b32_e32 v1, 16, v1
	v_mov_b32_e32 v12, v8
	v_mov_b32_e32 v13, v9
	v_pk_mov_b32 v[6:7], v[10:11], v[10:11] op_sel:[0,1]
	v_mov_b32_e32 v4, 0
	s_waitcnt lgkmcnt(0)
	v_or_b32_sdwa v2, v1, v2 dst_sel:DWORD dst_unused:UNUSED_PAD src0_sel:DWORD src1_sel:WORD_0
	v_mov_b32_e32 v3, 2
	v_pk_mov_b32 v[8:9], v[12:13], v[12:13] op_sel:[0,1]
	global_store_dwordx2 v4, v[2:3], s[56:57] offset:512
.LBB101_953:
	s_or_b64 exec, exec, s[2:3]
	v_mov_b32_e32 v4, v47
	s_waitcnt lgkmcnt(0)
	v_mov_b32_e32 v2, v55
	v_mov_b32_e32 v3, v46
	v_pk_mov_b32 v[28:29], v[4:5], v[4:5] op_sel:[0,1]
	v_mov_b32_e32 v10, v37
	v_mov_b32_e32 v11, v38
	;; [unrolled: 1-line block ×16, first 2 shown]
	v_pk_mov_b32 v[26:27], v[2:3], v[2:3] op_sel:[0,1]
.LBB101_954:
	s_load_dwordx2 s[2:3], s[4:5], 0x18
	v_mul_u32_u24_e32 v4, 24, v0
	s_waitcnt lgkmcnt(0)
	s_add_u32 s2, s2, s64
	s_addc_u32 s3, s3, s65
	s_and_b64 vcc, exec, s[0:1]
	s_cbranch_vccz .LBB101_1046
; %bb.955:
	s_add_i32 s33, s33, s58
	v_cmp_le_u32_e32 vcc, s33, v4
	v_or_b32_e32 v1, 1, v4
	s_and_saveexec_b64 s[0:1], vcc
	s_xor_b64 s[0:1], exec, s[0:1]
; %bb.956:
	v_or_b32_e32 v1, 1, v4
; %bb.957:
	s_or_saveexec_b64 s[0:1], s[0:1]
                                        ; implicit-def: $vgpr2
                                        ; implicit-def: $vgpr3
                                        ; implicit-def: $vgpr30
                                        ; implicit-def: $vgpr5
	s_xor_b64 exec, exec, s[0:1]
	s_cbranch_execz .LBB101_999
; %bb.958:
	v_cmp_gt_u32_e32 vcc, s33, v1
                                        ; implicit-def: $vgpr5
                                        ; implicit-def: $vgpr30
                                        ; implicit-def: $vgpr3
                                        ; implicit-def: $vgpr2
	s_and_saveexec_b64 s[4:5], vcc
	s_cbranch_execz .LBB101_998
; %bb.959:
	v_or_b32_e32 v2, 2, v4
	v_cmp_gt_u32_e32 vcc, s33, v2
                                        ; implicit-def: $vgpr5
                                        ; implicit-def: $vgpr30
                                        ; implicit-def: $vgpr3
                                        ; implicit-def: $vgpr2
	s_and_saveexec_b64 s[6:7], vcc
	s_cbranch_execz .LBB101_997
; %bb.960:
	v_or_b32_e32 v2, 3, v4
	v_cmp_gt_u32_e32 vcc, s33, v2
	v_mov_b32_e32 v2, v8
                                        ; implicit-def: $vgpr5
                                        ; implicit-def: $vgpr30
                                        ; implicit-def: $vgpr3
	s_and_saveexec_b64 s[8:9], vcc
	s_cbranch_execz .LBB101_996
; %bb.961:
	v_or_b32_e32 v2, 4, v4
	s_mov_b32 s10, 0x5040100
	v_cmp_gt_u32_e32 vcc, s33, v2
	v_perm_b32 v2, v9, v8, s10
                                        ; implicit-def: $vgpr5
                                        ; implicit-def: $vgpr30
                                        ; implicit-def: $vgpr3
	s_and_saveexec_b64 s[10:11], vcc
	s_cbranch_execz .LBB101_995
; %bb.962:
	v_or_b32_e32 v3, 5, v4
	s_mov_b32 s12, 0xffff
	v_cmp_gt_u32_e32 vcc, s33, v3
	v_bfi_b32 v3, s12, v10, v0
                                        ; implicit-def: $vgpr5
                                        ; implicit-def: $vgpr30
	s_and_saveexec_b64 s[12:13], vcc
	s_cbranch_execz .LBB101_994
; %bb.963:
	v_or_b32_e32 v5, 6, v4
	v_cmp_gt_u32_e32 vcc, s33, v5
	s_mov_b32 s48, 0x5040100
                                        ; implicit-def: $vgpr5
                                        ; implicit-def: $vgpr30
	s_and_saveexec_b64 s[14:15], vcc
	s_cbranch_execz .LBB101_993
; %bb.964:
	v_or_b32_e32 v30, 7, v4
	v_cmp_gt_u32_e32 vcc, s33, v30
	v_mov_b32_e32 v30, v12
                                        ; implicit-def: $vgpr5
	s_and_saveexec_b64 s[16:17], vcc
	s_cbranch_execz .LBB101_992
; %bb.965:
	v_add_u32_e32 v5, 8, v4
	s_mov_b32 s18, 0x5040100
	v_cmp_gt_u32_e32 vcc, s33, v5
	v_perm_b32 v30, v13, v12, s18
                                        ; implicit-def: $vgpr5
	s_and_saveexec_b64 s[18:19], vcc
	s_cbranch_execz .LBB101_991
; %bb.966:
	v_add_u32_e32 v5, 9, v4
	s_mov_b32 s20, 0xffff
	v_cmp_gt_u32_e32 vcc, s33, v5
	v_bfi_b32 v5, s20, v14, v0
	s_and_saveexec_b64 s[20:21], vcc
	s_cbranch_execz .LBB101_990
; %bb.967:
	v_add_u32_e32 v31, 10, v4
	v_cmp_gt_u32_e32 vcc, s33, v31
	s_mov_b32 s49, 0x5040100
	s_and_saveexec_b64 s[22:23], vcc
	s_cbranch_execz .LBB101_989
; %bb.968:
	v_add_u32_e32 v31, 11, v4
	v_cmp_gt_u32_e32 vcc, s33, v31
	s_and_saveexec_b64 s[24:25], vcc
	s_cbranch_execz .LBB101_988
; %bb.969:
	v_add_u32_e32 v31, 12, v4
	v_cmp_gt_u32_e32 vcc, s33, v31
	;; [unrolled: 5-line block ×10, first 2 shown]
	s_and_saveexec_b64 s[44:45], vcc
; %bb.978:
	v_add_u32_e32 v31, 21, v4
	v_cmp_gt_u32_e32 vcc, s33, v31
	s_and_saveexec_b64 s[46:47], vcc
	s_or_b64 exec, exec, s[46:47]
; %bb.979:
	s_or_b64 exec, exec, s[44:45]
.LBB101_980:
	s_or_b64 exec, exec, s[42:43]
.LBB101_981:
	s_or_b64 exec, exec, s[40:41]
.LBB101_982:
	s_or_b64 exec, exec, s[38:39]
.LBB101_983:
	s_or_b64 exec, exec, s[36:37]
.LBB101_984:
	s_or_b64 exec, exec, s[34:35]
.LBB101_985:
	s_or_b64 exec, exec, s[30:31]
.LBB101_986:
	s_or_b64 exec, exec, s[28:29]
.LBB101_987:
	s_or_b64 exec, exec, s[26:27]
.LBB101_988:
	s_or_b64 exec, exec, s[24:25]
.LBB101_989:
	s_or_b64 exec, exec, s[22:23]
	v_perm_b32 v5, v15, v5, s49
.LBB101_990:
	s_or_b64 exec, exec, s[20:21]
.LBB101_991:
	s_or_b64 exec, exec, s[18:19]
.LBB101_992:
	s_or_b64 exec, exec, s[16:17]
.LBB101_993:
	s_or_b64 exec, exec, s[14:15]
	v_perm_b32 v3, v11, v3, s48
.LBB101_994:
	s_or_b64 exec, exec, s[12:13]
.LBB101_995:
	s_or_b64 exec, exec, s[10:11]
.LBB101_996:
	s_or_b64 exec, exec, s[8:9]
.LBB101_997:
	s_or_b64 exec, exec, s[6:7]
.LBB101_998:
	s_or_b64 exec, exec, s[4:5]
.LBB101_999:
	s_or_b64 exec, exec, s[0:1]
	v_lshlrev_b32_e32 v50, 1, v4
	v_lshlrev_b32_e32 v1, 1, v1
	s_mov_b32 s0, 0x5040100
	s_waitcnt lgkmcnt(0)
	; wave barrier
	ds_write_b16 v50, v6
	ds_write_b16 v1, v7
	ds_write2_b32 v50, v2, v3 offset0:1 offset1:2
	ds_write2_b32 v50, v30, v5 offset0:3 offset1:4
	v_perm_b32 v1, v19, v18, s0
	v_perm_b32 v2, v17, v16, s0
	ds_write2_b32 v50, v2, v1 offset0:5 offset1:6
	v_perm_b32 v1, v23, v22, s0
	v_perm_b32 v2, v21, v20, s0
	;; [unrolled: 3-line block ×3, first 2 shown]
	ds_write2_b32 v50, v2, v1 offset0:9 offset1:10
	v_perm_b32 v1, v29, v28, s0
	s_movk_i32 s0, 0xffd2
	v_mad_i32_i24 v2, v0, s0, v50
	ds_write_b32 v50, v1 offset:44
	s_waitcnt lgkmcnt(0)
	; wave barrier
	s_waitcnt lgkmcnt(0)
	ds_read_u16 v52, v2 offset:128
	ds_read_u16 v51, v2 offset:256
	;; [unrolled: 1-line block ×23, first 2 shown]
	v_lshlrev_b32_e32 v2, 1, v0
	v_mov_b32_e32 v3, s3
	v_add_co_u32_e32 v2, vcc, s2, v2
	v_addc_co_u32_e32 v3, vcc, 0, v3, vcc
	v_mov_b32_e32 v1, 0
	v_cmp_gt_u32_e32 vcc, s33, v0
	s_and_saveexec_b64 s[0:1], vcc
	s_cbranch_execz .LBB101_1001
; %bb.1000:
	v_mul_i32_i24_e32 v53, 0xffffffd2, v0
	v_add_u32_e32 v50, v50, v53
	ds_read_u16 v50, v50
	s_waitcnt lgkmcnt(0)
	global_store_short v[2:3], v50, off
.LBB101_1001:
	s_or_b64 exec, exec, s[0:1]
	v_or_b32_e32 v50, 64, v0
	v_cmp_gt_u32_e32 vcc, s33, v50
	s_and_saveexec_b64 s[0:1], vcc
	s_cbranch_execz .LBB101_1003
; %bb.1002:
	s_waitcnt lgkmcnt(14)
	global_store_short v[2:3], v52, off offset:128
.LBB101_1003:
	s_or_b64 exec, exec, s[0:1]
	v_or_b32_e32 v50, 0x80, v0
	v_cmp_gt_u32_e32 vcc, s33, v50
	s_and_saveexec_b64 s[0:1], vcc
	s_cbranch_execz .LBB101_1005
; %bb.1004:
	s_waitcnt lgkmcnt(14)
	global_store_short v[2:3], v51, off offset:256
.LBB101_1005:
	;; [unrolled: 9-line block ×3, first 2 shown]
	s_or_b64 exec, exec, s[0:1]
	s_waitcnt lgkmcnt(14)
	v_or_b32_e32 v49, 0x100, v0
	v_cmp_gt_u32_e32 vcc, s33, v49
	s_and_saveexec_b64 s[0:1], vcc
	s_cbranch_execz .LBB101_1009
; %bb.1008:
	global_store_short v[2:3], v48, off offset:512
.LBB101_1009:
	s_or_b64 exec, exec, s[0:1]
	v_or_b32_e32 v48, 0x140, v0
	v_cmp_gt_u32_e32 vcc, s33, v48
	s_and_saveexec_b64 s[0:1], vcc
	s_cbranch_execz .LBB101_1011
; %bb.1010:
	global_store_short v[2:3], v47, off offset:640
.LBB101_1011:
	s_or_b64 exec, exec, s[0:1]
	;; [unrolled: 8-line block ×6, first 2 shown]
	v_or_b32_e32 v43, 0x280, v0
	v_cmp_gt_u32_e32 vcc, s33, v43
	s_and_saveexec_b64 s[0:1], vcc
	s_cbranch_execz .LBB101_1021
; %bb.1020:
	s_waitcnt lgkmcnt(13)
	global_store_short v[2:3], v42, off offset:1280
.LBB101_1021:
	s_or_b64 exec, exec, s[0:1]
	s_waitcnt lgkmcnt(13)
	v_or_b32_e32 v42, 0x2c0, v0
	v_cmp_gt_u32_e32 vcc, s33, v42
	s_and_saveexec_b64 s[0:1], vcc
	s_cbranch_execz .LBB101_1023
; %bb.1022:
	s_waitcnt lgkmcnt(12)
	global_store_short v[2:3], v41, off offset:1408
.LBB101_1023:
	s_or_b64 exec, exec, s[0:1]
	s_waitcnt lgkmcnt(12)
	v_or_b32_e32 v41, 0x300, v0
	v_cmp_gt_u32_e32 vcc, s33, v41
	s_and_saveexec_b64 s[0:1], vcc
	s_cbranch_execz .LBB101_1025
; %bb.1024:
	s_waitcnt lgkmcnt(11)
	global_store_short v[2:3], v40, off offset:1536
.LBB101_1025:
	s_or_b64 exec, exec, s[0:1]
	s_waitcnt lgkmcnt(11)
	v_or_b32_e32 v40, 0x340, v0
	v_cmp_gt_u32_e32 vcc, s33, v40
	s_and_saveexec_b64 s[0:1], vcc
	s_cbranch_execz .LBB101_1027
; %bb.1026:
	s_waitcnt lgkmcnt(10)
	global_store_short v[2:3], v39, off offset:1664
.LBB101_1027:
	s_or_b64 exec, exec, s[0:1]
	s_waitcnt lgkmcnt(10)
	v_or_b32_e32 v39, 0x380, v0
	v_cmp_gt_u32_e32 vcc, s33, v39
	s_and_saveexec_b64 s[0:1], vcc
	s_cbranch_execz .LBB101_1029
; %bb.1028:
	s_waitcnt lgkmcnt(9)
	global_store_short v[2:3], v38, off offset:1792
.LBB101_1029:
	s_or_b64 exec, exec, s[0:1]
	s_waitcnt lgkmcnt(9)
	v_or_b32_e32 v38, 0x3c0, v0
	v_cmp_gt_u32_e32 vcc, s33, v38
	s_and_saveexec_b64 s[0:1], vcc
	s_cbranch_execz .LBB101_1031
; %bb.1030:
	s_waitcnt lgkmcnt(8)
	global_store_short v[2:3], v37, off offset:1920
.LBB101_1031:
	s_or_b64 exec, exec, s[0:1]
	s_waitcnt lgkmcnt(8)
	v_or_b32_e32 v37, 0x400, v0
	v_cmp_gt_u32_e32 vcc, s33, v37
	s_and_saveexec_b64 s[0:1], vcc
	s_cbranch_execz .LBB101_1033
; %bb.1032:
	s_waitcnt lgkmcnt(7)
	global_store_short v[2:3], v36, off offset:2048
.LBB101_1033:
	s_or_b64 exec, exec, s[0:1]
	s_waitcnt lgkmcnt(7)
	v_or_b32_e32 v36, 0x440, v0
	v_cmp_gt_u32_e32 vcc, s33, v36
	s_and_saveexec_b64 s[0:1], vcc
	s_cbranch_execz .LBB101_1035
; %bb.1034:
	s_waitcnt lgkmcnt(6)
	global_store_short v[2:3], v35, off offset:2176
.LBB101_1035:
	s_or_b64 exec, exec, s[0:1]
	s_waitcnt lgkmcnt(6)
	v_or_b32_e32 v35, 0x480, v0
	v_cmp_gt_u32_e32 vcc, s33, v35
	s_and_saveexec_b64 s[0:1], vcc
	s_cbranch_execz .LBB101_1037
; %bb.1036:
	s_waitcnt lgkmcnt(5)
	global_store_short v[2:3], v34, off offset:2304
.LBB101_1037:
	s_or_b64 exec, exec, s[0:1]
	s_waitcnt lgkmcnt(5)
	v_or_b32_e32 v34, 0x4c0, v0
	v_cmp_gt_u32_e32 vcc, s33, v34
	s_and_saveexec_b64 s[0:1], vcc
	s_cbranch_execz .LBB101_1039
; %bb.1038:
	s_waitcnt lgkmcnt(4)
	global_store_short v[2:3], v33, off offset:2432
.LBB101_1039:
	s_or_b64 exec, exec, s[0:1]
	s_waitcnt lgkmcnt(4)
	v_or_b32_e32 v33, 0x500, v0
	v_cmp_gt_u32_e32 vcc, s33, v33
	s_and_saveexec_b64 s[0:1], vcc
	s_cbranch_execz .LBB101_1041
; %bb.1040:
	s_waitcnt lgkmcnt(3)
	global_store_short v[2:3], v32, off offset:2560
.LBB101_1041:
	s_or_b64 exec, exec, s[0:1]
	s_waitcnt lgkmcnt(3)
	v_or_b32_e32 v32, 0x540, v0
	v_cmp_gt_u32_e32 vcc, s33, v32
	s_and_saveexec_b64 s[0:1], vcc
	s_cbranch_execz .LBB101_1043
; %bb.1042:
	s_waitcnt lgkmcnt(2)
	global_store_short v[2:3], v31, off offset:2688
.LBB101_1043:
	s_or_b64 exec, exec, s[0:1]
	s_waitcnt lgkmcnt(2)
	v_or_b32_e32 v31, 0x580, v0
	v_cmp_gt_u32_e32 vcc, s33, v31
	s_and_saveexec_b64 s[0:1], vcc
	s_cbranch_execz .LBB101_1045
; %bb.1044:
	s_waitcnt lgkmcnt(1)
	global_store_short v[2:3], v30, off offset:2816
.LBB101_1045:
	s_or_b64 exec, exec, s[0:1]
	v_or_b32_e32 v2, 0x5c0, v0
	v_cmp_gt_u32_e64 s[0:1], s33, v2
	s_branch .LBB101_1048
.LBB101_1046:
	s_mov_b64 s[0:1], 0
                                        ; implicit-def: $vgpr5
	s_cbranch_execz .LBB101_1048
; %bb.1047:
	s_mov_b32 s4, 0x5040100
	s_waitcnt lgkmcnt(1)
	v_lshlrev_b32_e32 v30, 1, v4
	s_waitcnt lgkmcnt(0)
	v_perm_b32 v5, v13, v12, s4
	v_perm_b32 v4, v11, v10, s4
	;; [unrolled: 1-line block ×4, first 2 shown]
	s_waitcnt lgkmcnt(0)
	; wave barrier
	ds_write_b128 v30, v[2:5]
	v_perm_b32 v5, v21, v20, s4
	v_perm_b32 v4, v19, v18, s4
	;; [unrolled: 1-line block ×4, first 2 shown]
	ds_write_b128 v30, v[2:5] offset:16
	v_perm_b32 v5, v29, v28, s4
	v_perm_b32 v4, v27, v26, s4
	v_perm_b32 v3, v25, v24, s4
	v_perm_b32 v2, v23, v22, s4
	s_movk_i32 s4, 0xffd2
	ds_write_b128 v30, v[2:5] offset:32
	v_mad_i32_i24 v2, v0, s4, v30
	s_waitcnt lgkmcnt(0)
	; wave barrier
	s_waitcnt lgkmcnt(0)
	ds_read_u16 v3, v2
	ds_read_u16 v4, v2 offset:128
	ds_read_u16 v6, v2 offset:256
	ds_read_u16 v7, v2 offset:384
	ds_read_u16 v8, v2 offset:512
	ds_read_u16 v9, v2 offset:640
	ds_read_u16 v10, v2 offset:768
	ds_read_u16 v11, v2 offset:896
	ds_read_u16 v12, v2 offset:1024
	ds_read_u16 v13, v2 offset:1152
	ds_read_u16 v14, v2 offset:1280
	ds_read_u16 v15, v2 offset:1408
	ds_read_u16 v16, v2 offset:1536
	ds_read_u16 v17, v2 offset:1664
	ds_read_u16 v18, v2 offset:1792
	ds_read_u16 v19, v2 offset:1920
	ds_read_u16 v20, v2 offset:2048
	ds_read_u16 v21, v2 offset:2176
	ds_read_u16 v22, v2 offset:2304
	ds_read_u16 v23, v2 offset:2432
	ds_read_u16 v24, v2 offset:2560
	ds_read_u16 v25, v2 offset:2688
	ds_read_u16 v26, v2 offset:2816
	ds_read_u16 v5, v2 offset:2944
	v_mov_b32_e32 v1, 0
	v_lshlrev_b32_e32 v2, 1, v0
	s_or_b64 s[0:1], s[0:1], exec
	s_waitcnt lgkmcnt(14)
	global_store_short v2, v3, s[2:3]
	global_store_short v2, v4, s[2:3] offset:128
	global_store_short v2, v6, s[2:3] offset:256
	;; [unrolled: 1-line block ×9, first 2 shown]
	s_waitcnt lgkmcnt(13)
	global_store_short v2, v14, s[2:3] offset:1280
	s_waitcnt lgkmcnt(12)
	global_store_short v2, v15, s[2:3] offset:1408
	;; [unrolled: 2-line block ×13, first 2 shown]
.LBB101_1048:
	s_and_saveexec_b64 s[4:5], s[0:1]
	s_cbranch_execz .LBB101_1050
; %bb.1049:
	v_lshlrev_b64 v[0:1], 1, v[0:1]
	v_mov_b32_e32 v2, s3
	v_add_co_u32_e32 v0, vcc, s2, v0
	v_addc_co_u32_e32 v1, vcc, v2, v1, vcc
	s_waitcnt lgkmcnt(0)
	global_store_short v[0:1], v5, off offset:2944
	s_endpgm
.LBB101_1050:
	s_endpgm
.LBB101_1051:
	v_lshlrev_b32_e32 v4, 16, v10
	s_waitcnt lgkmcnt(0)
	v_lshlrev_b32_e32 v2, 16, v2
	v_pk_add_f32 v[2:3], v[2:3], v[4:5] op_sel_hi:[0,1]
	v_readfirstlane_b32 s6, v2
	s_and_b32 s2, s6, 0x7f800000
	s_cmp_eq_u32 s2, 0x7f800000
	s_cbranch_scc1 .LBB101_1053
; %bb.1052:
	s_bfe_u32 s2, s6, 0x10010
	s_add_i32 s2, s6, s2
	s_add_i32 s7, s2, 0x7fff
	s_cbranch_execz .LBB101_1054
	s_branch .LBB101_1055
.LBB101_1053:
                                        ; implicit-def: $sgpr7
.LBB101_1054:
	s_and_b32 s2, s6, 0xffff
	s_or_b32 s3, s6, 0x10000
	s_cmp_eq_u32 s2, 0
	s_cselect_b32 s7, s6, s3
.LBB101_1055:
	s_lshr_b32 s2, s7, 16
	v_mov_b32_e32 v2, s2
	v_mov_b32_e32 v7, v35
	s_and_saveexec_b64 s[2:3], s[48:49]
	s_cbranch_execnz .LBB101_952
	s_branch .LBB101_953
	.section	.rodata,"a",@progbits
	.p2align	6, 0x0
	.amdhsa_kernel _ZN7rocprim6detail25device_scan_by_key_kernelILNS0_25lookback_scan_determinismE0ELb1ENS0_26wrapped_scan_by_key_configINS_14default_configEi12hip_bfloat16EEPiN6hipcub22TransformInputIteratorIS5_NS8_6CastOpIS5_EEPS5_lEESC_S5_NS8_8EqualityENS8_3SumENS0_19lookback_scan_stateINS_5tupleIJS5_bEEELb0ELb1EEES5_EEvT2_T3_T4_T5_T6_T7_T8_mmmPKNSH_IJT9_bEEE
		.amdhsa_group_segment_fixed_size 6656
		.amdhsa_private_segment_fixed_size 0
		.amdhsa_kernarg_size 80
		.amdhsa_user_sgpr_count 6
		.amdhsa_user_sgpr_private_segment_buffer 1
		.amdhsa_user_sgpr_dispatch_ptr 0
		.amdhsa_user_sgpr_queue_ptr 0
		.amdhsa_user_sgpr_kernarg_segment_ptr 1
		.amdhsa_user_sgpr_dispatch_id 0
		.amdhsa_user_sgpr_flat_scratch_init 0
		.amdhsa_user_sgpr_kernarg_preload_length 0
		.amdhsa_user_sgpr_kernarg_preload_offset 0
		.amdhsa_user_sgpr_private_segment_size 0
		.amdhsa_uses_dynamic_stack 0
		.amdhsa_system_sgpr_private_segment_wavefront_offset 0
		.amdhsa_system_sgpr_workgroup_id_x 1
		.amdhsa_system_sgpr_workgroup_id_y 0
		.amdhsa_system_sgpr_workgroup_id_z 0
		.amdhsa_system_sgpr_workgroup_info 0
		.amdhsa_system_vgpr_workitem_id 0
		.amdhsa_next_free_vgpr 76
		.amdhsa_next_free_sgpr 77
		.amdhsa_accum_offset 76
		.amdhsa_reserve_vcc 1
		.amdhsa_reserve_flat_scratch 0
		.amdhsa_float_round_mode_32 0
		.amdhsa_float_round_mode_16_64 0
		.amdhsa_float_denorm_mode_32 3
		.amdhsa_float_denorm_mode_16_64 3
		.amdhsa_dx10_clamp 1
		.amdhsa_ieee_mode 1
		.amdhsa_fp16_overflow 0
		.amdhsa_tg_split 0
		.amdhsa_exception_fp_ieee_invalid_op 0
		.amdhsa_exception_fp_denorm_src 0
		.amdhsa_exception_fp_ieee_div_zero 0
		.amdhsa_exception_fp_ieee_overflow 0
		.amdhsa_exception_fp_ieee_underflow 0
		.amdhsa_exception_fp_ieee_inexact 0
		.amdhsa_exception_int_div_zero 0
	.end_amdhsa_kernel
	.section	.text._ZN7rocprim6detail25device_scan_by_key_kernelILNS0_25lookback_scan_determinismE0ELb1ENS0_26wrapped_scan_by_key_configINS_14default_configEi12hip_bfloat16EEPiN6hipcub22TransformInputIteratorIS5_NS8_6CastOpIS5_EEPS5_lEESC_S5_NS8_8EqualityENS8_3SumENS0_19lookback_scan_stateINS_5tupleIJS5_bEEELb0ELb1EEES5_EEvT2_T3_T4_T5_T6_T7_T8_mmmPKNSH_IJT9_bEEE,"axG",@progbits,_ZN7rocprim6detail25device_scan_by_key_kernelILNS0_25lookback_scan_determinismE0ELb1ENS0_26wrapped_scan_by_key_configINS_14default_configEi12hip_bfloat16EEPiN6hipcub22TransformInputIteratorIS5_NS8_6CastOpIS5_EEPS5_lEESC_S5_NS8_8EqualityENS8_3SumENS0_19lookback_scan_stateINS_5tupleIJS5_bEEELb0ELb1EEES5_EEvT2_T3_T4_T5_T6_T7_T8_mmmPKNSH_IJT9_bEEE,comdat
.Lfunc_end101:
	.size	_ZN7rocprim6detail25device_scan_by_key_kernelILNS0_25lookback_scan_determinismE0ELb1ENS0_26wrapped_scan_by_key_configINS_14default_configEi12hip_bfloat16EEPiN6hipcub22TransformInputIteratorIS5_NS8_6CastOpIS5_EEPS5_lEESC_S5_NS8_8EqualityENS8_3SumENS0_19lookback_scan_stateINS_5tupleIJS5_bEEELb0ELb1EEES5_EEvT2_T3_T4_T5_T6_T7_T8_mmmPKNSH_IJT9_bEEE, .Lfunc_end101-_ZN7rocprim6detail25device_scan_by_key_kernelILNS0_25lookback_scan_determinismE0ELb1ENS0_26wrapped_scan_by_key_configINS_14default_configEi12hip_bfloat16EEPiN6hipcub22TransformInputIteratorIS5_NS8_6CastOpIS5_EEPS5_lEESC_S5_NS8_8EqualityENS8_3SumENS0_19lookback_scan_stateINS_5tupleIJS5_bEEELb0ELb1EEES5_EEvT2_T3_T4_T5_T6_T7_T8_mmmPKNSH_IJT9_bEEE
                                        ; -- End function
	.section	.AMDGPU.csdata,"",@progbits
; Kernel info:
; codeLenInByte = 29000
; NumSgprs: 81
; NumVgprs: 76
; NumAgprs: 0
; TotalNumVgprs: 76
; ScratchSize: 0
; MemoryBound: 0
; FloatMode: 240
; IeeeMode: 1
; LDSByteSize: 6656 bytes/workgroup (compile time only)
; SGPRBlocks: 10
; VGPRBlocks: 9
; NumSGPRsForWavesPerEU: 81
; NumVGPRsForWavesPerEU: 76
; AccumOffset: 76
; Occupancy: 3
; WaveLimiterHint : 1
; COMPUTE_PGM_RSRC2:SCRATCH_EN: 0
; COMPUTE_PGM_RSRC2:USER_SGPR: 6
; COMPUTE_PGM_RSRC2:TRAP_HANDLER: 0
; COMPUTE_PGM_RSRC2:TGID_X_EN: 1
; COMPUTE_PGM_RSRC2:TGID_Y_EN: 0
; COMPUTE_PGM_RSRC2:TGID_Z_EN: 0
; COMPUTE_PGM_RSRC2:TIDIG_COMP_CNT: 0
; COMPUTE_PGM_RSRC3_GFX90A:ACCUM_OFFSET: 18
; COMPUTE_PGM_RSRC3_GFX90A:TG_SPLIT: 0
	.section	.text._ZN7rocprim6detail25device_scan_by_key_kernelILNS0_25lookback_scan_determinismE0ELb1ENS0_26wrapped_scan_by_key_configINS_14default_configEi12hip_bfloat16EEPiN6hipcub22TransformInputIteratorIS5_NS8_6CastOpIS5_EEPS5_lEESC_S5_NS8_8EqualityENS8_3MaxENS0_19lookback_scan_stateINS_5tupleIJS5_bEEELb1ELb1EEES5_EEvT2_T3_T4_T5_T6_T7_T8_mmmPKNSH_IJT9_bEEE,"axG",@progbits,_ZN7rocprim6detail25device_scan_by_key_kernelILNS0_25lookback_scan_determinismE0ELb1ENS0_26wrapped_scan_by_key_configINS_14default_configEi12hip_bfloat16EEPiN6hipcub22TransformInputIteratorIS5_NS8_6CastOpIS5_EEPS5_lEESC_S5_NS8_8EqualityENS8_3MaxENS0_19lookback_scan_stateINS_5tupleIJS5_bEEELb1ELb1EEES5_EEvT2_T3_T4_T5_T6_T7_T8_mmmPKNSH_IJT9_bEEE,comdat
	.protected	_ZN7rocprim6detail25device_scan_by_key_kernelILNS0_25lookback_scan_determinismE0ELb1ENS0_26wrapped_scan_by_key_configINS_14default_configEi12hip_bfloat16EEPiN6hipcub22TransformInputIteratorIS5_NS8_6CastOpIS5_EEPS5_lEESC_S5_NS8_8EqualityENS8_3MaxENS0_19lookback_scan_stateINS_5tupleIJS5_bEEELb1ELb1EEES5_EEvT2_T3_T4_T5_T6_T7_T8_mmmPKNSH_IJT9_bEEE ; -- Begin function _ZN7rocprim6detail25device_scan_by_key_kernelILNS0_25lookback_scan_determinismE0ELb1ENS0_26wrapped_scan_by_key_configINS_14default_configEi12hip_bfloat16EEPiN6hipcub22TransformInputIteratorIS5_NS8_6CastOpIS5_EEPS5_lEESC_S5_NS8_8EqualityENS8_3MaxENS0_19lookback_scan_stateINS_5tupleIJS5_bEEELb1ELb1EEES5_EEvT2_T3_T4_T5_T6_T7_T8_mmmPKNSH_IJT9_bEEE
	.globl	_ZN7rocprim6detail25device_scan_by_key_kernelILNS0_25lookback_scan_determinismE0ELb1ENS0_26wrapped_scan_by_key_configINS_14default_configEi12hip_bfloat16EEPiN6hipcub22TransformInputIteratorIS5_NS8_6CastOpIS5_EEPS5_lEESC_S5_NS8_8EqualityENS8_3MaxENS0_19lookback_scan_stateINS_5tupleIJS5_bEEELb1ELb1EEES5_EEvT2_T3_T4_T5_T6_T7_T8_mmmPKNSH_IJT9_bEEE
	.p2align	8
	.type	_ZN7rocprim6detail25device_scan_by_key_kernelILNS0_25lookback_scan_determinismE0ELb1ENS0_26wrapped_scan_by_key_configINS_14default_configEi12hip_bfloat16EEPiN6hipcub22TransformInputIteratorIS5_NS8_6CastOpIS5_EEPS5_lEESC_S5_NS8_8EqualityENS8_3MaxENS0_19lookback_scan_stateINS_5tupleIJS5_bEEELb1ELb1EEES5_EEvT2_T3_T4_T5_T6_T7_T8_mmmPKNSH_IJT9_bEEE,@function
_ZN7rocprim6detail25device_scan_by_key_kernelILNS0_25lookback_scan_determinismE0ELb1ENS0_26wrapped_scan_by_key_configINS_14default_configEi12hip_bfloat16EEPiN6hipcub22TransformInputIteratorIS5_NS8_6CastOpIS5_EEPS5_lEESC_S5_NS8_8EqualityENS8_3MaxENS0_19lookback_scan_stateINS_5tupleIJS5_bEEELb1ELb1EEES5_EEvT2_T3_T4_T5_T6_T7_T8_mmmPKNSH_IJT9_bEEE: ; @_ZN7rocprim6detail25device_scan_by_key_kernelILNS0_25lookback_scan_determinismE0ELb1ENS0_26wrapped_scan_by_key_configINS_14default_configEi12hip_bfloat16EEPiN6hipcub22TransformInputIteratorIS5_NS8_6CastOpIS5_EEPS5_lEESC_S5_NS8_8EqualityENS8_3MaxENS0_19lookback_scan_stateINS_5tupleIJS5_bEEELb1ELb1EEES5_EEvT2_T3_T4_T5_T6_T7_T8_mmmPKNSH_IJT9_bEEE
; %bb.0:
	s_endpgm
	.section	.rodata,"a",@progbits
	.p2align	6, 0x0
	.amdhsa_kernel _ZN7rocprim6detail25device_scan_by_key_kernelILNS0_25lookback_scan_determinismE0ELb1ENS0_26wrapped_scan_by_key_configINS_14default_configEi12hip_bfloat16EEPiN6hipcub22TransformInputIteratorIS5_NS8_6CastOpIS5_EEPS5_lEESC_S5_NS8_8EqualityENS8_3MaxENS0_19lookback_scan_stateINS_5tupleIJS5_bEEELb1ELb1EEES5_EEvT2_T3_T4_T5_T6_T7_T8_mmmPKNSH_IJT9_bEEE
		.amdhsa_group_segment_fixed_size 0
		.amdhsa_private_segment_fixed_size 0
		.amdhsa_kernarg_size 80
		.amdhsa_user_sgpr_count 6
		.amdhsa_user_sgpr_private_segment_buffer 1
		.amdhsa_user_sgpr_dispatch_ptr 0
		.amdhsa_user_sgpr_queue_ptr 0
		.amdhsa_user_sgpr_kernarg_segment_ptr 1
		.amdhsa_user_sgpr_dispatch_id 0
		.amdhsa_user_sgpr_flat_scratch_init 0
		.amdhsa_user_sgpr_kernarg_preload_length 0
		.amdhsa_user_sgpr_kernarg_preload_offset 0
		.amdhsa_user_sgpr_private_segment_size 0
		.amdhsa_uses_dynamic_stack 0
		.amdhsa_system_sgpr_private_segment_wavefront_offset 0
		.amdhsa_system_sgpr_workgroup_id_x 1
		.amdhsa_system_sgpr_workgroup_id_y 0
		.amdhsa_system_sgpr_workgroup_id_z 0
		.amdhsa_system_sgpr_workgroup_info 0
		.amdhsa_system_vgpr_workitem_id 0
		.amdhsa_next_free_vgpr 1
		.amdhsa_next_free_sgpr 0
		.amdhsa_accum_offset 4
		.amdhsa_reserve_vcc 0
		.amdhsa_reserve_flat_scratch 0
		.amdhsa_float_round_mode_32 0
		.amdhsa_float_round_mode_16_64 0
		.amdhsa_float_denorm_mode_32 3
		.amdhsa_float_denorm_mode_16_64 3
		.amdhsa_dx10_clamp 1
		.amdhsa_ieee_mode 1
		.amdhsa_fp16_overflow 0
		.amdhsa_tg_split 0
		.amdhsa_exception_fp_ieee_invalid_op 0
		.amdhsa_exception_fp_denorm_src 0
		.amdhsa_exception_fp_ieee_div_zero 0
		.amdhsa_exception_fp_ieee_overflow 0
		.amdhsa_exception_fp_ieee_underflow 0
		.amdhsa_exception_fp_ieee_inexact 0
		.amdhsa_exception_int_div_zero 0
	.end_amdhsa_kernel
	.section	.text._ZN7rocprim6detail25device_scan_by_key_kernelILNS0_25lookback_scan_determinismE0ELb1ENS0_26wrapped_scan_by_key_configINS_14default_configEi12hip_bfloat16EEPiN6hipcub22TransformInputIteratorIS5_NS8_6CastOpIS5_EEPS5_lEESC_S5_NS8_8EqualityENS8_3MaxENS0_19lookback_scan_stateINS_5tupleIJS5_bEEELb1ELb1EEES5_EEvT2_T3_T4_T5_T6_T7_T8_mmmPKNSH_IJT9_bEEE,"axG",@progbits,_ZN7rocprim6detail25device_scan_by_key_kernelILNS0_25lookback_scan_determinismE0ELb1ENS0_26wrapped_scan_by_key_configINS_14default_configEi12hip_bfloat16EEPiN6hipcub22TransformInputIteratorIS5_NS8_6CastOpIS5_EEPS5_lEESC_S5_NS8_8EqualityENS8_3MaxENS0_19lookback_scan_stateINS_5tupleIJS5_bEEELb1ELb1EEES5_EEvT2_T3_T4_T5_T6_T7_T8_mmmPKNSH_IJT9_bEEE,comdat
.Lfunc_end102:
	.size	_ZN7rocprim6detail25device_scan_by_key_kernelILNS0_25lookback_scan_determinismE0ELb1ENS0_26wrapped_scan_by_key_configINS_14default_configEi12hip_bfloat16EEPiN6hipcub22TransformInputIteratorIS5_NS8_6CastOpIS5_EEPS5_lEESC_S5_NS8_8EqualityENS8_3MaxENS0_19lookback_scan_stateINS_5tupleIJS5_bEEELb1ELb1EEES5_EEvT2_T3_T4_T5_T6_T7_T8_mmmPKNSH_IJT9_bEEE, .Lfunc_end102-_ZN7rocprim6detail25device_scan_by_key_kernelILNS0_25lookback_scan_determinismE0ELb1ENS0_26wrapped_scan_by_key_configINS_14default_configEi12hip_bfloat16EEPiN6hipcub22TransformInputIteratorIS5_NS8_6CastOpIS5_EEPS5_lEESC_S5_NS8_8EqualityENS8_3MaxENS0_19lookback_scan_stateINS_5tupleIJS5_bEEELb1ELb1EEES5_EEvT2_T3_T4_T5_T6_T7_T8_mmmPKNSH_IJT9_bEEE
                                        ; -- End function
	.section	.AMDGPU.csdata,"",@progbits
; Kernel info:
; codeLenInByte = 4
; NumSgprs: 4
; NumVgprs: 0
; NumAgprs: 0
; TotalNumVgprs: 0
; ScratchSize: 0
; MemoryBound: 0
; FloatMode: 240
; IeeeMode: 1
; LDSByteSize: 0 bytes/workgroup (compile time only)
; SGPRBlocks: 0
; VGPRBlocks: 0
; NumSGPRsForWavesPerEU: 4
; NumVGPRsForWavesPerEU: 1
; AccumOffset: 4
; Occupancy: 8
; WaveLimiterHint : 0
; COMPUTE_PGM_RSRC2:SCRATCH_EN: 0
; COMPUTE_PGM_RSRC2:USER_SGPR: 6
; COMPUTE_PGM_RSRC2:TRAP_HANDLER: 0
; COMPUTE_PGM_RSRC2:TGID_X_EN: 1
; COMPUTE_PGM_RSRC2:TGID_Y_EN: 0
; COMPUTE_PGM_RSRC2:TGID_Z_EN: 0
; COMPUTE_PGM_RSRC2:TIDIG_COMP_CNT: 0
; COMPUTE_PGM_RSRC3_GFX90A:ACCUM_OFFSET: 0
; COMPUTE_PGM_RSRC3_GFX90A:TG_SPLIT: 0
	.section	.text._ZN7rocprim6detail25device_scan_by_key_kernelILNS0_25lookback_scan_determinismE0ELb1ENS0_26wrapped_scan_by_key_configINS_14default_configEi12hip_bfloat16EEPiN6hipcub22TransformInputIteratorIS5_NS8_6CastOpIS5_EEPS5_lEESC_S5_NS8_8EqualityENS8_3MaxENS0_19lookback_scan_stateINS_5tupleIJS5_bEEELb0ELb1EEES5_EEvT2_T3_T4_T5_T6_T7_T8_mmmPKNSH_IJT9_bEEE,"axG",@progbits,_ZN7rocprim6detail25device_scan_by_key_kernelILNS0_25lookback_scan_determinismE0ELb1ENS0_26wrapped_scan_by_key_configINS_14default_configEi12hip_bfloat16EEPiN6hipcub22TransformInputIteratorIS5_NS8_6CastOpIS5_EEPS5_lEESC_S5_NS8_8EqualityENS8_3MaxENS0_19lookback_scan_stateINS_5tupleIJS5_bEEELb0ELb1EEES5_EEvT2_T3_T4_T5_T6_T7_T8_mmmPKNSH_IJT9_bEEE,comdat
	.protected	_ZN7rocprim6detail25device_scan_by_key_kernelILNS0_25lookback_scan_determinismE0ELb1ENS0_26wrapped_scan_by_key_configINS_14default_configEi12hip_bfloat16EEPiN6hipcub22TransformInputIteratorIS5_NS8_6CastOpIS5_EEPS5_lEESC_S5_NS8_8EqualityENS8_3MaxENS0_19lookback_scan_stateINS_5tupleIJS5_bEEELb0ELb1EEES5_EEvT2_T3_T4_T5_T6_T7_T8_mmmPKNSH_IJT9_bEEE ; -- Begin function _ZN7rocprim6detail25device_scan_by_key_kernelILNS0_25lookback_scan_determinismE0ELb1ENS0_26wrapped_scan_by_key_configINS_14default_configEi12hip_bfloat16EEPiN6hipcub22TransformInputIteratorIS5_NS8_6CastOpIS5_EEPS5_lEESC_S5_NS8_8EqualityENS8_3MaxENS0_19lookback_scan_stateINS_5tupleIJS5_bEEELb0ELb1EEES5_EEvT2_T3_T4_T5_T6_T7_T8_mmmPKNSH_IJT9_bEEE
	.globl	_ZN7rocprim6detail25device_scan_by_key_kernelILNS0_25lookback_scan_determinismE0ELb1ENS0_26wrapped_scan_by_key_configINS_14default_configEi12hip_bfloat16EEPiN6hipcub22TransformInputIteratorIS5_NS8_6CastOpIS5_EEPS5_lEESC_S5_NS8_8EqualityENS8_3MaxENS0_19lookback_scan_stateINS_5tupleIJS5_bEEELb0ELb1EEES5_EEvT2_T3_T4_T5_T6_T7_T8_mmmPKNSH_IJT9_bEEE
	.p2align	8
	.type	_ZN7rocprim6detail25device_scan_by_key_kernelILNS0_25lookback_scan_determinismE0ELb1ENS0_26wrapped_scan_by_key_configINS_14default_configEi12hip_bfloat16EEPiN6hipcub22TransformInputIteratorIS5_NS8_6CastOpIS5_EEPS5_lEESC_S5_NS8_8EqualityENS8_3MaxENS0_19lookback_scan_stateINS_5tupleIJS5_bEEELb0ELb1EEES5_EEvT2_T3_T4_T5_T6_T7_T8_mmmPKNSH_IJT9_bEEE,@function
_ZN7rocprim6detail25device_scan_by_key_kernelILNS0_25lookback_scan_determinismE0ELb1ENS0_26wrapped_scan_by_key_configINS_14default_configEi12hip_bfloat16EEPiN6hipcub22TransformInputIteratorIS5_NS8_6CastOpIS5_EEPS5_lEESC_S5_NS8_8EqualityENS8_3MaxENS0_19lookback_scan_stateINS_5tupleIJS5_bEEELb0ELb1EEES5_EEvT2_T3_T4_T5_T6_T7_T8_mmmPKNSH_IJT9_bEEE: ; @_ZN7rocprim6detail25device_scan_by_key_kernelILNS0_25lookback_scan_determinismE0ELb1ENS0_26wrapped_scan_by_key_configINS_14default_configEi12hip_bfloat16EEPiN6hipcub22TransformInputIteratorIS5_NS8_6CastOpIS5_EEPS5_lEESC_S5_NS8_8EqualityENS8_3MaxENS0_19lookback_scan_stateINS_5tupleIJS5_bEEELb0ELb1EEES5_EEvT2_T3_T4_T5_T6_T7_T8_mmmPKNSH_IJT9_bEEE
; %bb.0:
	s_load_dwordx4 s[0:3], s[4:5], 0x0
	s_load_dword s76, s[4:5], 0x20
	s_load_dwordx8 s[56:63], s[4:5], 0x28
	s_load_dwordx2 s[66:67], s[4:5], 0x48
	s_mul_i32 s8, s6, 0x600
	s_mov_b32 s9, 0
	s_lshl_b64 s[10:11], s[8:9], 2
	s_waitcnt lgkmcnt(0)
	s_add_u32 s70, s0, s10
	s_addc_u32 s71, s1, s11
	s_lshl_b64 s[64:65], s[8:9], 1
	s_add_u32 s68, s2, s64
	s_addc_u32 s69, s3, s65
	s_add_u32 s0, s6, s60
	s_addc_u32 s1, 0, s61
	s_add_u32 s8, s62, -1
	s_addc_u32 s9, s63, -1
	v_pk_mov_b32 v[2:3], s[8:9], s[8:9] op_sel:[0,1]
	v_cmp_ge_u64_e64 s[0:1], s[0:1], v[2:3]
	s_mov_b64 s[2:3], -1
	s_and_b64 vcc, exec, s[0:1]
	s_mul_i32 s33, s8, 0xfffffa00
	v_lshlrev_b32_e32 v52, 2, v0
	s_cbranch_vccz .LBB103_126
; %bb.1:
	s_load_dword s59, s[70:71], 0x0
	s_add_i32 s7, s33, s58
	v_mov_b32_e32 v1, s71
	v_add_co_u32_e32 v2, vcc, s70, v52
	v_addc_co_u32_e32 v3, vcc, 0, v1, vcc
	v_cmp_gt_u32_e64 s[2:3], s7, v0
	s_waitcnt lgkmcnt(0)
	v_mov_b32_e32 v1, s59
	s_and_saveexec_b64 s[8:9], s[2:3]
	s_cbranch_execz .LBB103_3
; %bb.2:
	global_load_dword v1, v[2:3], off
.LBB103_3:
	s_or_b64 exec, exec, s[8:9]
	v_or_b32_e32 v4, 64, v0
	v_cmp_gt_u32_e64 s[54:55], s7, v4
	v_mov_b32_e32 v4, s59
	s_and_saveexec_b64 s[8:9], s[54:55]
	s_cbranch_execz .LBB103_5
; %bb.4:
	global_load_dword v4, v[2:3], off offset:256
.LBB103_5:
	s_or_b64 exec, exec, s[8:9]
	v_or_b32_e32 v5, 0x80, v0
	v_cmp_gt_u32_e64 s[8:9], s7, v5
	v_mov_b32_e32 v5, s59
	s_and_saveexec_b64 s[10:11], s[8:9]
	s_cbranch_execz .LBB103_7
; %bb.6:
	global_load_dword v5, v[2:3], off offset:512
.LBB103_7:
	;; [unrolled: 9-line block ×15, first 2 shown]
	s_or_b64 exec, exec, s[38:39]
	v_or_b32_e32 v19, 0x400, v0
	v_cmp_gt_u32_e64 s[38:39], s7, v19
	v_mov_b32_e32 v19, s59
	s_and_saveexec_b64 s[40:41], s[38:39]
	s_cbranch_execz .LBB103_35
; %bb.34:
	v_add_co_u32_e32 v20, vcc, 0x1000, v2
	v_addc_co_u32_e32 v21, vcc, 0, v3, vcc
	global_load_dword v19, v[20:21], off
.LBB103_35:
	s_or_b64 exec, exec, s[40:41]
	v_or_b32_e32 v20, 0x440, v0
	v_cmp_gt_u32_e64 s[40:41], s7, v20
	v_mov_b32_e32 v20, s59
	s_and_saveexec_b64 s[42:43], s[40:41]
	s_cbranch_execz .LBB103_37
; %bb.36:
	v_add_co_u32_e32 v20, vcc, 0x1000, v2
	v_addc_co_u32_e32 v21, vcc, 0, v3, vcc
	global_load_dword v20, v[20:21], off offset:256
.LBB103_37:
	s_or_b64 exec, exec, s[42:43]
	v_or_b32_e32 v21, 0x480, v0
	v_cmp_gt_u32_e64 s[42:43], s7, v21
	v_mov_b32_e32 v21, s59
	s_and_saveexec_b64 s[44:45], s[42:43]
	s_cbranch_execz .LBB103_39
; %bb.38:
	v_add_co_u32_e32 v22, vcc, 0x1000, v2
	v_addc_co_u32_e32 v23, vcc, 0, v3, vcc
	global_load_dword v21, v[22:23], off offset:512
.LBB103_39:
	;; [unrolled: 11-line block ×7, first 2 shown]
	s_or_b64 exec, exec, s[60:61]
	s_movk_i32 s59, 0x5c
	s_waitcnt vmcnt(0)
	ds_write2st64_b32 v52, v1, v4 offset1:1
	ds_write2st64_b32 v52, v5, v6 offset0:2 offset1:3
	ds_write2st64_b32 v52, v7, v8 offset0:4 offset1:5
	;; [unrolled: 1-line block ×11, first 2 shown]
	v_mad_u32_u24 v1, v0, s59, v52
	s_waitcnt lgkmcnt(0)
	; wave barrier
	s_waitcnt lgkmcnt(0)
	ds_read_b128 v[42:45], v1
	ds_read_b128 v[38:41], v1 offset:16
	ds_read_b128 v[34:37], v1 offset:32
	;; [unrolled: 1-line block ×5, first 2 shown]
	s_load_dword s59, s[70:71], 0x0
	s_movk_i32 s60, 0xffa4
	v_mad_i32_i24 v1, v0, s60, v1
	v_cmp_ne_u32_e32 vcc, 63, v0
	s_waitcnt lgkmcnt(0)
	ds_write_b32 v1, v42 offset:6400
	v_mov_b32_e32 v53, s59
	s_waitcnt lgkmcnt(0)
	; wave barrier
	s_waitcnt lgkmcnt(0)
	s_and_saveexec_b64 s[60:61], vcc
	s_cbranch_execz .LBB103_51
; %bb.50:
	ds_read_b32 v53, v52 offset:6404
.LBB103_51:
	s_or_b64 exec, exec, s[60:61]
	v_lshlrev_b32_e32 v4, 1, v0
	v_mov_b32_e32 v3, s69
	v_add_co_u32_e32 v2, vcc, s68, v4
	v_addc_co_u32_e32 v3, vcc, 0, v3, vcc
	s_waitcnt lgkmcnt(0)
	; wave barrier
	s_waitcnt lgkmcnt(0)
                                        ; implicit-def: $vgpr5
	s_and_saveexec_b64 s[60:61], s[2:3]
	s_cbranch_execz .LBB103_195
; %bb.52:
	global_load_ushort v5, v[2:3], off
	s_or_b64 exec, exec, s[60:61]
                                        ; implicit-def: $vgpr6
	s_and_saveexec_b64 s[2:3], s[54:55]
	s_cbranch_execnz .LBB103_196
.LBB103_53:
	s_or_b64 exec, exec, s[2:3]
                                        ; implicit-def: $vgpr7
	s_and_saveexec_b64 s[2:3], s[8:9]
	s_cbranch_execz .LBB103_197
.LBB103_54:
	global_load_ushort v7, v[2:3], off offset:256
	s_or_b64 exec, exec, s[2:3]
                                        ; implicit-def: $vgpr8
	s_and_saveexec_b64 s[2:3], s[10:11]
	s_cbranch_execnz .LBB103_198
.LBB103_55:
	s_or_b64 exec, exec, s[2:3]
                                        ; implicit-def: $vgpr9
	s_and_saveexec_b64 s[2:3], s[12:13]
	s_cbranch_execz .LBB103_199
.LBB103_56:
	global_load_ushort v9, v[2:3], off offset:512
	s_or_b64 exec, exec, s[2:3]
                                        ; implicit-def: $vgpr10
	s_and_saveexec_b64 s[2:3], s[14:15]
	s_cbranch_execnz .LBB103_200
.LBB103_57:
	s_or_b64 exec, exec, s[2:3]
                                        ; implicit-def: $vgpr11
	s_and_saveexec_b64 s[2:3], s[16:17]
	s_cbranch_execz .LBB103_201
.LBB103_58:
	global_load_ushort v11, v[2:3], off offset:768
	s_or_b64 exec, exec, s[2:3]
                                        ; implicit-def: $vgpr12
	s_and_saveexec_b64 s[2:3], s[18:19]
	s_cbranch_execnz .LBB103_202
.LBB103_59:
	s_or_b64 exec, exec, s[2:3]
                                        ; implicit-def: $vgpr13
	s_and_saveexec_b64 s[2:3], s[20:21]
	s_cbranch_execz .LBB103_203
.LBB103_60:
	global_load_ushort v13, v[2:3], off offset:1024
	s_or_b64 exec, exec, s[2:3]
                                        ; implicit-def: $vgpr14
	s_and_saveexec_b64 s[2:3], s[22:23]
	s_cbranch_execnz .LBB103_204
.LBB103_61:
	s_or_b64 exec, exec, s[2:3]
                                        ; implicit-def: $vgpr15
	s_and_saveexec_b64 s[2:3], s[24:25]
	s_cbranch_execz .LBB103_205
.LBB103_62:
	global_load_ushort v15, v[2:3], off offset:1280
	s_or_b64 exec, exec, s[2:3]
                                        ; implicit-def: $vgpr16
	s_and_saveexec_b64 s[2:3], s[26:27]
	s_cbranch_execnz .LBB103_206
.LBB103_63:
	s_or_b64 exec, exec, s[2:3]
                                        ; implicit-def: $vgpr17
	s_and_saveexec_b64 s[2:3], s[28:29]
	s_cbranch_execz .LBB103_207
.LBB103_64:
	global_load_ushort v17, v[2:3], off offset:1536
	s_or_b64 exec, exec, s[2:3]
                                        ; implicit-def: $vgpr18
	s_and_saveexec_b64 s[2:3], s[30:31]
	s_cbranch_execnz .LBB103_208
.LBB103_65:
	s_or_b64 exec, exec, s[2:3]
                                        ; implicit-def: $vgpr19
	s_and_saveexec_b64 s[2:3], s[34:35]
	s_cbranch_execz .LBB103_209
.LBB103_66:
	global_load_ushort v19, v[2:3], off offset:1792
	s_or_b64 exec, exec, s[2:3]
                                        ; implicit-def: $vgpr20
	s_and_saveexec_b64 s[2:3], s[36:37]
	s_cbranch_execnz .LBB103_210
.LBB103_67:
	s_or_b64 exec, exec, s[2:3]
                                        ; implicit-def: $vgpr21
	s_and_saveexec_b64 s[2:3], s[38:39]
	s_cbranch_execz .LBB103_211
.LBB103_68:
	global_load_ushort v21, v[2:3], off offset:2048
	s_or_b64 exec, exec, s[2:3]
                                        ; implicit-def: $vgpr47
	s_and_saveexec_b64 s[2:3], s[40:41]
	s_cbranch_execnz .LBB103_212
.LBB103_69:
	s_or_b64 exec, exec, s[2:3]
                                        ; implicit-def: $vgpr48
	s_and_saveexec_b64 s[2:3], s[42:43]
	s_cbranch_execz .LBB103_213
.LBB103_70:
	global_load_ushort v48, v[2:3], off offset:2304
	s_or_b64 exec, exec, s[2:3]
                                        ; implicit-def: $vgpr49
	s_and_saveexec_b64 s[2:3], s[44:45]
	s_cbranch_execnz .LBB103_214
.LBB103_71:
	s_or_b64 exec, exec, s[2:3]
                                        ; implicit-def: $vgpr50
	s_and_saveexec_b64 s[2:3], s[46:47]
	s_cbranch_execz .LBB103_215
.LBB103_72:
	global_load_ushort v50, v[2:3], off offset:2560
	s_or_b64 exec, exec, s[2:3]
                                        ; implicit-def: $vgpr51
	s_and_saveexec_b64 s[2:3], s[48:49]
	s_cbranch_execnz .LBB103_216
.LBB103_73:
	s_or_b64 exec, exec, s[2:3]
                                        ; implicit-def: $vgpr54
	s_and_saveexec_b64 s[2:3], s[50:51]
	s_cbranch_execz .LBB103_75
.LBB103_74:
	global_load_ushort v54, v[2:3], off offset:2816
.LBB103_75:
	s_or_b64 exec, exec, s[2:3]
	v_mul_u32_u24_e32 v55, 24, v0
                                        ; implicit-def: $vgpr56
	s_and_saveexec_b64 s[2:3], s[52:53]
	s_cbranch_execz .LBB103_77
; %bb.76:
	global_load_ushort v56, v[2:3], off offset:2944
.LBB103_77:
	s_or_b64 exec, exec, s[2:3]
	s_mov_b32 s8, 0
	v_sub_u32_e32 v46, v1, v4
	s_mov_b32 s9, s8
	s_waitcnt vmcnt(0)
	ds_write_b16 v46, v5
	ds_write_b16 v46, v6 offset:128
	ds_write_b16 v46, v7 offset:256
	;; [unrolled: 1-line block ×23, first 2 shown]
	s_mov_b32 s10, s8
	s_mov_b32 s11, s8
	;; [unrolled: 1-line block ×6, first 2 shown]
	v_pk_mov_b32 v[2:3], s[8:9], s[8:9] op_sel:[0,1]
	s_mov_b32 s18, s8
	s_mov_b32 s19, s8
	v_pk_mov_b32 v[8:9], s[14:15], s[14:15] op_sel:[0,1]
	s_mov_b32 s16, s8
	s_mov_b32 s17, s8
	;; [unrolled: 1-line block ×4, first 2 shown]
	v_pk_mov_b32 v[20:21], s[18:19], s[18:19] op_sel:[0,1]
	v_pk_mov_b32 v[4:5], s[10:11], s[10:11] op_sel:[0,1]
	;; [unrolled: 1-line block ×4, first 2 shown]
	v_cmp_gt_u32_e32 vcc, s7, v55
	s_mov_b64 s[2:3], 0
	v_pk_mov_b32 v[50:51], s[20:21], s[20:21] op_sel:[0,1]
	v_pk_mov_b32 v[18:19], s[16:17], s[16:17] op_sel:[0,1]
	v_mov_b32_e32 v1, 0
	s_mov_b64 s[14:15], 0
	v_pk_mov_b32 v[14:15], v[6:7], v[6:7] op_sel:[0,1]
	v_pk_mov_b32 v[12:13], v[4:5], v[4:5] op_sel:[0,1]
	;; [unrolled: 1-line block ×3, first 2 shown]
	s_waitcnt lgkmcnt(0)
	; wave barrier
	s_waitcnt lgkmcnt(0)
                                        ; implicit-def: $sgpr12_sgpr13
                                        ; implicit-def: $vgpr54
	s_and_saveexec_b64 s[10:11], vcc
	s_cbranch_execz .LBB103_125
; %bb.78:
	v_mad_u32_u24 v1, v0, 46, v46
	ds_read_u16 v1, v1
	v_mov_b32_e32 v3, s76
	v_cmp_eq_u32_e32 vcc, v42, v43
	s_mov_b32 s12, 0
	v_or_b32_e32 v2, 1, v55
	s_waitcnt lgkmcnt(0)
	v_cndmask_b32_e32 v1, v3, v1, vcc
	v_cmp_ne_u32_e32 vcc, v42, v43
	v_and_b32_e32 v1, 0xffff, v1
	v_cndmask_b32_e64 v3, 0, 1, vcc
	s_mov_b32 s13, s12
	v_lshl_or_b32 v50, v3, 16, v1
	v_cmp_gt_u32_e32 vcc, s7, v2
	s_mov_b32 s14, s12
	s_mov_b32 s15, s12
	;; [unrolled: 1-line block ×6, first 2 shown]
	v_pk_mov_b32 v[2:3], s[12:13], s[12:13] op_sel:[0,1]
	s_mov_b32 s20, s12
	s_mov_b32 s21, s12
	v_pk_mov_b32 v[8:9], s[18:19], s[18:19] op_sel:[0,1]
	v_mov_b32_e32 v51, 0
	s_mov_b32 s22, s12
	s_mov_b32 s23, s12
	v_pk_mov_b32 v[18:19], s[20:21], s[20:21] op_sel:[0,1]
	v_pk_mov_b32 v[4:5], s[14:15], s[14:15] op_sel:[0,1]
	;; [unrolled: 1-line block ×4, first 2 shown]
	s_mov_b64 s[26:27], 0
	v_pk_mov_b32 v[20:21], s[22:23], s[22:23] op_sel:[0,1]
	v_pk_mov_b32 v[14:15], v[6:7], v[6:7] op_sel:[0,1]
	;; [unrolled: 1-line block ×4, first 2 shown]
	v_mov_b32_e32 v1, v51
                                        ; implicit-def: $sgpr28_sgpr29
                                        ; implicit-def: $vgpr54
	s_and_saveexec_b64 s[24:25], vcc
	s_cbranch_execz .LBB103_124
; %bb.79:
	v_mul_u32_u24_e32 v1, 46, v0
	v_add_u32_e32 v42, v46, v1
	ds_read_b128 v[46:49], v42 offset:2
	v_mov_b32_e32 v2, s76
	v_cmp_eq_u32_e32 vcc, v43, v44
	v_or_b32_e32 v1, 2, v55
	v_pk_mov_b32 v[18:19], s[20:21], s[20:21] op_sel:[0,1]
	s_waitcnt lgkmcnt(0)
	v_cndmask_b32_e32 v2, v2, v46, vcc
	v_cmp_ne_u32_e32 vcc, v43, v44
	v_and_b32_e32 v2, 0xffff, v2
	v_cndmask_b32_e64 v3, 0, 1, vcc
	v_lshl_or_b32 v51, v3, 16, v2
	v_pk_mov_b32 v[2:3], s[12:13], s[12:13] op_sel:[0,1]
	v_pk_mov_b32 v[8:9], s[18:19], s[18:19] op_sel:[0,1]
	;; [unrolled: 1-line block ×5, first 2 shown]
	v_cmp_gt_u32_e32 vcc, s7, v1
	v_pk_mov_b32 v[20:21], s[22:23], s[22:23] op_sel:[0,1]
	v_mov_b32_e32 v1, 0
	v_pk_mov_b32 v[14:15], v[6:7], v[6:7] op_sel:[0,1]
	v_pk_mov_b32 v[12:13], v[4:5], v[4:5] op_sel:[0,1]
	;; [unrolled: 1-line block ×3, first 2 shown]
                                        ; implicit-def: $sgpr12_sgpr13
                                        ; implicit-def: $vgpr54
	s_and_saveexec_b64 s[20:21], vcc
	s_cbranch_execz .LBB103_123
; %bb.80:
	v_lshrrev_b32_e32 v1, 16, v46
	v_mov_b32_e32 v3, s76
	v_cmp_eq_u32_e32 vcc, v44, v45
	v_cndmask_b32_e32 v1, v3, v1, vcc
	v_cmp_ne_u32_e32 vcc, v44, v45
	s_mov_b32 s12, 0
	v_or_b32_e32 v2, 3, v55
	v_and_b32_e32 v1, 0xffff, v1
	v_cndmask_b32_e64 v3, 0, 1, vcc
	s_mov_b32 s13, s12
	v_lshl_or_b32 v21, v3, 16, v1
	v_cmp_gt_u32_e32 vcc, s7, v2
	s_mov_b32 s14, s12
	s_mov_b32 s15, s12
	;; [unrolled: 1-line block ×6, first 2 shown]
	v_pk_mov_b32 v[2:3], s[12:13], s[12:13] op_sel:[0,1]
	v_pk_mov_b32 v[8:9], s[18:19], s[18:19] op_sel:[0,1]
	v_mov_b32_e32 v18, 0
	v_pk_mov_b32 v[4:5], s[14:15], s[14:15] op_sel:[0,1]
	v_pk_mov_b32 v[6:7], s[16:17], s[16:17] op_sel:[0,1]
	;; [unrolled: 1-line block ×3, first 2 shown]
	v_mov_b32_e32 v19, v18
	v_mov_b32_e32 v20, v18
	v_pk_mov_b32 v[14:15], v[6:7], v[6:7] op_sel:[0,1]
	v_pk_mov_b32 v[12:13], v[4:5], v[4:5] op_sel:[0,1]
	;; [unrolled: 1-line block ×3, first 2 shown]
	v_mov_b32_e32 v1, v18
                                        ; implicit-def: $sgpr30_sgpr31
                                        ; implicit-def: $vgpr54
	s_and_saveexec_b64 s[22:23], vcc
	s_cbranch_execz .LBB103_122
; %bb.81:
	v_mov_b32_e32 v2, s76
	v_cmp_eq_u32_e32 vcc, v45, v38
	v_cndmask_b32_e32 v2, v2, v47, vcc
	v_cmp_ne_u32_e32 vcc, v45, v38
	v_and_b32_e32 v2, 0xffff, v2
	v_cndmask_b32_e64 v3, 0, 1, vcc
	v_lshl_or_b32 v20, v3, 16, v2
	v_pk_mov_b32 v[2:3], s[12:13], s[12:13] op_sel:[0,1]
	v_pk_mov_b32 v[8:9], s[18:19], s[18:19] op_sel:[0,1]
	v_or_b32_e32 v1, 4, v55
	v_mov_b32_e32 v18, 0
	v_pk_mov_b32 v[4:5], s[14:15], s[14:15] op_sel:[0,1]
	v_pk_mov_b32 v[6:7], s[16:17], s[16:17] op_sel:[0,1]
	v_pk_mov_b32 v[16:17], v[8:9], v[8:9] op_sel:[0,1]
	v_cmp_gt_u32_e32 vcc, s7, v1
	v_mov_b32_e32 v19, v18
	s_mov_b64 s[28:29], 0
	v_pk_mov_b32 v[14:15], v[6:7], v[6:7] op_sel:[0,1]
	v_pk_mov_b32 v[12:13], v[4:5], v[4:5] op_sel:[0,1]
	;; [unrolled: 1-line block ×3, first 2 shown]
	v_mov_b32_e32 v1, v18
                                        ; implicit-def: $sgpr12_sgpr13
                                        ; implicit-def: $vgpr54
	s_and_saveexec_b64 s[26:27], vcc
	s_cbranch_execz .LBB103_121
; %bb.82:
	v_lshrrev_b32_e32 v1, 16, v47
	v_mov_b32_e32 v3, s76
	v_cmp_eq_u32_e32 vcc, v38, v39
	v_cndmask_b32_e32 v1, v3, v1, vcc
	v_cmp_ne_u32_e32 vcc, v38, v39
	s_mov_b32 s12, 0
	v_or_b32_e32 v2, 5, v55
	v_and_b32_e32 v1, 0xffff, v1
	v_cndmask_b32_e64 v3, 0, 1, vcc
	s_mov_b32 s13, s12
	v_lshl_or_b32 v19, v3, 16, v1
	v_cmp_gt_u32_e32 vcc, s7, v2
	s_mov_b32 s14, s12
	s_mov_b32 s15, s12
	;; [unrolled: 1-line block ×6, first 2 shown]
	v_pk_mov_b32 v[2:3], s[12:13], s[12:13] op_sel:[0,1]
	v_pk_mov_b32 v[8:9], s[18:19], s[18:19] op_sel:[0,1]
	;; [unrolled: 1-line block ×5, first 2 shown]
	v_mov_b32_e32 v18, s12
	s_mov_b64 s[30:31], 0
	v_mov_b32_e32 v1, 0
	v_pk_mov_b32 v[14:15], v[6:7], v[6:7] op_sel:[0,1]
	v_pk_mov_b32 v[12:13], v[4:5], v[4:5] op_sel:[0,1]
	v_pk_mov_b32 v[10:11], v[2:3], v[2:3] op_sel:[0,1]
                                        ; implicit-def: $sgpr36_sgpr37
                                        ; implicit-def: $vgpr54
	s_and_saveexec_b64 s[28:29], vcc
	s_cbranch_execz .LBB103_120
; %bb.83:
	v_mov_b32_e32 v2, s76
	v_cmp_eq_u32_e32 vcc, v39, v40
	v_cndmask_b32_e32 v2, v2, v48, vcc
	v_cmp_ne_u32_e32 vcc, v39, v40
	v_and_b32_e32 v2, 0xffff, v2
	v_cndmask_b32_e64 v3, 0, 1, vcc
	v_lshl_or_b32 v18, v3, 16, v2
	v_pk_mov_b32 v[2:3], s[12:13], s[12:13] op_sel:[0,1]
	v_pk_mov_b32 v[8:9], s[18:19], s[18:19] op_sel:[0,1]
	v_or_b32_e32 v1, 6, v55
	v_pk_mov_b32 v[4:5], s[14:15], s[14:15] op_sel:[0,1]
	v_pk_mov_b32 v[6:7], s[16:17], s[16:17] op_sel:[0,1]
	;; [unrolled: 1-line block ×3, first 2 shown]
	v_cmp_gt_u32_e32 vcc, s7, v1
	s_mov_b64 s[34:35], 0
	v_mov_b32_e32 v1, 0
	v_pk_mov_b32 v[14:15], v[6:7], v[6:7] op_sel:[0,1]
	v_pk_mov_b32 v[12:13], v[4:5], v[4:5] op_sel:[0,1]
	;; [unrolled: 1-line block ×3, first 2 shown]
                                        ; implicit-def: $sgpr12_sgpr13
                                        ; implicit-def: $vgpr54
	s_and_saveexec_b64 s[30:31], vcc
	s_cbranch_execz .LBB103_119
; %bb.84:
	v_lshrrev_b32_e32 v1, 16, v48
	v_mov_b32_e32 v3, s76
	v_cmp_eq_u32_e32 vcc, v40, v41
	v_cndmask_b32_e32 v1, v3, v1, vcc
	v_cmp_ne_u32_e32 vcc, v40, v41
	s_mov_b32 s12, 0
	v_or_b32_e32 v2, 7, v55
	v_and_b32_e32 v1, 0xffff, v1
	v_cndmask_b32_e64 v3, 0, 1, vcc
	s_mov_b32 s13, s12
	v_lshl_or_b32 v1, v3, 16, v1
	v_cmp_gt_u32_e32 vcc, s7, v2
	s_mov_b32 s14, s12
	s_mov_b32 s15, s12
	;; [unrolled: 1-line block ×6, first 2 shown]
	v_pk_mov_b32 v[2:3], s[12:13], s[12:13] op_sel:[0,1]
	v_pk_mov_b32 v[8:9], s[18:19], s[18:19] op_sel:[0,1]
	;; [unrolled: 1-line block ×5, first 2 shown]
	s_mov_b64 s[36:37], 0
	v_pk_mov_b32 v[14:15], v[6:7], v[6:7] op_sel:[0,1]
	v_pk_mov_b32 v[12:13], v[4:5], v[4:5] op_sel:[0,1]
	;; [unrolled: 1-line block ×3, first 2 shown]
                                        ; implicit-def: $sgpr40_sgpr41
                                        ; implicit-def: $vgpr54
	s_and_saveexec_b64 s[34:35], vcc
	s_cbranch_execz .LBB103_118
; %bb.85:
	v_mov_b32_e32 v3, s76
	v_cmp_eq_u32_e32 vcc, v41, v34
	v_add_u32_e32 v2, 8, v55
	v_cndmask_b32_e32 v3, v3, v49, vcc
	v_cmp_ne_u32_e32 vcc, v41, v34
	v_and_b32_e32 v3, 0xffff, v3
	v_cndmask_b32_e64 v4, 0, 1, vcc
	v_cmp_gt_u32_e32 vcc, s7, v2
	v_mov_b32_e32 v2, 0
	v_pk_mov_b32 v[10:11], s[12:13], s[12:13] op_sel:[0,1]
	v_lshl_or_b32 v9, v4, 16, v3
	v_mov_b32_e32 v3, v2
	v_mov_b32_e32 v4, v2
	;; [unrolled: 1-line block ×6, first 2 shown]
	s_mov_b64 s[38:39], 0
	v_pk_mov_b32 v[12:13], s[14:15], s[14:15] op_sel:[0,1]
	v_pk_mov_b32 v[14:15], s[16:17], s[16:17] op_sel:[0,1]
	v_pk_mov_b32 v[16:17], s[18:19], s[18:19] op_sel:[0,1]
                                        ; implicit-def: $sgpr12_sgpr13
                                        ; implicit-def: $vgpr54
	s_and_saveexec_b64 s[36:37], vcc
	s_cbranch_execz .LBB103_117
; %bb.86:
	v_lshrrev_b32_e32 v3, 16, v49
	v_mov_b32_e32 v5, s76
	v_cmp_eq_u32_e32 vcc, v34, v35
	s_mov_b32 s12, 0
	v_cndmask_b32_e32 v3, v5, v3, vcc
	v_cmp_ne_u32_e32 vcc, v34, v35
	s_mov_b32 s13, s12
	v_add_u32_e32 v4, 9, v55
	v_and_b32_e32 v3, 0xffff, v3
	v_cndmask_b32_e64 v5, 0, 1, vcc
	s_mov_b32 s14, s12
	s_mov_b32 s15, s12
	;; [unrolled: 1-line block ×6, first 2 shown]
	v_pk_mov_b32 v[10:11], s[12:13], s[12:13] op_sel:[0,1]
	v_lshl_or_b32 v8, v5, 16, v3
	v_cmp_gt_u32_e32 vcc, s7, v4
	v_mov_b32_e32 v3, v2
	v_mov_b32_e32 v4, v2
	;; [unrolled: 1-line block ×5, first 2 shown]
	s_mov_b64 s[40:41], 0
	v_pk_mov_b32 v[12:13], s[14:15], s[14:15] op_sel:[0,1]
	v_pk_mov_b32 v[14:15], s[16:17], s[16:17] op_sel:[0,1]
	;; [unrolled: 1-line block ×3, first 2 shown]
                                        ; implicit-def: $sgpr44_sgpr45
                                        ; implicit-def: $vgpr54
	s_and_saveexec_b64 s[38:39], vcc
	s_cbranch_execz .LBB103_116
; %bb.87:
	ds_read_b128 v[38:41], v42 offset:18
	v_mov_b32_e32 v3, s76
	v_cmp_eq_u32_e32 vcc, v35, v36
	v_add_u32_e32 v2, 10, v55
	v_pk_mov_b32 v[10:11], s[12:13], s[12:13] op_sel:[0,1]
	s_waitcnt lgkmcnt(0)
	v_cndmask_b32_e32 v3, v3, v38, vcc
	v_cmp_ne_u32_e32 vcc, v35, v36
	v_and_b32_e32 v3, 0xffff, v3
	v_cndmask_b32_e64 v4, 0, 1, vcc
	v_cmp_gt_u32_e32 vcc, s7, v2
	v_mov_b32_e32 v2, 0
	v_lshl_or_b32 v7, v4, 16, v3
	v_mov_b32_e32 v3, v2
	v_mov_b32_e32 v4, v2
	;; [unrolled: 1-line block ×4, first 2 shown]
	s_mov_b64 s[42:43], 0
	v_pk_mov_b32 v[12:13], s[14:15], s[14:15] op_sel:[0,1]
	v_pk_mov_b32 v[14:15], s[16:17], s[16:17] op_sel:[0,1]
	v_pk_mov_b32 v[16:17], s[18:19], s[18:19] op_sel:[0,1]
                                        ; implicit-def: $sgpr12_sgpr13
                                        ; implicit-def: $vgpr54
	s_and_saveexec_b64 s[40:41], vcc
	s_cbranch_execz .LBB103_115
; %bb.88:
	v_lshrrev_b32_e32 v3, 16, v38
	v_mov_b32_e32 v5, s76
	v_cmp_eq_u32_e32 vcc, v36, v37
	s_mov_b32 s12, 0
	v_cndmask_b32_e32 v3, v5, v3, vcc
	v_cmp_ne_u32_e32 vcc, v36, v37
	s_mov_b32 s13, s12
	v_add_u32_e32 v4, 11, v55
	v_and_b32_e32 v3, 0xffff, v3
	v_cndmask_b32_e64 v5, 0, 1, vcc
	s_mov_b32 s14, s12
	s_mov_b32 s15, s12
	;; [unrolled: 1-line block ×6, first 2 shown]
	v_pk_mov_b32 v[10:11], s[12:13], s[12:13] op_sel:[0,1]
	v_lshl_or_b32 v6, v5, 16, v3
	v_cmp_gt_u32_e32 vcc, s7, v4
	v_mov_b32_e32 v3, v2
	v_mov_b32_e32 v4, v2
	;; [unrolled: 1-line block ×3, first 2 shown]
	s_mov_b64 s[44:45], 0
	v_pk_mov_b32 v[12:13], s[14:15], s[14:15] op_sel:[0,1]
	v_pk_mov_b32 v[14:15], s[16:17], s[16:17] op_sel:[0,1]
	;; [unrolled: 1-line block ×3, first 2 shown]
                                        ; implicit-def: $sgpr48_sgpr49
                                        ; implicit-def: $vgpr54
	s_and_saveexec_b64 s[42:43], vcc
	s_cbranch_execz .LBB103_114
; %bb.89:
	v_mov_b32_e32 v3, s76
	v_cmp_eq_u32_e32 vcc, v37, v30
	v_add_u32_e32 v2, 12, v55
	v_cndmask_b32_e32 v3, v3, v39, vcc
	v_cmp_ne_u32_e32 vcc, v37, v30
	v_and_b32_e32 v3, 0xffff, v3
	v_cndmask_b32_e64 v4, 0, 1, vcc
	v_cmp_gt_u32_e32 vcc, s7, v2
	v_mov_b32_e32 v2, 0
	v_pk_mov_b32 v[10:11], s[12:13], s[12:13] op_sel:[0,1]
	v_lshl_or_b32 v5, v4, 16, v3
	v_mov_b32_e32 v3, v2
	v_mov_b32_e32 v4, v2
	s_mov_b64 s[46:47], 0
	v_pk_mov_b32 v[12:13], s[14:15], s[14:15] op_sel:[0,1]
	v_pk_mov_b32 v[14:15], s[16:17], s[16:17] op_sel:[0,1]
	;; [unrolled: 1-line block ×3, first 2 shown]
                                        ; implicit-def: $sgpr12_sgpr13
                                        ; implicit-def: $vgpr54
	s_and_saveexec_b64 s[44:45], vcc
	s_cbranch_execz .LBB103_113
; %bb.90:
	v_lshrrev_b32_e32 v3, 16, v39
	v_mov_b32_e32 v4, s76
	v_cmp_eq_u32_e32 vcc, v30, v31
	s_mov_b32 s12, 0
	v_add_u32_e32 v10, 13, v55
	v_cndmask_b32_e32 v3, v4, v3, vcc
	v_cmp_ne_u32_e32 vcc, v30, v31
	s_mov_b32 s13, s12
	v_and_b32_e32 v3, 0xffff, v3
	v_cndmask_b32_e64 v4, 0, 1, vcc
	v_cmp_gt_u32_e32 vcc, s7, v10
	s_mov_b32 s14, s12
	s_mov_b32 s15, s12
	s_mov_b32 s16, s12
	s_mov_b32 s17, s12
	s_mov_b32 s18, s12
	s_mov_b32 s19, s12
	v_pk_mov_b32 v[10:11], s[12:13], s[12:13] op_sel:[0,1]
	v_lshl_or_b32 v4, v4, 16, v3
	v_mov_b32_e32 v3, v2
	s_mov_b64 s[48:49], 0
	v_pk_mov_b32 v[12:13], s[14:15], s[14:15] op_sel:[0,1]
	v_pk_mov_b32 v[14:15], s[16:17], s[16:17] op_sel:[0,1]
	;; [unrolled: 1-line block ×3, first 2 shown]
                                        ; implicit-def: $sgpr50_sgpr51
                                        ; implicit-def: $vgpr54
	s_and_saveexec_b64 s[46:47], vcc
	s_cbranch_execz .LBB103_112
; %bb.91:
	v_mov_b32_e32 v3, s76
	v_cmp_eq_u32_e32 vcc, v31, v32
	v_cndmask_b32_e32 v3, v3, v40, vcc
	v_cmp_ne_u32_e32 vcc, v31, v32
	v_and_b32_e32 v3, 0xffff, v3
	v_cndmask_b32_e64 v10, 0, 1, vcc
	v_add_u32_e32 v2, 14, v55
	v_lshl_or_b32 v3, v10, 16, v3
	v_pk_mov_b32 v[10:11], s[12:13], s[12:13] op_sel:[0,1]
	v_cmp_gt_u32_e32 vcc, s7, v2
	v_mov_b32_e32 v2, s12
	v_pk_mov_b32 v[12:13], s[14:15], s[14:15] op_sel:[0,1]
	v_pk_mov_b32 v[14:15], s[16:17], s[16:17] op_sel:[0,1]
	;; [unrolled: 1-line block ×3, first 2 shown]
                                        ; implicit-def: $sgpr14_sgpr15
                                        ; implicit-def: $vgpr54
	s_and_saveexec_b64 s[12:13], vcc
	s_cbranch_execz .LBB103_111
; %bb.92:
	v_lshrrev_b32_e32 v2, 16, v40
	v_mov_b32_e32 v11, s76
	v_cmp_eq_u32_e32 vcc, v32, v33
	v_cndmask_b32_e32 v2, v11, v2, vcc
	v_cmp_ne_u32_e32 vcc, v32, v33
	s_mov_b32 s48, 0
	v_add_u32_e32 v10, 15, v55
	v_and_b32_e32 v2, 0xffff, v2
	v_cndmask_b32_e64 v11, 0, 1, vcc
	s_mov_b32 s49, s48
	v_lshl_or_b32 v2, v11, 16, v2
	v_cmp_gt_u32_e32 vcc, s7, v10
	s_mov_b32 s50, s48
	s_mov_b32 s51, s48
	;; [unrolled: 1-line block ×6, first 2 shown]
	v_pk_mov_b32 v[10:11], s[48:49], s[48:49] op_sel:[0,1]
	s_mov_b64 s[16:17], 0
	v_pk_mov_b32 v[12:13], s[50:51], s[50:51] op_sel:[0,1]
	v_pk_mov_b32 v[14:15], s[52:53], s[52:53] op_sel:[0,1]
	;; [unrolled: 1-line block ×3, first 2 shown]
                                        ; implicit-def: $sgpr48_sgpr49
                                        ; implicit-def: $vgpr54
	s_and_saveexec_b64 s[14:15], vcc
	s_cbranch_execz .LBB103_110
; %bb.93:
	v_mov_b32_e32 v10, s76
	v_cmp_eq_u32_e32 vcc, v33, v26
	v_cndmask_b32_e32 v10, v10, v41, vcc
	v_cmp_ne_u32_e32 vcc, v33, v26
	v_and_b32_e32 v10, 0xffff, v10
	v_cndmask_b32_e64 v12, 0, 1, vcc
	v_add_u32_e32 v11, 16, v55
	v_lshl_or_b32 v10, v12, 16, v10
	v_mov_b32_e32 v12, 0
	v_cmp_gt_u32_e32 vcc, s7, v11
	v_mov_b32_e32 v11, v12
	v_mov_b32_e32 v13, v12
	;; [unrolled: 1-line block ×6, first 2 shown]
	s_mov_b64 s[18:19], 0
                                        ; implicit-def: $sgpr50_sgpr51
                                        ; implicit-def: $vgpr54
	s_and_saveexec_b64 s[16:17], vcc
	s_cbranch_execz .LBB103_109
; %bb.94:
	v_lshrrev_b32_e32 v11, 16, v41
	v_mov_b32_e32 v14, s76
	v_cmp_eq_u32_e32 vcc, v26, v27
	v_cndmask_b32_e32 v11, v14, v11, vcc
	v_cmp_ne_u32_e32 vcc, v26, v27
	v_add_u32_e32 v13, 17, v55
	v_and_b32_e32 v11, 0xffff, v11
	v_cndmask_b32_e64 v14, 0, 1, vcc
	v_lshl_or_b32 v11, v14, 16, v11
	v_cmp_gt_u32_e32 vcc, s7, v13
	v_mov_b32_e32 v13, v12
	v_mov_b32_e32 v14, v12
	;; [unrolled: 1-line block ×5, first 2 shown]
	s_mov_b64 s[48:49], 0
                                        ; implicit-def: $sgpr52_sgpr53
                                        ; implicit-def: $vgpr54
	s_and_saveexec_b64 s[18:19], vcc
	s_cbranch_execz .LBB103_108
; %bb.95:
	ds_read_b96 v[30:32], v42 offset:34
	v_mov_b32_e32 v12, s76
	v_cmp_eq_u32_e32 vcc, v27, v28
	v_add_u32_e32 v13, 18, v55
	s_mov_b64 s[50:51], 0
	s_waitcnt lgkmcnt(0)
	v_cndmask_b32_e32 v12, v12, v30, vcc
	v_cmp_ne_u32_e32 vcc, v27, v28
	v_and_b32_e32 v12, 0xffff, v12
	v_cndmask_b32_e64 v14, 0, 1, vcc
	v_lshl_or_b32 v12, v14, 16, v12
	v_mov_b32_e32 v14, 0
	v_cmp_gt_u32_e32 vcc, s7, v13
	v_mov_b32_e32 v13, v14
	v_mov_b32_e32 v15, v14
	;; [unrolled: 1-line block ×4, first 2 shown]
                                        ; implicit-def: $sgpr54_sgpr55
                                        ; implicit-def: $vgpr54
	s_and_saveexec_b64 s[48:49], vcc
	s_cbranch_execz .LBB103_107
; %bb.96:
	v_lshrrev_b32_e32 v13, 16, v30
	v_mov_b32_e32 v16, s76
	v_cmp_eq_u32_e32 vcc, v28, v29
	v_cndmask_b32_e32 v13, v16, v13, vcc
	v_cmp_ne_u32_e32 vcc, v28, v29
	v_add_u32_e32 v15, 19, v55
	v_and_b32_e32 v13, 0xffff, v13
	v_cndmask_b32_e64 v16, 0, 1, vcc
	v_lshl_or_b32 v13, v16, 16, v13
	v_cmp_gt_u32_e32 vcc, s7, v15
	v_mov_b32_e32 v15, v14
	v_mov_b32_e32 v16, v14
	;; [unrolled: 1-line block ×3, first 2 shown]
	s_mov_b64 s[52:53], 0
                                        ; implicit-def: $sgpr60_sgpr61
                                        ; implicit-def: $vgpr54
	s_and_saveexec_b64 s[50:51], vcc
	s_cbranch_execz .LBB103_106
; %bb.97:
	v_mov_b32_e32 v14, s76
	v_cmp_eq_u32_e32 vcc, v29, v22
	v_cndmask_b32_e32 v14, v14, v31, vcc
	v_cmp_ne_u32_e32 vcc, v29, v22
	v_and_b32_e32 v14, 0xffff, v14
	v_cndmask_b32_e64 v16, 0, 1, vcc
	v_add_u32_e32 v15, 20, v55
	v_lshl_or_b32 v14, v16, 16, v14
	v_mov_b32_e32 v16, 0
	v_cmp_gt_u32_e32 vcc, s7, v15
	v_mov_b32_e32 v15, v16
	v_mov_b32_e32 v17, v16
	s_mov_b64 s[54:55], 0
                                        ; implicit-def: $sgpr62_sgpr63
                                        ; implicit-def: $vgpr54
	s_and_saveexec_b64 s[52:53], vcc
	s_cbranch_execz .LBB103_105
; %bb.98:
	v_lshrrev_b32_e32 v15, 16, v31
	v_mov_b32_e32 v26, s76
	v_cmp_eq_u32_e32 vcc, v22, v23
	v_cndmask_b32_e32 v15, v26, v15, vcc
	v_cmp_ne_u32_e32 vcc, v22, v23
	v_add_u32_e32 v17, 21, v55
	v_and_b32_e32 v15, 0xffff, v15
	v_cndmask_b32_e64 v22, 0, 1, vcc
	v_lshl_or_b32 v15, v22, 16, v15
	v_cmp_gt_u32_e32 vcc, s7, v17
	s_mov_b32 s9, 0
	v_mov_b32_e32 v17, v16
	s_mov_b64 s[60:61], 0
                                        ; implicit-def: $sgpr72_sgpr73
                                        ; implicit-def: $vgpr54
	s_and_saveexec_b64 s[54:55], vcc
	s_cbranch_execz .LBB103_104
; %bb.99:
	v_mov_b32_e32 v16, s76
	v_cmp_eq_u32_e32 vcc, v23, v24
	v_cndmask_b32_e32 v16, v16, v32, vcc
	v_cmp_ne_u32_e32 vcc, v23, v24
	v_add_u32_e32 v17, 22, v55
	v_and_b32_e32 v16, 0xffff, v16
	v_cndmask_b32_e64 v22, 0, 1, vcc
	v_lshl_or_b32 v16, v22, 16, v16
	v_cmp_gt_u32_e32 vcc, s7, v17
	v_mov_b32_e32 v17, s9
	s_mov_b64 s[62:63], 0
                                        ; implicit-def: $sgpr72_sgpr73
                                        ; implicit-def: $vgpr54
	s_and_saveexec_b64 s[60:61], vcc
	s_cbranch_execz .LBB103_103
; %bb.100:
	v_lshrrev_b32_e32 v17, 16, v32
	v_mov_b32_e32 v23, s76
	v_cmp_eq_u32_e32 vcc, v24, v25
	v_cndmask_b32_e32 v17, v23, v17, vcc
	v_cmp_ne_u32_e32 vcc, v24, v25
	v_add_u32_e32 v22, 23, v55
	v_and_b32_e32 v17, 0xffff, v17
	v_cndmask_b32_e64 v23, 0, 1, vcc
	v_lshl_or_b32 v17, v23, 16, v17
	v_cmp_gt_u32_e32 vcc, s7, v22
                                        ; implicit-def: $sgpr72_sgpr73
                                        ; implicit-def: $vgpr54
	s_and_saveexec_b64 s[74:75], vcc
	s_xor_b64 s[74:75], exec, s[74:75]
	s_cbranch_execz .LBB103_102
; %bb.101:
	ds_read_u16 v22, v42 offset:46
	v_mov_b32_e32 v23, s76
	v_cmp_ne_u32_e32 vcc, v25, v53
	s_mov_b64 s[62:63], exec
	s_and_b64 s[72:73], vcc, exec
	s_waitcnt lgkmcnt(0)
	v_cndmask_b32_e32 v54, v22, v23, vcc
.LBB103_102:
	s_or_b64 exec, exec, s[74:75]
	s_and_b64 s[72:73], s[72:73], exec
	s_and_b64 s[62:63], s[62:63], exec
.LBB103_103:
	s_or_b64 exec, exec, s[60:61]
	s_and_b64 s[72:73], s[72:73], exec
	s_and_b64 s[60:61], s[62:63], exec
.LBB103_104:
	s_or_b64 exec, exec, s[54:55]
	s_and_b64 s[62:63], s[72:73], exec
	s_and_b64 s[54:55], s[60:61], exec
.LBB103_105:
	s_or_b64 exec, exec, s[52:53]
	s_and_b64 s[60:61], s[62:63], exec
	s_and_b64 s[52:53], s[54:55], exec
.LBB103_106:
	s_or_b64 exec, exec, s[50:51]
	s_and_b64 s[54:55], s[60:61], exec
	s_and_b64 s[50:51], s[52:53], exec
.LBB103_107:
	s_or_b64 exec, exec, s[48:49]
	s_and_b64 s[52:53], s[54:55], exec
	s_and_b64 s[48:49], s[50:51], exec
.LBB103_108:
	s_or_b64 exec, exec, s[18:19]
	s_and_b64 s[50:51], s[52:53], exec
	s_and_b64 s[18:19], s[48:49], exec
.LBB103_109:
	s_or_b64 exec, exec, s[16:17]
	s_and_b64 s[48:49], s[50:51], exec
	s_and_b64 s[16:17], s[18:19], exec
.LBB103_110:
	s_or_b64 exec, exec, s[14:15]
	s_and_b64 s[14:15], s[48:49], exec
	s_and_b64 s[48:49], s[16:17], exec
.LBB103_111:
	s_or_b64 exec, exec, s[12:13]
	s_and_b64 s[50:51], s[14:15], exec
	s_and_b64 s[48:49], s[48:49], exec
.LBB103_112:
	s_or_b64 exec, exec, s[46:47]
	s_and_b64 s[12:13], s[50:51], exec
	s_and_b64 s[46:47], s[48:49], exec
.LBB103_113:
	s_or_b64 exec, exec, s[44:45]
	s_and_b64 s[48:49], s[12:13], exec
	s_and_b64 s[44:45], s[46:47], exec
.LBB103_114:
	s_or_b64 exec, exec, s[42:43]
	s_and_b64 s[12:13], s[48:49], exec
	s_and_b64 s[42:43], s[44:45], exec
.LBB103_115:
	s_or_b64 exec, exec, s[40:41]
	s_and_b64 s[44:45], s[12:13], exec
	s_and_b64 s[40:41], s[42:43], exec
.LBB103_116:
	s_or_b64 exec, exec, s[38:39]
	s_and_b64 s[12:13], s[44:45], exec
	s_and_b64 s[38:39], s[40:41], exec
.LBB103_117:
	s_or_b64 exec, exec, s[36:37]
	s_and_b64 s[40:41], s[12:13], exec
	s_and_b64 s[36:37], s[38:39], exec
.LBB103_118:
	s_or_b64 exec, exec, s[34:35]
	s_and_b64 s[12:13], s[40:41], exec
	s_and_b64 s[34:35], s[36:37], exec
.LBB103_119:
	s_or_b64 exec, exec, s[30:31]
	s_and_b64 s[36:37], s[12:13], exec
	s_and_b64 s[30:31], s[34:35], exec
.LBB103_120:
	s_or_b64 exec, exec, s[28:29]
	s_and_b64 s[12:13], s[36:37], exec
	s_and_b64 s[28:29], s[30:31], exec
.LBB103_121:
	s_or_b64 exec, exec, s[26:27]
	s_and_b64 s[30:31], s[12:13], exec
	s_and_b64 s[26:27], s[28:29], exec
.LBB103_122:
	s_or_b64 exec, exec, s[22:23]
	s_and_b64 s[12:13], s[30:31], exec
	s_and_b64 s[26:27], s[26:27], exec
.LBB103_123:
	s_or_b64 exec, exec, s[20:21]
	s_and_b64 s[28:29], s[12:13], exec
	s_and_b64 s[26:27], s[26:27], exec
.LBB103_124:
	s_or_b64 exec, exec, s[24:25]
	s_and_b64 s[12:13], s[28:29], exec
	s_and_b64 s[14:15], s[26:27], exec
.LBB103_125:
	s_or_b64 exec, exec, s[10:11]
	s_and_b64 vcc, exec, s[2:3]
	s_cbranch_vccnz .LBB103_127
	s_branch .LBB103_132
.LBB103_126:
	s_mov_b64 s[14:15], 0
                                        ; implicit-def: $sgpr12_sgpr13
                                        ; implicit-def: $vgpr50_vgpr51
                                        ; implicit-def: $vgpr18_vgpr19_vgpr20_vgpr21
                                        ; implicit-def: $vgpr2_vgpr3_vgpr4_vgpr5_vgpr6_vgpr7_vgpr8_vgpr9
                                        ; implicit-def: $vgpr10_vgpr11_vgpr12_vgpr13_vgpr14_vgpr15_vgpr16_vgpr17
                                        ; implicit-def: $vgpr1
                                        ; implicit-def: $vgpr54
                                        ; implicit-def: $sgpr8
	s_and_b64 vcc, exec, s[2:3]
	s_cbranch_vccz .LBB103_132
.LBB103_127:
	v_mov_b32_e32 v1, s71
	v_add_co_u32_e32 v2, vcc, s70, v52
	v_addc_co_u32_e32 v1, vcc, 0, v1, vcc
	s_movk_i32 s2, 0x1000
	v_add_co_u32_e32 v2, vcc, s2, v2
	v_addc_co_u32_e32 v3, vcc, 0, v1, vcc
	global_load_dword v4, v52, s[70:71]
	global_load_dword v5, v52, s[70:71] offset:256
	global_load_dword v6, v52, s[70:71] offset:512
	;; [unrolled: 1-line block ×15, first 2 shown]
	global_load_dword v20, v[2:3], off
	global_load_dword v21, v[2:3], off offset:256
	global_load_dword v22, v[2:3], off offset:512
	global_load_dword v23, v[2:3], off offset:768
	global_load_dword v24, v[2:3], off offset:1024
	global_load_dword v25, v[2:3], off offset:1280
	global_load_dword v26, v[2:3], off offset:1536
	global_load_dword v27, v[2:3], off offset:1792
	s_movk_i32 s2, 0x5c
	v_mad_u32_u24 v40, v0, s2, v52
	s_movk_i32 s3, 0xffa4
	v_cmp_ne_u32_e32 vcc, 63, v0
	v_mad_i32_i24 v1, v0, s3, v40
	s_waitcnt vmcnt(22)
	ds_write2st64_b32 v52, v4, v5 offset1:1
	s_waitcnt vmcnt(20)
	ds_write2st64_b32 v52, v6, v7 offset0:2 offset1:3
	s_waitcnt vmcnt(18)
	ds_write2st64_b32 v52, v8, v9 offset0:4 offset1:5
	;; [unrolled: 2-line block ×11, first 2 shown]
	s_waitcnt lgkmcnt(0)
	; wave barrier
	s_waitcnt lgkmcnt(0)
	ds_read2_b32 v[22:23], v40 offset0:6 offset1:23
	ds_read_b64 v[18:19], v40
	ds_read2_b64 v[2:5], v40 offset0:1 offset1:2
	ds_read2_b32 v[32:33], v40 offset0:13 offset1:14
	ds_read2_b32 v[34:35], v40 offset0:11 offset1:12
	;; [unrolled: 1-line block ×4, first 2 shown]
	s_load_dword s2, s[70:71], 0x1800
	ds_read2_b32 v[30:31], v40 offset0:21 offset1:22
	ds_read2_b32 v[28:29], v40 offset0:19 offset1:20
	ds_read2_b32 v[24:25], v40 offset0:17 offset1:18
	ds_read2_b32 v[26:27], v40 offset0:15 offset1:16
	s_waitcnt lgkmcnt(0)
	ds_write_b32 v1, v18 offset:6400
	s_waitcnt lgkmcnt(0)
	; wave barrier
	s_waitcnt lgkmcnt(0)
	v_mov_b32_e32 v40, s2
	s_and_saveexec_b64 s[2:3], vcc
	s_cbranch_execz .LBB103_129
; %bb.128:
	ds_read_b32 v40, v52 offset:6404
.LBB103_129:
	s_or_b64 exec, exec, s[2:3]
	v_lshlrev_b32_e32 v6, 1, v0
	s_waitcnt lgkmcnt(0)
	; wave barrier
	s_waitcnt lgkmcnt(0)
	global_load_ushort v7, v6, s[68:69]
	global_load_ushort v8, v6, s[68:69] offset:128
	global_load_ushort v9, v6, s[68:69] offset:256
	;; [unrolled: 1-line block ×23, first 2 shown]
	v_sub_u32_e32 v1, v1, v6
	v_mad_u32_u24 v52, v0, 46, v1
	v_cmp_eq_u32_e32 vcc, v18, v19
	v_mov_b32_e32 v18, s76
	s_waitcnt vmcnt(23)
	ds_write_b16 v1, v7
	s_waitcnt vmcnt(22)
	ds_write_b16 v1, v8 offset:128
	s_waitcnt vmcnt(21)
	ds_write_b16 v1, v9 offset:256
	;; [unrolled: 2-line block ×23, first 2 shown]
	s_waitcnt lgkmcnt(0)
	; wave barrier
	s_waitcnt lgkmcnt(0)
	ds_read_b96 v[14:16], v52 offset:2
	ds_read_b128 v[6:9], v52 offset:14
	ds_read_b128 v[10:13], v52 offset:30
	ds_read_u16 v41, v52 offset:46
	v_mov_b32_e32 v17, 0x10000
	s_and_saveexec_b64 s[2:3], vcc
	s_cbranch_execz .LBB103_131
; %bb.130:
	v_mul_u32_u24_e32 v17, 46, v0
	v_add_u32_e32 v1, v1, v17
	ds_read_u16 v18, v1
	v_mov_b32_e32 v17, 0
.LBB103_131:
	s_or_b64 exec, exec, s[2:3]
	v_mov_b32_e32 v47, s76
	v_cmp_eq_u32_e32 vcc, v19, v2
	s_waitcnt lgkmcnt(3)
	v_lshrrev_b32_e32 v20, 16, v14
	v_cndmask_b32_e32 v14, v47, v14, vcc
	v_cmp_ne_u32_e32 vcc, v19, v2
	v_and_b32_e32 v14, 0xffff, v14
	v_cndmask_b32_e64 v19, 0, 1, vcc
	v_cmp_eq_u32_e32 vcc, v2, v3
	v_lshrrev_b32_e32 v1, 16, v15
	v_lshl_or_b32 v51, v19, 16, v14
	v_cndmask_b32_e32 v14, v47, v20, vcc
	v_cmp_eq_u32_e32 vcc, v4, v5
	v_cndmask_b32_e32 v1, v47, v1, vcc
	v_cmp_eq_u32_e32 vcc, v3, v4
	;; [unrolled: 2-line block ×3, first 2 shown]
	v_lshrrev_b32_e32 v42, 16, v16
	v_cndmask_b32_e32 v16, v47, v16, vcc
	v_cmp_ne_u32_e32 vcc, v3, v4
	s_waitcnt lgkmcnt(0)
	v_or_b32_sdwa v50, v17, v18 dst_sel:DWORD dst_unused:UNUSED_PAD src0_sel:DWORD src1_sel:WORD_0
	v_and_b32_e32 v15, 0xffff, v15
	v_cndmask_b32_e64 v17, 0, 1, vcc
	v_cmp_ne_u32_e32 vcc, v5, v22
	v_lshl_or_b32 v20, v17, 16, v15
	v_cndmask_b32_e64 v15, 0, 1, vcc
	v_cmp_ne_u32_e32 vcc, v2, v3
	v_and_b32_e32 v14, 0xffff, v14
	v_cndmask_b32_e64 v2, 0, 1, vcc
	v_cmp_ne_u32_e32 vcc, v4, v5
	v_and_b32_e32 v1, 0xffff, v1
	v_lshl_or_b32 v21, v2, 16, v14
	v_cndmask_b32_e64 v2, 0, 1, vcc
	v_cmp_eq_u32_e32 vcc, v22, v38
	v_lshl_or_b32 v19, v2, 16, v1
	v_cndmask_b32_e32 v1, v47, v42, vcc
	v_cmp_ne_u32_e32 vcc, v22, v38
	v_lshrrev_b32_e32 v46, 16, v6
	v_and_b32_e32 v1, 0xffff, v1
	v_cndmask_b32_e64 v2, 0, 1, vcc
	v_cmp_eq_u32_e32 vcc, v39, v36
	v_lshrrev_b32_e32 v45, 16, v7
	v_lshl_or_b32 v1, v2, 16, v1
	v_cndmask_b32_e32 v2, v47, v46, vcc
	v_cmp_eq_u32_e32 vcc, v37, v34
	v_lshrrev_b32_e32 v44, 16, v8
	v_cndmask_b32_e32 v3, v47, v45, vcc
	v_cmp_eq_u32_e32 vcc, v35, v32
	v_lshrrev_b32_e32 v43, 16, v9
	v_cndmask_b32_e32 v4, v47, v44, vcc
	v_cmp_eq_u32_e32 vcc, v33, v26
	v_cndmask_b32_e32 v5, v47, v43, vcc
	v_cmp_eq_u32_e32 vcc, v38, v39
	v_cndmask_b32_e32 v6, v47, v6, vcc
	v_cmp_eq_u32_e32 vcc, v36, v37
	v_cndmask_b32_e32 v7, v47, v7, vcc
	v_cmp_eq_u32_e32 vcc, v34, v35
	v_cndmask_b32_e32 v8, v47, v8, vcc
	v_cmp_eq_u32_e32 vcc, v32, v33
	v_cndmask_b32_e32 v9, v47, v9, vcc
	v_cmp_ne_u32_e32 vcc, v38, v39
	v_and_b32_e32 v16, 0xffff, v16
	v_and_b32_e32 v14, 0xffff, v5
	v_and_b32_e32 v5, 0xffff, v8
	v_and_b32_e32 v6, 0xffff, v6
	v_cndmask_b32_e64 v8, 0, 1, vcc
	v_cmp_ne_u32_e32 vcc, v36, v37
	v_lshl_or_b32 v18, v15, 16, v16
	v_and_b32_e32 v15, 0xffff, v3
	v_and_b32_e32 v3, 0xffff, v9
	;; [unrolled: 1-line block ×3, first 2 shown]
	v_lshl_or_b32 v9, v8, 16, v6
	v_cndmask_b32_e64 v6, 0, 1, vcc
	v_cmp_ne_u32_e32 vcc, v34, v35
	v_lshl_or_b32 v7, v6, 16, v7
	v_cndmask_b32_e64 v6, 0, 1, vcc
	v_cmp_ne_u32_e32 vcc, v32, v33
	;; [unrolled: 3-line block ×3, first 2 shown]
	v_and_b32_e32 v2, 0xffff, v2
	v_lshl_or_b32 v3, v6, 16, v3
	v_cndmask_b32_e64 v6, 0, 1, vcc
	v_cmp_ne_u32_e32 vcc, v37, v34
	v_lshl_or_b32 v8, v6, 16, v2
	v_cndmask_b32_e64 v2, 0, 1, vcc
	v_cmp_ne_u32_e32 vcc, v35, v32
	v_and_b32_e32 v4, 0xffff, v4
	v_lshl_or_b32 v6, v2, 16, v15
	v_cndmask_b32_e64 v2, 0, 1, vcc
	v_cmp_ne_u32_e32 vcc, v33, v26
	v_lshl_or_b32 v4, v2, 16, v4
	v_cndmask_b32_e64 v2, 0, 1, vcc
	v_lshl_or_b32 v2, v2, 16, v14
	v_lshrrev_b32_e32 v14, 16, v13
	v_cmp_eq_u32_e32 vcc, v31, v23
	v_cndmask_b32_e32 v14, v47, v14, vcc
	v_lshrrev_b32_e32 v15, 16, v12
	v_cmp_eq_u32_e32 vcc, v29, v30
	v_cndmask_b32_e32 v15, v47, v15, vcc
	;; [unrolled: 3-line block ×4, first 2 shown]
	v_cmp_eq_u32_e32 vcc, v30, v31
	v_cndmask_b32_e32 v13, v47, v13, vcc
	v_cmp_eq_u32_e32 vcc, v28, v29
	v_cndmask_b32_e32 v12, v47, v12, vcc
	;; [unrolled: 2-line block ×4, first 2 shown]
	v_cmp_ne_u32_e32 vcc, v30, v31
	v_and_b32_e32 v22, 0xffff, v17
	v_and_b32_e32 v17, 0xffff, v14
	;; [unrolled: 1-line block ×3, first 2 shown]
	v_cndmask_b32_e64 v14, 0, 1, vcc
	v_cmp_ne_u32_e32 vcc, v28, v29
	v_and_b32_e32 v32, 0xffff, v16
	v_and_b32_e32 v12, 0xffff, v12
	v_lshl_or_b32 v16, v14, 16, v13
	v_cndmask_b32_e64 v13, 0, 1, vcc
	v_cmp_ne_u32_e32 vcc, v24, v25
	v_and_b32_e32 v11, 0xffff, v11
	v_lshl_or_b32 v14, v13, 16, v12
	v_cndmask_b32_e64 v12, 0, 1, vcc
	v_cmp_ne_u32_e32 vcc, v26, v27
	v_and_b32_e32 v10, 0xffff, v10
	v_lshl_or_b32 v12, v12, 16, v11
	v_cndmask_b32_e64 v11, 0, 1, vcc
	v_cmp_ne_u32_e32 vcc, v31, v23
	v_lshl_or_b32 v10, v11, 16, v10
	v_cndmask_b32_e64 v11, 0, 1, vcc
	v_cmp_ne_u32_e32 vcc, v29, v30
	v_and_b32_e32 v15, 0xffff, v15
	v_lshl_or_b32 v17, v11, 16, v17
	v_cndmask_b32_e64 v11, 0, 1, vcc
	v_cmp_ne_u32_e32 vcc, v25, v28
	v_lshl_or_b32 v15, v11, 16, v15
	v_cndmask_b32_e64 v11, 0, 1, vcc
	v_cmp_ne_u32_e32 vcc, v27, v24
	v_lshl_or_b32 v13, v11, 16, v32
	v_cndmask_b32_e64 v11, 0, 1, vcc
	v_cmp_ne_u32_e64 s[12:13], v23, v40
	v_lshl_or_b32 v11, v11, 16, v22
	v_cndmask_b32_e64 v54, v41, v47, s[12:13]
	s_mov_b64 s[14:15], -1
                                        ; implicit-def: $sgpr8
.LBB103_132:
	v_mov_b32_e32 v57, s8
	s_and_saveexec_b64 s[2:3], s[14:15]
; %bb.133:
	v_mov_b32_e32 v22, 0x10000
	v_cndmask_b32_e64 v22, 0, v22, s[12:13]
	v_or_b32_sdwa v57, v22, v54 dst_sel:DWORD dst_unused:UNUSED_PAD src0_sel:DWORD src1_sel:WORD_0
; %bb.134:
	s_or_b64 exec, exec, s[2:3]
	s_cmp_lg_u32 s6, 0
	v_lshlrev_b32_e32 v56, 16, v50
	v_lshlrev_b32_e32 v55, 16, v51
	;; [unrolled: 1-line block ×3, first 2 shown]
	s_waitcnt lgkmcnt(14)
	v_lshlrev_b32_e32 v53, 16, v20
	v_lshlrev_b32_e32 v52, 16, v19
	;; [unrolled: 1-line block ×21, first 2 shown]
	v_mbcnt_lo_u32_b32 v58, -1, 0
	s_waitcnt lgkmcnt(0)
	; wave barrier
	s_waitcnt lgkmcnt(0)
	s_cbranch_scc0 .LBB103_217
; %bb.135:
	s_mov_b32 s7, 0x10000
	v_cmp_lt_f32_e32 vcc, v56, v55
	v_cndmask_b32_e32 v22, v50, v51, vcc
	v_cmp_gt_u32_e64 s[2:3], s7, v51
	v_cndmask_b32_e64 v22, v51, v22, s[2:3]
	v_lshlrev_b32_e32 v23, 16, v22
	v_cmp_lt_f32_e32 vcc, v23, v54
	v_cndmask_b32_e32 v22, v22, v21, vcc
	v_cmp_gt_u32_e64 s[52:53], s7, v21
	v_cndmask_b32_e64 v22, v21, v22, s[52:53]
	v_lshlrev_b32_e32 v23, 16, v22
	;; [unrolled: 5-line block ×22, first 2 shown]
	v_cmp_lt_f32_e32 vcc, v23, v59
	v_cndmask_b32_e32 v22, v22, v57, vcc
	v_cmp_gt_u32_e32 vcc, s7, v57
	v_cndmask_b32_e32 v23, v57, v22, vcc
	v_or3_b32 v22, v57, v17, v16
	v_or3_b32 v22, v22, v15, v14
	;; [unrolled: 1-line block ×11, first 2 shown]
	v_and_b32_e32 v22, 0x10000, v22
	v_and_b32_e32 v24, 0x10000, v50
	v_mov_b32_e32 v25, 0x10000
	v_cmp_ne_u32_e32 vcc, 0, v22
	v_cndmask_b32_e32 v24, v24, v25, vcc
	v_mbcnt_hi_u32_b32 v25, -1, v58
	v_and_b32_e32 v28, 15, v25
	v_or_b32_sdwa v27, v24, v23 dst_sel:DWORD dst_unused:UNUSED_PAD src0_sel:DWORD src1_sel:WORD_0
	v_lshrrev_b32_e32 v22, 16, v24
	v_cmp_ne_u32_e32 vcc, 0, v28
	v_mov_b32_dpp v26, v27 row_shr:1 row_mask:0xf bank_mask:0xf
	s_and_saveexec_b64 s[50:51], vcc
	s_cbranch_execz .LBB103_137
; %bb.136:
	v_and_b32_e32 v22, 0x10000, v24
	v_mov_b32_e32 v27, 1
	v_and_b32_sdwa v27, v26, v27 dst_sel:DWORD dst_unused:UNUSED_PAD src0_sel:WORD_1 src1_sel:DWORD
	v_cmp_ne_u32_e32 vcc, 0, v22
	v_cndmask_b32_e64 v22, v27, 1, vcc
	v_mov_b32_e32 v27, 16
	v_lshlrev_b32_sdwa v27, v27, v23 dst_sel:DWORD dst_unused:UNUSED_PAD src0_sel:DWORD src1_sel:WORD_0
	v_lshlrev_b32_e32 v29, 16, v26
	v_cmp_lt_f32_e32 vcc, v29, v27
	v_cndmask_b32_e32 v26, v26, v23, vcc
	v_cmp_eq_u32_e32 vcc, 0, v24
	v_cndmask_b32_e32 v23, v23, v26, vcc
	v_lshlrev_b32_e32 v24, 16, v22
	v_or_b32_sdwa v27, v24, v23 dst_sel:DWORD dst_unused:UNUSED_PAD src0_sel:DWORD src1_sel:WORD_0
.LBB103_137:
	s_or_b64 exec, exec, s[50:51]
	v_lshrrev_b32_e32 v26, 16, v27
	v_mov_b32_dpp v29, v27 row_shr:2 row_mask:0xf bank_mask:0xf
	v_cmp_lt_u32_e32 vcc, 1, v28
	v_mov_b32_e32 v24, v27
	s_and_saveexec_b64 s[50:51], vcc
	s_cbranch_execz .LBB103_139
; %bb.138:
	v_and_b32_e32 v22, 0x10000, v27
	v_mov_b32_e32 v23, 1
	v_and_b32_sdwa v23, v29, v23 dst_sel:DWORD dst_unused:UNUSED_PAD src0_sel:WORD_1 src1_sel:DWORD
	v_cmp_ne_u32_e32 vcc, 0, v22
	v_cndmask_b32_e64 v22, v23, 1, vcc
	v_lshlrev_b32_e32 v23, 16, v27
	v_lshlrev_b32_e32 v24, 16, v29
	v_cmp_lt_f32_e32 vcc, v24, v23
	v_cndmask_b32_e32 v23, v29, v27, vcc
	v_cmp_gt_u32_e32 vcc, s7, v27
	v_cndmask_b32_e32 v23, v27, v23, vcc
	v_lshlrev_b32_e32 v24, 16, v22
	v_or_b32_sdwa v27, v24, v23 dst_sel:DWORD dst_unused:UNUSED_PAD src0_sel:DWORD src1_sel:WORD_0
	v_mov_b32_e32 v24, v23
	v_mov_b32_e32 v26, v22
.LBB103_139:
	s_or_b64 exec, exec, s[50:51]
	v_mov_b32_dpp v29, v27 row_shr:4 row_mask:0xf bank_mask:0xf
	v_cmp_lt_u32_e32 vcc, 3, v28
	s_and_saveexec_b64 s[50:51], vcc
	s_cbranch_execz .LBB103_141
; %bb.140:
	v_and_b32_e32 v22, 1, v26
	v_mov_b32_e32 v23, 1
	v_and_b32_sdwa v23, v29, v23 dst_sel:DWORD dst_unused:UNUSED_PAD src0_sel:WORD_1 src1_sel:DWORD
	v_cmp_eq_u32_e32 vcc, 1, v22
	v_cndmask_b32_e64 v22, v23, 1, vcc
	v_lshlrev_b32_e32 v23, 16, v29
	v_lshlrev_b32_e32 v27, 16, v24
	v_cmp_lt_f32_e32 vcc, v23, v27
	v_cndmask_b32_e32 v23, v29, v24, vcc
	v_cmp_eq_u16_e32 vcc, 0, v26
	v_cndmask_b32_e32 v23, v24, v23, vcc
	v_lshlrev_b32_e32 v24, 16, v22
	v_or_b32_sdwa v27, v24, v23 dst_sel:DWORD dst_unused:UNUSED_PAD src0_sel:DWORD src1_sel:WORD_0
	v_mov_b32_e32 v24, v23
	v_mov_b32_e32 v26, v22
.LBB103_141:
	s_or_b64 exec, exec, s[50:51]
	v_mov_b32_dpp v29, v27 row_shr:8 row_mask:0xf bank_mask:0xf
	v_cmp_lt_u32_e32 vcc, 7, v28
	s_and_saveexec_b64 s[50:51], vcc
	s_cbranch_execz .LBB103_143
; %bb.142:
	v_and_b32_e32 v22, 1, v26
	v_mov_b32_e32 v23, 1
	v_and_b32_sdwa v23, v29, v23 dst_sel:DWORD dst_unused:UNUSED_PAD src0_sel:WORD_1 src1_sel:DWORD
	v_cmp_eq_u32_e32 vcc, 1, v22
	v_cndmask_b32_e64 v22, v23, 1, vcc
	v_lshlrev_b32_e32 v23, 16, v29
	v_lshlrev_b32_e32 v27, 16, v24
	v_cmp_lt_f32_e32 vcc, v23, v27
	v_cndmask_b32_e32 v23, v29, v24, vcc
	v_cmp_eq_u16_e32 vcc, 0, v26
	v_cndmask_b32_e32 v23, v24, v23, vcc
	v_lshlrev_b32_e32 v24, 16, v22
	v_or_b32_sdwa v27, v24, v23 dst_sel:DWORD dst_unused:UNUSED_PAD src0_sel:DWORD src1_sel:WORD_0
	v_mov_b32_e32 v24, v23
	v_mov_b32_e32 v26, v22
.LBB103_143:
	s_or_b64 exec, exec, s[50:51]
	v_and_b32_e32 v29, 16, v25
	v_mov_b32_dpp v28, v27 row_bcast:15 row_mask:0xf bank_mask:0xf
	v_cmp_ne_u32_e32 vcc, 0, v29
	s_and_saveexec_b64 s[50:51], vcc
	s_cbranch_execz .LBB103_145
; %bb.144:
	v_and_b32_e32 v22, 1, v26
	v_mov_b32_e32 v23, 1
	v_and_b32_sdwa v23, v28, v23 dst_sel:DWORD dst_unused:UNUSED_PAD src0_sel:WORD_1 src1_sel:DWORD
	v_cmp_eq_u32_e32 vcc, 1, v22
	v_cndmask_b32_e64 v22, v23, 1, vcc
	v_lshlrev_b32_e32 v23, 16, v28
	v_lshlrev_b32_e32 v27, 16, v24
	v_cmp_lt_f32_e32 vcc, v23, v27
	v_cndmask_b32_e32 v23, v28, v24, vcc
	v_cmp_eq_u16_e32 vcc, 0, v26
	v_cndmask_b32_e32 v23, v24, v23, vcc
	v_lshlrev_b32_e32 v24, 16, v22
	v_or_b32_sdwa v27, v24, v23 dst_sel:DWORD dst_unused:UNUSED_PAD src0_sel:DWORD src1_sel:WORD_0
	v_mov_b32_e32 v24, v23
	v_mov_b32_e32 v26, v22
.LBB103_145:
	s_or_b64 exec, exec, s[50:51]
	v_mov_b32_dpp v27, v27 row_bcast:31 row_mask:0xf bank_mask:0xf
	v_cmp_lt_u32_e32 vcc, 31, v25
	s_and_saveexec_b64 s[50:51], vcc
	s_cbranch_execz .LBB103_147
; %bb.146:
	v_and_b32_e32 v22, 1, v26
	v_mov_b32_e32 v23, 1
	v_and_b32_sdwa v23, v27, v23 dst_sel:DWORD dst_unused:UNUSED_PAD src0_sel:WORD_1 src1_sel:DWORD
	v_cmp_eq_u32_e32 vcc, 1, v22
	v_cndmask_b32_e64 v22, v23, 1, vcc
	v_lshlrev_b32_e32 v23, 16, v27
	v_lshlrev_b32_e32 v28, 16, v24
	v_cmp_lt_f32_e32 vcc, v23, v28
	v_cndmask_b32_e32 v23, v27, v24, vcc
	v_cmp_eq_u16_e32 vcc, 0, v26
	v_cndmask_b32_e32 v23, v24, v23, vcc
	v_mov_b32_e32 v26, v22
	v_mov_b32_e32 v24, v23
.LBB103_147:
	s_or_b64 exec, exec, s[50:51]
	v_cmp_eq_u32_e32 vcc, 63, v0
	s_and_saveexec_b64 s[50:51], vcc
	s_cbranch_execz .LBB103_149
; %bb.148:
	v_mov_b32_e32 v27, 0
	ds_write_b16 v27, v24
	ds_write_b8 v27, v26 offset:2
.LBB103_149:
	s_or_b64 exec, exec, s[50:51]
	v_lshlrev_b32_e32 v22, 16, v22
	v_or_b32_sdwa v22, v22, v23 dst_sel:DWORD dst_unused:UNUSED_PAD src0_sel:DWORD src1_sel:WORD_0
	v_add_u32_e32 v23, -1, v25
	v_and_b32_e32 v24, 64, v25
	v_cmp_lt_i32_e32 vcc, v23, v24
	v_cndmask_b32_e32 v23, v23, v25, vcc
	v_lshlrev_b32_e32 v23, 2, v23
	ds_bpermute_b32 v60, v23, v22
	v_cmp_gt_u32_e32 vcc, 64, v0
	s_waitcnt lgkmcnt(0)
	; wave barrier
	s_waitcnt lgkmcnt(0)
	s_and_saveexec_b64 s[54:55], vcc
	s_cbranch_execz .LBB103_192
; %bb.150:
	v_mov_b32_e32 v29, 0
	ds_read_b32 v22, v29
	s_mov_b32 s63, 0
	v_cmp_eq_u32_e64 s[50:51], 0, v25
	s_and_saveexec_b64 s[60:61], s[50:51]
	s_cbranch_execz .LBB103_152
; %bb.151:
	s_add_i32 s62, s6, 64
	s_lshl_b64 s[62:63], s[62:63], 3
	s_add_u32 s62, s56, s62
	s_addc_u32 s63, s57, s63
	v_mov_b32_e32 v23, 1
	s_waitcnt lgkmcnt(0)
	global_store_dwordx2 v29, v[22:23], s[62:63]
.LBB103_152:
	s_or_b64 exec, exec, s[60:61]
	v_xad_u32 v24, v25, -1, s6
	v_add_u32_e32 v28, 64, v24
	v_lshlrev_b64 v[26:27], 3, v[28:29]
	v_mov_b32_e32 v23, s57
	v_add_co_u32_e32 v30, vcc, s56, v26
	v_addc_co_u32_e32 v31, vcc, v23, v27, vcc
	global_load_dwordx2 v[26:27], v[30:31], off glc
	s_waitcnt vmcnt(0)
	v_cmp_eq_u16_sdwa s[62:63], v27, v29 src0_sel:BYTE_0 src1_sel:DWORD
	s_and_saveexec_b64 s[60:61], s[62:63]
	s_cbranch_execz .LBB103_156
; %bb.153:
	s_mov_b64 s[62:63], 0
	v_mov_b32_e32 v23, 0
.LBB103_154:                            ; =>This Inner Loop Header: Depth=1
	global_load_dwordx2 v[26:27], v[30:31], off glc
	s_waitcnt vmcnt(0)
	v_cmp_ne_u16_sdwa s[68:69], v27, v23 src0_sel:BYTE_0 src1_sel:DWORD
	s_or_b64 s[62:63], s[68:69], s[62:63]
	s_andn2_b64 exec, exec, s[62:63]
	s_cbranch_execnz .LBB103_154
; %bb.155:
	s_or_b64 exec, exec, s[62:63]
.LBB103_156:
	s_or_b64 exec, exec, s[60:61]
	v_mov_b32_e32 v23, 2
	v_cmp_eq_u16_sdwa s[60:61], v27, v23 src0_sel:BYTE_0 src1_sel:DWORD
	v_lshlrev_b64 v[28:29], v25, -1
	v_and_b32_e32 v23, s61, v29
	v_or_b32_e32 v23, 0x80000000, v23
	v_and_b32_e32 v30, s60, v28
	v_ffbl_b32_e32 v23, v23
	v_and_b32_e32 v31, 63, v25
	v_add_u32_e32 v23, 32, v23
	v_ffbl_b32_e32 v30, v30
	v_cmp_ne_u32_e32 vcc, 63, v31
	v_min_u32_e32 v30, v30, v23
	v_addc_co_u32_e32 v23, vcc, 0, v25, vcc
	v_and_b32_e32 v72, 0xffffff, v26
	v_lshlrev_b32_e32 v23, 2, v23
	ds_bpermute_b32 v62, v23, v72
	v_add_u32_e32 v61, 1, v25
	v_lshrrev_b32_e32 v76, 16, v26
	v_cmp_le_u32_e32 vcc, v61, v30
	v_bfe_u32 v70, v26, 16, 8
	s_and_saveexec_b64 s[60:61], vcc
	s_cbranch_execz .LBB103_158
; %bb.157:
	s_waitcnt lgkmcnt(0)
	v_lshlrev_b32_e32 v64, 16, v62
	v_lshlrev_b32_e32 v65, 16, v26
	v_and_b32_e32 v63, 0xff0000, v26
	v_cmp_lt_f32_e32 vcc, v64, v65
	v_cndmask_b32_e32 v64, v62, v26, vcc
	v_cmp_eq_u32_e32 vcc, 0, v63
	v_cndmask_b32_e32 v26, v26, v64, vcc
	v_and_b32_e32 v63, 0x10000, v63
	v_mov_b32_e32 v64, 1
	v_and_b32_sdwa v62, v62, v64 dst_sel:DWORD dst_unused:UNUSED_PAD src0_sel:WORD_1 src1_sel:DWORD
	v_cmp_ne_u32_e32 vcc, 0, v63
	v_cndmask_b32_e64 v76, v62, 1, vcc
	v_lshlrev_b32_e32 v62, 16, v76
	v_or_b32_sdwa v72, v62, v26 dst_sel:DWORD dst_unused:UNUSED_PAD src0_sel:DWORD src1_sel:WORD_0
	v_mov_b32_e32 v70, v76
.LBB103_158:
	s_or_b64 exec, exec, s[60:61]
	v_cmp_gt_u32_e32 vcc, 62, v31
	s_waitcnt lgkmcnt(0)
	v_cndmask_b32_e64 v62, 0, 1, vcc
	v_lshlrev_b32_e32 v62, 1, v62
	v_add_lshl_u32 v62, v62, v25, 2
	ds_bpermute_b32 v64, v62, v72
	v_add_u32_e32 v63, 2, v25
	v_cmp_le_u32_e32 vcc, v63, v30
	s_and_saveexec_b64 s[60:61], vcc
	s_cbranch_execz .LBB103_160
; %bb.159:
	s_waitcnt lgkmcnt(0)
	v_lshlrev_b32_e32 v65, 16, v64
	v_lshlrev_b32_e32 v66, 16, v26
	v_cmp_lt_f32_e32 vcc, v65, v66
	v_cndmask_b32_e32 v65, v64, v26, vcc
	v_cmp_eq_u16_e32 vcc, 0, v70
	v_cndmask_b32_e32 v26, v26, v65, vcc
	v_and_b32_e32 v65, 1, v70
	v_mov_b32_e32 v66, 1
	v_and_b32_sdwa v64, v64, v66 dst_sel:DWORD dst_unused:UNUSED_PAD src0_sel:WORD_1 src1_sel:DWORD
	v_cmp_eq_u32_e32 vcc, 1, v65
	v_cndmask_b32_e64 v76, v64, 1, vcc
	v_lshlrev_b32_e32 v64, 16, v76
	v_or_b32_sdwa v72, v64, v26 dst_sel:DWORD dst_unused:UNUSED_PAD src0_sel:DWORD src1_sel:WORD_0
	v_mov_b32_e32 v70, v76
.LBB103_160:
	s_or_b64 exec, exec, s[60:61]
	v_cmp_gt_u32_e32 vcc, 60, v31
	s_waitcnt lgkmcnt(0)
	v_cndmask_b32_e64 v64, 0, 1, vcc
	v_lshlrev_b32_e32 v64, 2, v64
	v_add_lshl_u32 v64, v64, v25, 2
	ds_bpermute_b32 v66, v64, v72
	v_add_u32_e32 v65, 4, v25
	v_cmp_le_u32_e32 vcc, v65, v30
	s_and_saveexec_b64 s[60:61], vcc
	s_cbranch_execz .LBB103_162
; %bb.161:
	s_waitcnt lgkmcnt(0)
	v_lshlrev_b32_e32 v67, 16, v66
	v_lshlrev_b32_e32 v68, 16, v26
	v_cmp_lt_f32_e32 vcc, v67, v68
	v_cndmask_b32_e32 v67, v66, v26, vcc
	v_cmp_eq_u16_e32 vcc, 0, v70
	v_cndmask_b32_e32 v26, v26, v67, vcc
	v_and_b32_e32 v67, 1, v70
	v_mov_b32_e32 v68, 1
	v_and_b32_sdwa v66, v66, v68 dst_sel:DWORD dst_unused:UNUSED_PAD src0_sel:WORD_1 src1_sel:DWORD
	v_cmp_eq_u32_e32 vcc, 1, v67
	v_cndmask_b32_e64 v76, v66, 1, vcc
	v_lshlrev_b32_e32 v66, 16, v76
	v_or_b32_sdwa v72, v66, v26 dst_sel:DWORD dst_unused:UNUSED_PAD src0_sel:DWORD src1_sel:WORD_0
	v_mov_b32_e32 v70, v76
.LBB103_162:
	;; [unrolled: 28-line block ×4, first 2 shown]
	s_or_b64 exec, exec, s[60:61]
	v_cmp_gt_u32_e32 vcc, 32, v31
	v_cndmask_b32_e64 v31, 0, 1, vcc
	v_lshlrev_b32_e32 v31, 5, v31
	s_waitcnt lgkmcnt(0)
	v_add_lshl_u32 v71, v31, v25, 2
	ds_bpermute_b32 v31, v71, v72
	v_add_u32_e32 v73, 32, v25
	v_cmp_le_u32_e32 vcc, v73, v30
	s_and_saveexec_b64 s[60:61], vcc
	s_cbranch_execz .LBB103_168
; %bb.167:
	s_waitcnt lgkmcnt(0)
	v_lshlrev_b32_e32 v25, 16, v31
	v_lshlrev_b32_e32 v30, 16, v26
	v_cmp_lt_f32_e32 vcc, v25, v30
	v_cndmask_b32_e32 v25, v31, v26, vcc
	v_cmp_eq_u16_e32 vcc, 0, v70
	v_cndmask_b32_e32 v26, v26, v25, vcc
	v_and_b32_e32 v25, 1, v70
	v_mov_b32_e32 v30, 1
	v_and_b32_sdwa v30, v31, v30 dst_sel:DWORD dst_unused:UNUSED_PAD src0_sel:WORD_1 src1_sel:DWORD
	v_cmp_eq_u32_e32 vcc, 1, v25
	v_cndmask_b32_e64 v76, v30, 1, vcc
.LBB103_168:
	s_or_b64 exec, exec, s[60:61]
	v_mov_b32_e32 v25, 0
	v_mov_b32_e32 v74, 2
	;; [unrolled: 1-line block ×3, first 2 shown]
	s_branch .LBB103_170
.LBB103_169:                            ;   in Loop: Header=BB103_170 Depth=1
	s_or_b64 exec, exec, s[60:61]
	v_lshlrev_b32_e32 v30, 16, v26
	v_lshlrev_b32_e32 v76, 16, v72
	v_cmp_lt_f32_e32 vcc, v30, v76
	v_cndmask_b32_e32 v26, v26, v72, vcc
	v_cmp_eq_u16_sdwa vcc, v70, v25 src0_sel:BYTE_0 src1_sel:DWORD
	v_and_b32_e32 v30, 1, v70
	v_cndmask_b32_e32 v26, v72, v26, vcc
	v_and_b32_e32 v31, 1, v31
	v_cmp_eq_u32_e32 vcc, 1, v30
	v_subrev_u32_e32 v24, 64, v24
	v_cndmask_b32_e64 v76, v31, 1, vcc
.LBB103_170:                            ; =>This Loop Header: Depth=1
                                        ;     Child Loop BB103_173 Depth 2
	v_cmp_ne_u16_sdwa s[60:61], v27, v74 src0_sel:BYTE_0 src1_sel:DWORD
	v_cndmask_b32_e64 v27, 0, 1, s[60:61]
	;;#ASMSTART
	;;#ASMEND
	v_cmp_ne_u32_e32 vcc, 0, v27
	v_mov_b32_e32 v70, v76
	s_cmp_lg_u64 vcc, exec
	v_mov_b32_e32 v72, v26
	s_cbranch_scc1 .LBB103_187
; %bb.171:                              ;   in Loop: Header=BB103_170 Depth=1
	v_lshlrev_b64 v[26:27], 3, v[24:25]
	s_waitcnt lgkmcnt(0)
	v_mov_b32_e32 v31, s57
	v_add_co_u32_e32 v30, vcc, s56, v26
	v_addc_co_u32_e32 v31, vcc, v31, v27, vcc
	global_load_dwordx2 v[26:27], v[30:31], off glc
	s_waitcnt vmcnt(0)
	v_cmp_eq_u16_sdwa s[62:63], v27, v25 src0_sel:BYTE_0 src1_sel:DWORD
	s_and_saveexec_b64 s[60:61], s[62:63]
	s_cbranch_execz .LBB103_175
; %bb.172:                              ;   in Loop: Header=BB103_170 Depth=1
	s_mov_b64 s[62:63], 0
.LBB103_173:                            ;   Parent Loop BB103_170 Depth=1
                                        ; =>  This Inner Loop Header: Depth=2
	global_load_dwordx2 v[26:27], v[30:31], off glc
	s_waitcnt vmcnt(0)
	v_cmp_ne_u16_sdwa s[68:69], v27, v25 src0_sel:BYTE_0 src1_sel:DWORD
	s_or_b64 s[62:63], s[68:69], s[62:63]
	s_andn2_b64 exec, exec, s[62:63]
	s_cbranch_execnz .LBB103_173
; %bb.174:                              ;   in Loop: Header=BB103_170 Depth=1
	s_or_b64 exec, exec, s[62:63]
.LBB103_175:                            ;   in Loop: Header=BB103_170 Depth=1
	s_or_b64 exec, exec, s[60:61]
	v_cmp_eq_u16_sdwa s[60:61], v27, v74 src0_sel:BYTE_0 src1_sel:DWORD
	v_and_b32_e32 v30, s61, v29
	v_and_b32_e32 v77, 0xffffff, v26
	v_or_b32_e32 v30, 0x80000000, v30
	ds_bpermute_b32 v78, v23, v77
	v_and_b32_e32 v31, s60, v28
	v_ffbl_b32_e32 v30, v30
	v_add_u32_e32 v30, 32, v30
	v_ffbl_b32_e32 v31, v31
	v_min_u32_e32 v30, v31, v30
	v_lshrrev_b32_e32 v31, 16, v26
	v_cmp_le_u32_e32 vcc, v61, v30
	v_bfe_u32 v76, v26, 16, 8
	s_and_saveexec_b64 s[60:61], vcc
	s_cbranch_execz .LBB103_177
; %bb.176:                              ;   in Loop: Header=BB103_170 Depth=1
	s_waitcnt lgkmcnt(0)
	v_lshlrev_b32_e32 v76, 16, v78
	v_lshlrev_b32_e32 v77, 16, v26
	v_and_b32_e32 v31, 0xff0000, v26
	v_cmp_lt_f32_e32 vcc, v76, v77
	v_cndmask_b32_e32 v76, v78, v26, vcc
	v_cmp_eq_u32_e32 vcc, 0, v31
	v_and_b32_e32 v31, 0x10000, v31
	v_cndmask_b32_e32 v26, v26, v76, vcc
	v_and_b32_sdwa v76, v78, v75 dst_sel:DWORD dst_unused:UNUSED_PAD src0_sel:WORD_1 src1_sel:DWORD
	v_cmp_ne_u32_e32 vcc, 0, v31
	v_cndmask_b32_e64 v31, v76, 1, vcc
	v_lshlrev_b32_e32 v76, 16, v31
	v_or_b32_sdwa v77, v76, v26 dst_sel:DWORD dst_unused:UNUSED_PAD src0_sel:DWORD src1_sel:WORD_0
	v_mov_b32_e32 v76, v31
.LBB103_177:                            ;   in Loop: Header=BB103_170 Depth=1
	s_or_b64 exec, exec, s[60:61]
	s_waitcnt lgkmcnt(0)
	ds_bpermute_b32 v78, v62, v77
	v_cmp_le_u32_e32 vcc, v63, v30
	s_and_saveexec_b64 s[60:61], vcc
	s_cbranch_execz .LBB103_179
; %bb.178:                              ;   in Loop: Header=BB103_170 Depth=1
	s_waitcnt lgkmcnt(0)
	v_lshlrev_b32_e32 v31, 16, v78
	v_lshlrev_b32_e32 v77, 16, v26
	v_cmp_lt_f32_e32 vcc, v31, v77
	v_cndmask_b32_e32 v31, v78, v26, vcc
	v_cmp_eq_u16_e32 vcc, 0, v76
	v_cndmask_b32_e32 v26, v26, v31, vcc
	v_and_b32_e32 v31, 1, v76
	v_and_b32_sdwa v76, v78, v75 dst_sel:DWORD dst_unused:UNUSED_PAD src0_sel:WORD_1 src1_sel:DWORD
	v_cmp_eq_u32_e32 vcc, 1, v31
	v_cndmask_b32_e64 v31, v76, 1, vcc
	v_lshlrev_b32_e32 v76, 16, v31
	v_or_b32_sdwa v77, v76, v26 dst_sel:DWORD dst_unused:UNUSED_PAD src0_sel:DWORD src1_sel:WORD_0
	v_mov_b32_e32 v76, v31
.LBB103_179:                            ;   in Loop: Header=BB103_170 Depth=1
	s_or_b64 exec, exec, s[60:61]
	s_waitcnt lgkmcnt(0)
	ds_bpermute_b32 v78, v64, v77
	v_cmp_le_u32_e32 vcc, v65, v30
	s_and_saveexec_b64 s[60:61], vcc
	s_cbranch_execz .LBB103_181
; %bb.180:                              ;   in Loop: Header=BB103_170 Depth=1
	s_waitcnt lgkmcnt(0)
	v_lshlrev_b32_e32 v31, 16, v78
	v_lshlrev_b32_e32 v77, 16, v26
	v_cmp_lt_f32_e32 vcc, v31, v77
	v_cndmask_b32_e32 v31, v78, v26, vcc
	v_cmp_eq_u16_e32 vcc, 0, v76
	v_cndmask_b32_e32 v26, v26, v31, vcc
	v_and_b32_e32 v31, 1, v76
	v_and_b32_sdwa v76, v78, v75 dst_sel:DWORD dst_unused:UNUSED_PAD src0_sel:WORD_1 src1_sel:DWORD
	v_cmp_eq_u32_e32 vcc, 1, v31
	v_cndmask_b32_e64 v31, v76, 1, vcc
	v_lshlrev_b32_e32 v76, 16, v31
	v_or_b32_sdwa v77, v76, v26 dst_sel:DWORD dst_unused:UNUSED_PAD src0_sel:DWORD src1_sel:WORD_0
	v_mov_b32_e32 v76, v31
.LBB103_181:                            ;   in Loop: Header=BB103_170 Depth=1
	;; [unrolled: 22-line block ×4, first 2 shown]
	s_or_b64 exec, exec, s[60:61]
	ds_bpermute_b32 v77, v71, v77
	v_cmp_le_u32_e32 vcc, v73, v30
	s_and_saveexec_b64 s[60:61], vcc
	s_cbranch_execz .LBB103_169
; %bb.186:                              ;   in Loop: Header=BB103_170 Depth=1
	s_waitcnt lgkmcnt(0)
	v_lshlrev_b32_e32 v30, 16, v77
	v_lshlrev_b32_e32 v31, 16, v26
	v_cmp_lt_f32_e32 vcc, v30, v31
	v_cndmask_b32_e32 v30, v77, v26, vcc
	v_cmp_eq_u16_e32 vcc, 0, v76
	v_cndmask_b32_e32 v26, v26, v30, vcc
	v_and_b32_e32 v30, 1, v76
	v_lshrrev_b32_e32 v31, 16, v77
	v_cmp_eq_u32_e32 vcc, 1, v30
	v_cndmask_b32_e64 v31, v31, 1, vcc
	s_branch .LBB103_169
.LBB103_187:                            ;   in Loop: Header=BB103_170 Depth=1
                                        ; implicit-def: $vgpr76
                                        ; implicit-def: $vgpr26
	s_cbranch_execz .LBB103_170
; %bb.188:
	s_and_saveexec_b64 s[60:61], s[50:51]
	s_cbranch_execz .LBB103_190
; %bb.189:
	v_lshlrev_b32_e32 v24, 16, v22
	v_lshlrev_b32_e32 v25, 16, v72
	v_and_b32_e32 v23, 0xff0000, v22
	v_cmp_lt_f32_e32 vcc, v25, v24
	v_cndmask_b32_e32 v24, v72, v22, vcc
	v_cmp_eq_u32_e32 vcc, 0, v23
	s_mov_b32 s7, 0
	v_cndmask_b32_e32 v23, v22, v24, vcc
	v_and_b32_e32 v22, 0x10000, v22
	v_mov_b32_e32 v24, 1
	s_add_i32 s6, s6, 64
	v_and_b32_sdwa v24, v70, v24 dst_sel:WORD_1 dst_unused:UNUSED_PAD src0_sel:DWORD src1_sel:DWORD
	v_and_b32_e32 v25, 0xffff, v23
	s_lshl_b64 s[6:7], s[6:7], 3
	v_mov_b32_e32 v23, 0x10000
	v_cmp_eq_u32_e32 vcc, 0, v22
	s_add_u32 s6, s56, s6
	v_cndmask_b32_e32 v22, v23, v24, vcc
	s_addc_u32 s7, s57, s7
	v_mov_b32_e32 v26, 0
	v_mov_b32_e32 v23, 2
	v_or_b32_e32 v22, v22, v25
	global_store_dwordx2 v26, v[22:23], s[6:7]
.LBB103_190:
	s_or_b64 exec, exec, s[60:61]
	v_cmp_eq_u32_e32 vcc, 0, v0
	s_and_b64 exec, exec, vcc
	s_cbranch_execz .LBB103_192
; %bb.191:
	v_mov_b32_e32 v22, 0
	ds_write_b16 v22, v72
	ds_write_b8 v22, v70 offset:2
.LBB103_192:
	s_or_b64 exec, exec, s[54:55]
	v_mov_b32_e32 v22, 0
	s_waitcnt lgkmcnt(0)
	; wave barrier
	s_waitcnt lgkmcnt(0)
	ds_read_b32 v61, v22
	v_cmp_ne_u32_e32 vcc, 0, v0
	s_and_saveexec_b64 s[6:7], vcc
	s_cbranch_execz .LBB103_194
; %bb.193:
	v_lshlrev_b32_e32 v23, 16, v60
	s_waitcnt lgkmcnt(0)
	v_lshlrev_b32_e32 v24, 16, v61
	v_and_b32_e32 v22, 0xff0000, v60
	v_cmp_lt_f32_e32 vcc, v24, v23
	v_cndmask_b32_e32 v23, v61, v60, vcc
	v_cmp_eq_u32_e32 vcc, 0, v22
	v_cndmask_b32_e32 v61, v60, v23, vcc
.LBB103_194:
	s_or_b64 exec, exec, s[6:7]
	s_waitcnt lgkmcnt(0)
	v_lshlrev_b32_e32 v23, 16, v61
	v_and_b32_e32 v22, 0xff0000, v50
	v_cmp_gt_f32_e32 vcc, v56, v23
	v_cndmask_b32_e32 v23, v61, v50, vcc
	v_cmp_eq_u32_e32 vcc, 0, v22
	v_cndmask_b32_e32 v22, v50, v23, vcc
	v_lshlrev_b32_e32 v23, 16, v22
	v_cmp_gt_f32_e32 vcc, v55, v23
	v_cndmask_b32_e32 v23, v22, v51, vcc
	v_cndmask_b32_e64 v23, v51, v23, s[2:3]
	v_lshlrev_b32_e32 v24, 16, v23
	v_cmp_gt_f32_e32 vcc, v54, v24
	v_cndmask_b32_e32 v24, v23, v21, vcc
	v_cndmask_b32_e64 v24, v21, v24, s[52:53]
	;; [unrolled: 4-line block ×22, first 2 shown]
	s_branch .LBB103_237
.LBB103_195:
	s_or_b64 exec, exec, s[60:61]
                                        ; implicit-def: $vgpr6
	s_and_saveexec_b64 s[2:3], s[54:55]
	s_cbranch_execz .LBB103_53
.LBB103_196:
	global_load_ushort v6, v[2:3], off offset:128
	s_or_b64 exec, exec, s[2:3]
                                        ; implicit-def: $vgpr7
	s_and_saveexec_b64 s[2:3], s[8:9]
	s_cbranch_execnz .LBB103_54
.LBB103_197:
	s_or_b64 exec, exec, s[2:3]
                                        ; implicit-def: $vgpr8
	s_and_saveexec_b64 s[2:3], s[10:11]
	s_cbranch_execz .LBB103_55
.LBB103_198:
	global_load_ushort v8, v[2:3], off offset:384
	s_or_b64 exec, exec, s[2:3]
                                        ; implicit-def: $vgpr9
	s_and_saveexec_b64 s[2:3], s[12:13]
	s_cbranch_execnz .LBB103_56
.LBB103_199:
	s_or_b64 exec, exec, s[2:3]
                                        ; implicit-def: $vgpr10
	s_and_saveexec_b64 s[2:3], s[14:15]
	s_cbranch_execz .LBB103_57
.LBB103_200:
	global_load_ushort v10, v[2:3], off offset:640
	s_or_b64 exec, exec, s[2:3]
                                        ; implicit-def: $vgpr11
	s_and_saveexec_b64 s[2:3], s[16:17]
	s_cbranch_execnz .LBB103_58
.LBB103_201:
	s_or_b64 exec, exec, s[2:3]
                                        ; implicit-def: $vgpr12
	s_and_saveexec_b64 s[2:3], s[18:19]
	s_cbranch_execz .LBB103_59
.LBB103_202:
	global_load_ushort v12, v[2:3], off offset:896
	s_or_b64 exec, exec, s[2:3]
                                        ; implicit-def: $vgpr13
	s_and_saveexec_b64 s[2:3], s[20:21]
	s_cbranch_execnz .LBB103_60
.LBB103_203:
	s_or_b64 exec, exec, s[2:3]
                                        ; implicit-def: $vgpr14
	s_and_saveexec_b64 s[2:3], s[22:23]
	s_cbranch_execz .LBB103_61
.LBB103_204:
	global_load_ushort v14, v[2:3], off offset:1152
	s_or_b64 exec, exec, s[2:3]
                                        ; implicit-def: $vgpr15
	s_and_saveexec_b64 s[2:3], s[24:25]
	s_cbranch_execnz .LBB103_62
.LBB103_205:
	s_or_b64 exec, exec, s[2:3]
                                        ; implicit-def: $vgpr16
	s_and_saveexec_b64 s[2:3], s[26:27]
	s_cbranch_execz .LBB103_63
.LBB103_206:
	global_load_ushort v16, v[2:3], off offset:1408
	s_or_b64 exec, exec, s[2:3]
                                        ; implicit-def: $vgpr17
	s_and_saveexec_b64 s[2:3], s[28:29]
	s_cbranch_execnz .LBB103_64
.LBB103_207:
	s_or_b64 exec, exec, s[2:3]
                                        ; implicit-def: $vgpr18
	s_and_saveexec_b64 s[2:3], s[30:31]
	s_cbranch_execz .LBB103_65
.LBB103_208:
	global_load_ushort v18, v[2:3], off offset:1664
	s_or_b64 exec, exec, s[2:3]
                                        ; implicit-def: $vgpr19
	s_and_saveexec_b64 s[2:3], s[34:35]
	s_cbranch_execnz .LBB103_66
.LBB103_209:
	s_or_b64 exec, exec, s[2:3]
                                        ; implicit-def: $vgpr20
	s_and_saveexec_b64 s[2:3], s[36:37]
	s_cbranch_execz .LBB103_67
.LBB103_210:
	global_load_ushort v20, v[2:3], off offset:1920
	s_or_b64 exec, exec, s[2:3]
                                        ; implicit-def: $vgpr21
	s_and_saveexec_b64 s[2:3], s[38:39]
	s_cbranch_execnz .LBB103_68
.LBB103_211:
	s_or_b64 exec, exec, s[2:3]
                                        ; implicit-def: $vgpr47
	s_and_saveexec_b64 s[2:3], s[40:41]
	s_cbranch_execz .LBB103_69
.LBB103_212:
	global_load_ushort v47, v[2:3], off offset:2176
	s_or_b64 exec, exec, s[2:3]
                                        ; implicit-def: $vgpr48
	s_and_saveexec_b64 s[2:3], s[42:43]
	s_cbranch_execnz .LBB103_70
.LBB103_213:
	s_or_b64 exec, exec, s[2:3]
                                        ; implicit-def: $vgpr49
	s_and_saveexec_b64 s[2:3], s[44:45]
	s_cbranch_execz .LBB103_71
.LBB103_214:
	global_load_ushort v49, v[2:3], off offset:2432
	s_or_b64 exec, exec, s[2:3]
                                        ; implicit-def: $vgpr50
	s_and_saveexec_b64 s[2:3], s[46:47]
	s_cbranch_execnz .LBB103_72
.LBB103_215:
	s_or_b64 exec, exec, s[2:3]
                                        ; implicit-def: $vgpr51
	s_and_saveexec_b64 s[2:3], s[48:49]
	s_cbranch_execz .LBB103_73
.LBB103_216:
	global_load_ushort v51, v[2:3], off offset:2688
	s_or_b64 exec, exec, s[2:3]
                                        ; implicit-def: $vgpr54
	s_and_saveexec_b64 s[2:3], s[50:51]
	s_cbranch_execz .LBB103_75
	s_branch .LBB103_74
.LBB103_217:
                                        ; implicit-def: $vgpr61
                                        ; implicit-def: $vgpr22
                                        ; implicit-def: $vgpr23
                                        ; implicit-def: $vgpr24
                                        ; implicit-def: $vgpr25
                                        ; implicit-def: $vgpr26
                                        ; implicit-def: $vgpr27
                                        ; implicit-def: $vgpr29
                                        ; implicit-def: $vgpr28
                                        ; implicit-def: $vgpr30
                                        ; implicit-def: $vgpr31
                                        ; implicit-def: $vgpr60
                                        ; implicit-def: $vgpr62
                                        ; implicit-def: $vgpr63
                                        ; implicit-def: $vgpr64
                                        ; implicit-def: $vgpr66
                                        ; implicit-def: $vgpr65
                                        ; implicit-def: $vgpr67
                                        ; implicit-def: $vgpr68
                                        ; implicit-def: $vgpr69
                                        ; implicit-def: $vgpr70
                                        ; implicit-def: $vgpr71
                                        ; implicit-def: $vgpr72
                                        ; implicit-def: $vgpr73
	s_cbranch_execz .LBB103_237
; %bb.218:
	s_cmp_eq_u64 s[66:67], 0
	v_mov_b32_e32 v61, s76
	s_cbranch_scc1 .LBB103_220
; %bb.219:
	v_mov_b32_e32 v22, 0
	global_load_ushort v61, v22, s[66:67]
.LBB103_220:
	s_mov_b32 s54, 0x10000
	v_cmp_lt_f32_e32 vcc, v56, v55
	v_cndmask_b32_e32 v22, v50, v51, vcc
	v_cmp_gt_u32_e32 vcc, s54, v51
	v_cndmask_b32_e32 v22, v51, v22, vcc
	v_and_b32_e32 v23, 0x10000, v51
	v_cmp_ne_u32_e64 s[48:49], 0, v23
	v_lshlrev_b32_e32 v23, 16, v22
	v_cmp_lt_f32_e64 s[2:3], v23, v54
	v_cndmask_b32_e64 v22, v22, v21, s[2:3]
	v_cmp_gt_u32_e64 s[2:3], s54, v21
	v_cndmask_b32_e64 v22, v21, v22, s[2:3]
	v_lshlrev_b32_e32 v23, 16, v22
	v_cmp_lt_f32_e64 s[6:7], v23, v53
	v_cndmask_b32_e64 v22, v22, v20, s[6:7]
	v_cmp_gt_u32_e64 s[6:7], s54, v20
	v_cndmask_b32_e64 v22, v20, v22, s[6:7]
	;; [unrolled: 5-line block ×3, first 2 shown]
	v_lshlrev_b32_e32 v23, 16, v22
	v_cmp_lt_f32_e64 s[10:11], v23, v49
	v_bfe_u32 v23, v19, 16, 1
	v_mov_b32_e32 v25, 1
	v_lshlrev_b16_e32 v23, 1, v23
	v_and_b32_sdwa v27, v18, v25 dst_sel:DWORD dst_unused:UNUSED_PAD src0_sel:WORD_1 src1_sel:DWORD
	v_or_b32_e32 v23, v27, v23
	v_bfe_u32 v27, v21, 16, 1
	v_and_b32_sdwa v28, v20, v25 dst_sel:DWORD dst_unused:UNUSED_PAD src0_sel:WORD_1 src1_sel:DWORD
	v_cndmask_b32_e64 v22, v22, v18, s[10:11]
	v_cmp_gt_u32_e64 s[10:11], s54, v18
	v_lshlrev_b16_e32 v27, 3, v27
	v_lshlrev_b16_e32 v28, 2, v28
	v_cndmask_b32_e64 v22, v18, v22, s[10:11]
	v_or_b32_e32 v27, v27, v28
	v_or_b32_e32 v27, v23, v27
	v_lshlrev_b32_e32 v23, 16, v22
	v_cmp_lt_f32_e64 s[12:13], v23, v48
	v_cndmask_b32_e64 v22, v22, v1, s[12:13]
	v_cmp_gt_u32_e64 s[12:13], s54, v1
	v_cndmask_b32_e64 v22, v1, v22, s[12:13]
	v_and_b32_e32 v23, 0x10000, v1
	v_cmp_ne_u32_e64 s[50:51], 0, v23
	v_lshlrev_b32_e32 v23, 16, v22
	v_cmp_lt_f32_e64 s[14:15], v23, v47
	v_cndmask_b32_e64 v22, v22, v9, s[14:15]
	v_cmp_gt_u32_e64 s[14:15], s54, v9
	v_cndmask_b32_e64 v22, v9, v22, s[14:15]
	v_lshlrev_b32_e32 v23, 16, v22
	v_cmp_lt_f32_e64 s[16:17], v23, v46
	v_cndmask_b32_e64 v22, v22, v8, s[16:17]
	v_cmp_gt_u32_e64 s[16:17], s54, v8
	v_cndmask_b32_e64 v22, v8, v22, s[16:17]
	;; [unrolled: 5-line block ×17, first 2 shown]
	v_and_b32_e32 v22, 0x10000, v57
	v_cmp_ne_u32_e64 s[52:53], 0, v22
	v_or_b32_e32 v22, v16, v8
	v_or_b32_e32 v28, v17, v9
	;; [unrolled: 1-line block ×7, first 2 shown]
	v_bfe_u32 v30, v30, 16, 1
	v_bfe_u32 v28, v28, 16, 1
	v_and_b32_sdwa v22, v22, v25 dst_sel:DWORD dst_unused:UNUSED_PAD src0_sel:WORD_1 src1_sel:DWORD
	v_or_b32_e32 v59, v10, v2
	v_bfe_u32 v60, v60, 16, 1
	v_bfe_u32 v57, v57, 16, 1
	v_and_b32_sdwa v31, v31, v25 dst_sel:DWORD dst_unused:UNUSED_PAD src0_sel:WORD_1 src1_sel:DWORD
	v_lshlrev_b16_e32 v30, 1, v30
	v_and_b32_sdwa v29, v29, v25 dst_sel:DWORD dst_unused:UNUSED_PAD src0_sel:WORD_1 src1_sel:DWORD
	v_lshlrev_b16_e32 v28, 3, v28
	v_lshlrev_b16_e32 v22, 2, v22
	;; [unrolled: 1-line block ×3, first 2 shown]
	v_and_b32_sdwa v59, v59, v25 dst_sel:DWORD dst_unused:UNUSED_PAD src0_sel:WORD_1 src1_sel:DWORD
	v_lshlrev_b16_e32 v57, 3, v57
	v_lshlrev_b16_e32 v31, 2, v31
	v_or_b32_e32 v29, v29, v30
	v_or_b32_e32 v22, v28, v22
	;; [unrolled: 1-line block ×6, first 2 shown]
	v_lshlrev_b16_e32 v22, 4, v22
	v_or_b32_e32 v22, v31, v22
	v_or_b32_e32 v22, v22, v27
	v_mov_b32_e32 v27, 0
	v_cmp_ne_u16_sdwa s[54:55], v22, v27 src0_sel:BYTE_0 src1_sel:DWORD
	s_or_b64 s[52:53], s[52:53], s[54:55]
	s_or_b64 s[50:51], s[52:53], s[50:51]
	v_mov_b32_e32 v24, 0x10000
	v_and_b32_e32 v26, 0x10000, v50
	s_or_b64 s[48:49], s[50:51], s[48:49]
	v_cndmask_b32_e64 v26, v26, v24, s[48:49]
	v_mbcnt_hi_u32_b32 v22, -1, v58
	v_and_b32_e32 v28, 15, v22
	v_or_b32_sdwa v27, v26, v23 dst_sel:DWORD dst_unused:UNUSED_PAD src0_sel:DWORD src1_sel:WORD_0
	v_lshrrev_b32_e32 v24, 16, v26
	v_cmp_ne_u32_e64 s[48:49], 0, v28
	v_mov_b32_dpp v29, v27 row_shr:1 row_mask:0xf bank_mask:0xf
	s_and_saveexec_b64 s[50:51], s[48:49]
	s_cbranch_execz .LBB103_222
; %bb.221:
	v_and_b32_e32 v24, 0x10000, v26
	v_and_b32_sdwa v25, v29, v25 dst_sel:DWORD dst_unused:UNUSED_PAD src0_sel:WORD_1 src1_sel:DWORD
	v_cmp_ne_u32_e64 s[48:49], 0, v24
	v_cndmask_b32_e64 v24, v25, 1, s[48:49]
	v_mov_b32_e32 v25, 16
	v_lshlrev_b32_sdwa v25, v25, v23 dst_sel:DWORD dst_unused:UNUSED_PAD src0_sel:DWORD src1_sel:WORD_0
	v_lshlrev_b32_e32 v27, 16, v29
	v_cmp_lt_f32_e64 s[48:49], v27, v25
	v_cndmask_b32_e64 v25, v29, v23, s[48:49]
	v_cmp_eq_u32_e64 s[48:49], 0, v26
	v_cndmask_b32_e64 v23, v23, v25, s[48:49]
	v_lshlrev_b32_e32 v25, 16, v24
	v_or_b32_sdwa v27, v25, v23 dst_sel:DWORD dst_unused:UNUSED_PAD src0_sel:DWORD src1_sel:WORD_0
.LBB103_222:
	s_or_b64 exec, exec, s[50:51]
	v_lshrrev_b32_e32 v26, 16, v27
	v_mov_b32_dpp v29, v27 row_shr:2 row_mask:0xf bank_mask:0xf
	v_cmp_lt_u32_e64 s[48:49], 1, v28
	v_mov_b32_e32 v25, v27
	s_and_saveexec_b64 s[50:51], s[48:49]
	s_cbranch_execz .LBB103_224
; %bb.223:
	v_and_b32_e32 v23, 0x10000, v27
	v_mov_b32_e32 v24, 1
	v_and_b32_sdwa v24, v29, v24 dst_sel:DWORD dst_unused:UNUSED_PAD src0_sel:WORD_1 src1_sel:DWORD
	v_cmp_ne_u32_e64 s[48:49], 0, v23
	v_lshlrev_b32_e32 v23, 16, v27
	v_lshlrev_b32_e32 v25, 16, v29
	v_cndmask_b32_e64 v24, v24, 1, s[48:49]
	s_mov_b32 s52, 0x10000
	v_cmp_lt_f32_e64 s[48:49], v25, v23
	v_cndmask_b32_e64 v23, v29, v27, s[48:49]
	v_cmp_gt_u32_e64 s[48:49], s52, v27
	v_cndmask_b32_e64 v23, v27, v23, s[48:49]
	v_lshlrev_b32_e32 v25, 16, v24
	v_or_b32_sdwa v27, v25, v23 dst_sel:DWORD dst_unused:UNUSED_PAD src0_sel:DWORD src1_sel:WORD_0
	v_mov_b32_e32 v25, v23
	v_mov_b32_e32 v26, v24
.LBB103_224:
	s_or_b64 exec, exec, s[50:51]
	v_mov_b32_dpp v29, v27 row_shr:4 row_mask:0xf bank_mask:0xf
	v_cmp_lt_u32_e64 s[48:49], 3, v28
	s_and_saveexec_b64 s[50:51], s[48:49]
	s_cbranch_execz .LBB103_226
; %bb.225:
	v_and_b32_e32 v23, 1, v26
	v_mov_b32_e32 v24, 1
	v_and_b32_sdwa v24, v29, v24 dst_sel:DWORD dst_unused:UNUSED_PAD src0_sel:WORD_1 src1_sel:DWORD
	v_cmp_eq_u32_e64 s[48:49], 1, v23
	v_lshlrev_b32_e32 v23, 16, v29
	v_lshlrev_b32_e32 v27, 16, v25
	v_cndmask_b32_e64 v24, v24, 1, s[48:49]
	v_cmp_lt_f32_e64 s[48:49], v23, v27
	v_cndmask_b32_e64 v23, v29, v25, s[48:49]
	v_cmp_eq_u16_e64 s[48:49], 0, v26
	v_cndmask_b32_e64 v23, v25, v23, s[48:49]
	v_lshlrev_b32_e32 v25, 16, v24
	v_or_b32_sdwa v27, v25, v23 dst_sel:DWORD dst_unused:UNUSED_PAD src0_sel:DWORD src1_sel:WORD_0
	v_mov_b32_e32 v25, v23
	v_mov_b32_e32 v26, v24
.LBB103_226:
	s_or_b64 exec, exec, s[50:51]
	v_mov_b32_dpp v29, v27 row_shr:8 row_mask:0xf bank_mask:0xf
	v_cmp_lt_u32_e64 s[48:49], 7, v28
	s_and_saveexec_b64 s[50:51], s[48:49]
	s_cbranch_execz .LBB103_228
; %bb.227:
	v_and_b32_e32 v23, 1, v26
	v_mov_b32_e32 v24, 1
	v_and_b32_sdwa v24, v29, v24 dst_sel:DWORD dst_unused:UNUSED_PAD src0_sel:WORD_1 src1_sel:DWORD
	v_cmp_eq_u32_e64 s[48:49], 1, v23
	v_lshlrev_b32_e32 v23, 16, v29
	v_lshlrev_b32_e32 v27, 16, v25
	v_cndmask_b32_e64 v24, v24, 1, s[48:49]
	v_cmp_lt_f32_e64 s[48:49], v23, v27
	v_cndmask_b32_e64 v23, v29, v25, s[48:49]
	v_cmp_eq_u16_e64 s[48:49], 0, v26
	v_cndmask_b32_e64 v23, v25, v23, s[48:49]
	v_lshlrev_b32_e32 v25, 16, v24
	v_or_b32_sdwa v27, v25, v23 dst_sel:DWORD dst_unused:UNUSED_PAD src0_sel:DWORD src1_sel:WORD_0
	v_mov_b32_e32 v25, v23
	v_mov_b32_e32 v26, v24
.LBB103_228:
	s_or_b64 exec, exec, s[50:51]
	v_and_b32_e32 v29, 16, v22
	v_mov_b32_dpp v28, v27 row_bcast:15 row_mask:0xf bank_mask:0xf
	v_cmp_ne_u32_e64 s[48:49], 0, v29
	s_and_saveexec_b64 s[50:51], s[48:49]
	s_cbranch_execz .LBB103_230
; %bb.229:
	v_and_b32_e32 v23, 1, v26
	v_mov_b32_e32 v24, 1
	v_and_b32_sdwa v24, v28, v24 dst_sel:DWORD dst_unused:UNUSED_PAD src0_sel:WORD_1 src1_sel:DWORD
	v_cmp_eq_u32_e64 s[48:49], 1, v23
	v_lshlrev_b32_e32 v23, 16, v28
	v_lshlrev_b32_e32 v27, 16, v25
	v_cndmask_b32_e64 v24, v24, 1, s[48:49]
	v_cmp_lt_f32_e64 s[48:49], v23, v27
	v_cndmask_b32_e64 v23, v28, v25, s[48:49]
	v_cmp_eq_u16_e64 s[48:49], 0, v26
	v_cndmask_b32_e64 v23, v25, v23, s[48:49]
	v_lshlrev_b32_e32 v25, 16, v24
	v_or_b32_sdwa v27, v25, v23 dst_sel:DWORD dst_unused:UNUSED_PAD src0_sel:DWORD src1_sel:WORD_0
	v_mov_b32_e32 v25, v23
	v_mov_b32_e32 v26, v24
.LBB103_230:
	s_or_b64 exec, exec, s[50:51]
	v_mov_b32_dpp v27, v27 row_bcast:31 row_mask:0xf bank_mask:0xf
	v_cmp_lt_u32_e64 s[48:49], 31, v22
	s_and_saveexec_b64 s[50:51], s[48:49]
	s_cbranch_execz .LBB103_232
; %bb.231:
	v_and_b32_e32 v23, 1, v26
	v_mov_b32_e32 v24, 1
	v_and_b32_sdwa v24, v27, v24 dst_sel:DWORD dst_unused:UNUSED_PAD src0_sel:WORD_1 src1_sel:DWORD
	v_cmp_eq_u32_e64 s[48:49], 1, v23
	v_lshlrev_b32_e32 v23, 16, v27
	v_lshlrev_b32_e32 v28, 16, v25
	v_cndmask_b32_e64 v24, v24, 1, s[48:49]
	v_cmp_lt_f32_e64 s[48:49], v23, v28
	v_cndmask_b32_e64 v23, v27, v25, s[48:49]
	v_cmp_eq_u16_e64 s[48:49], 0, v26
	v_cndmask_b32_e64 v23, v25, v23, s[48:49]
	v_mov_b32_e32 v26, v24
	v_mov_b32_e32 v25, v23
.LBB103_232:
	s_or_b64 exec, exec, s[50:51]
	v_cmp_eq_u32_e64 s[48:49], 63, v0
	s_and_saveexec_b64 s[50:51], s[48:49]
	s_cbranch_execz .LBB103_234
; %bb.233:
	v_mov_b32_e32 v27, 0
	ds_write_b16 v27, v25
	ds_write_b8 v27, v26 offset:2
.LBB103_234:
	s_or_b64 exec, exec, s[50:51]
	s_waitcnt vmcnt(0)
	v_lshlrev_b32_e32 v57, 16, v61
	v_lshlrev_b32_e32 v25, 16, v23
	v_cmp_lt_f32_e64 s[48:49], v57, v25
	v_cndmask_b32_e64 v25, v61, v23, s[48:49]
	v_cmp_eq_u16_e64 s[48:49], 0, v24
	v_and_b32_e32 v24, 1, v24
	v_cndmask_b32_e64 v23, v23, v25, s[48:49]
	v_mov_b32_e32 v25, 0x10000
	v_cmp_eq_u32_e64 s[48:49], 1, v24
	v_cndmask_b32_e64 v24, 0, v25, s[48:49]
	v_or_b32_sdwa v23, v24, v23 dst_sel:DWORD dst_unused:UNUSED_PAD src0_sel:DWORD src1_sel:WORD_0
	v_add_u32_e32 v24, -1, v22
	v_and_b32_e32 v25, 64, v22
	v_cmp_lt_i32_e64 s[48:49], v24, v25
	v_cndmask_b32_e64 v24, v24, v22, s[48:49]
	v_lshlrev_b32_e32 v24, 2, v24
	ds_bpermute_b32 v23, v24, v23
	v_cmp_eq_u32_e64 s[50:51], 0, v22
	v_cmp_eq_u32_e64 s[48:49], 0, v0
	s_or_b64 s[50:51], s[48:49], s[50:51]
	v_and_b32_e32 v22, 0xff0000, v50
	s_waitcnt lgkmcnt(0)
	v_cndmask_b32_e64 v58, v23, v61, s[50:51]
	v_lshlrev_b32_e32 v23, 16, v58
	v_cmp_gt_f32_e64 s[50:51], v56, v23
	v_cndmask_b32_e64 v23, v58, v50, s[50:51]
	v_cmp_eq_u32_e64 s[50:51], 0, v22
	v_cndmask_b32_e64 v22, v50, v23, s[50:51]
	v_lshlrev_b32_e32 v23, 16, v22
	v_cmp_gt_f32_e64 s[50:51], v55, v23
	v_cndmask_b32_e64 v23, v22, v51, s[50:51]
	v_cndmask_b32_e32 v23, v51, v23, vcc
	v_lshlrev_b32_e32 v24, 16, v23
	v_cmp_gt_f32_e32 vcc, v54, v24
	v_cndmask_b32_e32 v24, v23, v21, vcc
	v_cndmask_b32_e64 v24, v21, v24, s[2:3]
	v_lshlrev_b32_e32 v21, 16, v24
	v_cmp_gt_f32_e32 vcc, v53, v21
	v_cndmask_b32_e32 v21, v24, v20, vcc
	v_cndmask_b32_e64 v25, v20, v21, s[6:7]
	;; [unrolled: 4-line block ×20, first 2 shown]
	v_lshlrev_b32_e32 v1, 16, v72
	v_cmp_gt_f32_e32 vcc, v32, v1
	v_cndmask_b32_e32 v1, v72, v17, vcc
	s_waitcnt lgkmcnt(0)
	; wave barrier
	s_and_saveexec_b64 s[2:3], s[48:49]
	s_cbranch_execz .LBB103_236
; %bb.235:
	v_mov_b32_e32 v4, 0
	ds_read_u16 v2, v4
	ds_read_u8 v3, v4 offset:2
	v_and_b32_e32 v5, 0xffff, v61
	s_waitcnt lgkmcnt(1)
	v_lshlrev_b32_e32 v6, 16, v2
	v_cmp_lt_f32_e32 vcc, v57, v6
	v_cndmask_b32_e32 v5, v5, v2, vcc
	s_waitcnt lgkmcnt(0)
	v_cmp_eq_u32_e32 vcc, 0, v3
	v_cndmask_b32_e32 v2, v2, v5, vcc
	v_and_b32_e32 v2, 0xffff, v2
	v_lshl_or_b32 v2, v3, 16, v2
	v_mov_b32_e32 v3, 2
	global_store_dwordx2 v4, v[2:3], s[56:57] offset:512
.LBB103_236:
	s_or_b64 exec, exec, s[2:3]
	v_and_b32_e32 v61, 0xffff, v58
	v_cndmask_b32_e64 v73, v17, v1, s[18:19]
.LBB103_237:
	s_load_dwordx2 s[2:3], s[4:5], 0x18
	v_mul_u32_u24_e32 v5, 24, v0
	v_lshlrev_b32_e32 v4, 1, v0
	s_waitcnt lgkmcnt(0)
	s_add_u32 s2, s2, s64
	s_addc_u32 s3, s3, s65
	s_and_b64 vcc, exec, s[0:1]
	s_cbranch_vccz .LBB103_285
; %bb.238:
	s_mov_b32 s0, 0x5040100
	v_lshlrev_b32_e32 v36, 1, v5
	v_perm_b32 v9, v29, v27, s0
	v_perm_b32 v8, v26, v25, s0
	;; [unrolled: 1-line block ×4, first 2 shown]
	s_waitcnt lgkmcnt(0)
	; wave barrier
	ds_write_b128 v36, v[6:9]
	v_perm_b32 v9, v66, v64, s0
	v_perm_b32 v8, v63, v62, s0
	;; [unrolled: 1-line block ×4, first 2 shown]
	ds_write_b128 v36, v[6:9] offset:16
	v_perm_b32 v9, v73, v72, s0
	v_perm_b32 v8, v71, v70, s0
	;; [unrolled: 1-line block ×4, first 2 shown]
	s_movk_i32 s0, 0xffd2
	v_mad_i32_i24 v2, v0, s0, v36
	ds_write_b128 v36, v[6:9] offset:32
	s_waitcnt lgkmcnt(0)
	; wave barrier
	s_waitcnt lgkmcnt(0)
	ds_read_u16 v39, v2 offset:128
	ds_read_u16 v38, v2 offset:256
	;; [unrolled: 1-line block ×23, first 2 shown]
	v_mov_b32_e32 v3, s3
	v_add_co_u32_e32 v2, vcc, s2, v4
	s_add_i32 s33, s33, s58
	v_addc_co_u32_e32 v3, vcc, 0, v3, vcc
	v_mov_b32_e32 v1, 0
	v_cmp_gt_u32_e32 vcc, s33, v0
	s_and_saveexec_b64 s[0:1], vcc
	s_cbranch_execz .LBB103_240
; %bb.239:
	v_mul_i32_i24_e32 v40, 0xffffffd2, v0
	v_add_u32_e32 v36, v36, v40
	ds_read_u16 v36, v36
	s_waitcnt lgkmcnt(0)
	global_store_short v[2:3], v36, off
.LBB103_240:
	s_or_b64 exec, exec, s[0:1]
	v_or_b32_e32 v36, 64, v0
	v_cmp_gt_u32_e32 vcc, s33, v36
	s_and_saveexec_b64 s[0:1], vcc
	s_cbranch_execz .LBB103_242
; %bb.241:
	s_waitcnt lgkmcnt(14)
	global_store_short v[2:3], v39, off offset:128
.LBB103_242:
	s_or_b64 exec, exec, s[0:1]
	v_or_b32_e32 v36, 0x80, v0
	v_cmp_gt_u32_e32 vcc, s33, v36
	s_and_saveexec_b64 s[0:1], vcc
	s_cbranch_execz .LBB103_244
; %bb.243:
	s_waitcnt lgkmcnt(14)
	global_store_short v[2:3], v38, off offset:256
.LBB103_244:
	;; [unrolled: 9-line block ×4, first 2 shown]
	s_or_b64 exec, exec, s[0:1]
	s_waitcnt lgkmcnt(14)
	v_or_b32_e32 v35, 0x140, v0
	v_cmp_gt_u32_e32 vcc, s33, v35
	s_and_saveexec_b64 s[0:1], vcc
	s_cbranch_execz .LBB103_250
; %bb.249:
	global_store_short v[2:3], v34, off offset:640
.LBB103_250:
	s_or_b64 exec, exec, s[0:1]
	v_or_b32_e32 v34, 0x180, v0
	v_cmp_gt_u32_e32 vcc, s33, v34
	s_and_saveexec_b64 s[0:1], vcc
	s_cbranch_execz .LBB103_252
; %bb.251:
	global_store_short v[2:3], v33, off offset:768
.LBB103_252:
	s_or_b64 exec, exec, s[0:1]
	;; [unrolled: 8-line block ×5, first 2 shown]
	v_or_b32_e32 v20, 0x280, v0
	v_cmp_gt_u32_e32 vcc, s33, v20
	s_and_saveexec_b64 s[0:1], vcc
	s_cbranch_execz .LBB103_260
; %bb.259:
	s_waitcnt lgkmcnt(13)
	global_store_short v[2:3], v19, off offset:1280
.LBB103_260:
	s_or_b64 exec, exec, s[0:1]
	s_waitcnt lgkmcnt(13)
	v_or_b32_e32 v19, 0x2c0, v0
	v_cmp_gt_u32_e32 vcc, s33, v19
	s_and_saveexec_b64 s[0:1], vcc
	s_cbranch_execz .LBB103_262
; %bb.261:
	s_waitcnt lgkmcnt(12)
	global_store_short v[2:3], v18, off offset:1408
.LBB103_262:
	s_or_b64 exec, exec, s[0:1]
	s_waitcnt lgkmcnt(12)
	v_or_b32_e32 v18, 0x300, v0
	v_cmp_gt_u32_e32 vcc, s33, v18
	s_and_saveexec_b64 s[0:1], vcc
	s_cbranch_execz .LBB103_264
; %bb.263:
	s_waitcnt lgkmcnt(11)
	global_store_short v[2:3], v17, off offset:1536
.LBB103_264:
	s_or_b64 exec, exec, s[0:1]
	s_waitcnt lgkmcnt(11)
	v_or_b32_e32 v17, 0x340, v0
	v_cmp_gt_u32_e32 vcc, s33, v17
	s_and_saveexec_b64 s[0:1], vcc
	s_cbranch_execz .LBB103_266
; %bb.265:
	s_waitcnt lgkmcnt(10)
	global_store_short v[2:3], v16, off offset:1664
.LBB103_266:
	s_or_b64 exec, exec, s[0:1]
	s_waitcnt lgkmcnt(10)
	v_or_b32_e32 v16, 0x380, v0
	v_cmp_gt_u32_e32 vcc, s33, v16
	s_and_saveexec_b64 s[0:1], vcc
	s_cbranch_execz .LBB103_268
; %bb.267:
	s_waitcnt lgkmcnt(9)
	global_store_short v[2:3], v15, off offset:1792
.LBB103_268:
	s_or_b64 exec, exec, s[0:1]
	s_waitcnt lgkmcnt(9)
	v_or_b32_e32 v15, 0x3c0, v0
	v_cmp_gt_u32_e32 vcc, s33, v15
	s_and_saveexec_b64 s[0:1], vcc
	s_cbranch_execz .LBB103_270
; %bb.269:
	s_waitcnt lgkmcnt(8)
	global_store_short v[2:3], v14, off offset:1920
.LBB103_270:
	s_or_b64 exec, exec, s[0:1]
	s_waitcnt lgkmcnt(8)
	v_or_b32_e32 v14, 0x400, v0
	v_cmp_gt_u32_e32 vcc, s33, v14
	s_and_saveexec_b64 s[0:1], vcc
	s_cbranch_execz .LBB103_272
; %bb.271:
	s_waitcnt lgkmcnt(7)
	global_store_short v[2:3], v13, off offset:2048
.LBB103_272:
	s_or_b64 exec, exec, s[0:1]
	s_waitcnt lgkmcnt(7)
	v_or_b32_e32 v13, 0x440, v0
	v_cmp_gt_u32_e32 vcc, s33, v13
	s_and_saveexec_b64 s[0:1], vcc
	s_cbranch_execz .LBB103_274
; %bb.273:
	s_waitcnt lgkmcnt(6)
	global_store_short v[2:3], v12, off offset:2176
.LBB103_274:
	s_or_b64 exec, exec, s[0:1]
	s_waitcnt lgkmcnt(6)
	v_or_b32_e32 v12, 0x480, v0
	v_cmp_gt_u32_e32 vcc, s33, v12
	s_and_saveexec_b64 s[0:1], vcc
	s_cbranch_execz .LBB103_276
; %bb.275:
	s_waitcnt lgkmcnt(5)
	global_store_short v[2:3], v11, off offset:2304
.LBB103_276:
	s_or_b64 exec, exec, s[0:1]
	s_waitcnt lgkmcnt(5)
	v_or_b32_e32 v11, 0x4c0, v0
	v_cmp_gt_u32_e32 vcc, s33, v11
	s_and_saveexec_b64 s[0:1], vcc
	s_cbranch_execz .LBB103_278
; %bb.277:
	s_waitcnt lgkmcnt(4)
	global_store_short v[2:3], v10, off offset:2432
.LBB103_278:
	s_or_b64 exec, exec, s[0:1]
	s_waitcnt lgkmcnt(4)
	v_or_b32_e32 v10, 0x500, v0
	v_cmp_gt_u32_e32 vcc, s33, v10
	s_and_saveexec_b64 s[0:1], vcc
	s_cbranch_execz .LBB103_280
; %bb.279:
	s_waitcnt lgkmcnt(3)
	global_store_short v[2:3], v9, off offset:2560
.LBB103_280:
	s_or_b64 exec, exec, s[0:1]
	s_waitcnt lgkmcnt(3)
	v_or_b32_e32 v9, 0x540, v0
	v_cmp_gt_u32_e32 vcc, s33, v9
	s_and_saveexec_b64 s[0:1], vcc
	s_cbranch_execz .LBB103_282
; %bb.281:
	s_waitcnt lgkmcnt(2)
	global_store_short v[2:3], v8, off offset:2688
.LBB103_282:
	s_or_b64 exec, exec, s[0:1]
	s_waitcnt lgkmcnt(2)
	v_or_b32_e32 v8, 0x580, v0
	v_cmp_gt_u32_e32 vcc, s33, v8
	s_and_saveexec_b64 s[0:1], vcc
	s_cbranch_execz .LBB103_284
; %bb.283:
	s_waitcnt lgkmcnt(1)
	global_store_short v[2:3], v7, off offset:2816
.LBB103_284:
	s_or_b64 exec, exec, s[0:1]
	v_or_b32_e32 v2, 0x5c0, v0
	v_cmp_gt_u32_e64 s[0:1], s33, v2
	s_branch .LBB103_287
.LBB103_285:
	s_mov_b64 s[0:1], 0
                                        ; implicit-def: $vgpr6
	s_cbranch_execz .LBB103_287
; %bb.286:
	s_mov_b32 s4, 0x5040100
	v_lshlrev_b32_e32 v2, 1, v5
	v_perm_b32 v9, v29, v27, s4
	v_perm_b32 v8, v26, v25, s4
	s_waitcnt lgkmcnt(1)
	v_perm_b32 v7, v24, v23, s4
	s_waitcnt lgkmcnt(0)
	;; [unrolled: 2-line block ×3, first 2 shown]
	; wave barrier
	ds_write_b128 v2, v[6:9]
	v_perm_b32 v9, v66, v64, s4
	v_perm_b32 v8, v63, v62, s4
	;; [unrolled: 1-line block ×4, first 2 shown]
	ds_write_b128 v2, v[6:9] offset:16
	v_perm_b32 v9, v73, v72, s4
	v_perm_b32 v8, v71, v70, s4
	;; [unrolled: 1-line block ×4, first 2 shown]
	s_movk_i32 s4, 0xffd2
	ds_write_b128 v2, v[6:9] offset:32
	v_mad_i32_i24 v2, v0, s4, v2
	s_waitcnt lgkmcnt(0)
	; wave barrier
	s_waitcnt lgkmcnt(0)
	ds_read_u16 v3, v2
	ds_read_u16 v5, v2 offset:128
	ds_read_u16 v7, v2 offset:256
	;; [unrolled: 1-line block ×23, first 2 shown]
	v_mov_b32_e32 v1, 0
	s_or_b64 s[0:1], s[0:1], exec
	s_waitcnt lgkmcnt(14)
	global_store_short v4, v3, s[2:3]
	global_store_short v4, v5, s[2:3] offset:128
	global_store_short v4, v7, s[2:3] offset:256
	;; [unrolled: 1-line block ×9, first 2 shown]
	s_waitcnt lgkmcnt(13)
	global_store_short v4, v15, s[2:3] offset:1280
	s_waitcnt lgkmcnt(12)
	global_store_short v4, v16, s[2:3] offset:1408
	;; [unrolled: 2-line block ×13, first 2 shown]
.LBB103_287:
	s_and_saveexec_b64 s[4:5], s[0:1]
	s_cbranch_execz .LBB103_289
; %bb.288:
	v_lshlrev_b64 v[0:1], 1, v[0:1]
	v_mov_b32_e32 v2, s3
	v_add_co_u32_e32 v0, vcc, s2, v0
	v_addc_co_u32_e32 v1, vcc, v2, v1, vcc
	s_waitcnt lgkmcnt(0)
	global_store_short v[0:1], v6, off offset:2944
	s_endpgm
.LBB103_289:
	s_endpgm
	.section	.rodata,"a",@progbits
	.p2align	6, 0x0
	.amdhsa_kernel _ZN7rocprim6detail25device_scan_by_key_kernelILNS0_25lookback_scan_determinismE0ELb1ENS0_26wrapped_scan_by_key_configINS_14default_configEi12hip_bfloat16EEPiN6hipcub22TransformInputIteratorIS5_NS8_6CastOpIS5_EEPS5_lEESC_S5_NS8_8EqualityENS8_3MaxENS0_19lookback_scan_stateINS_5tupleIJS5_bEEELb0ELb1EEES5_EEvT2_T3_T4_T5_T6_T7_T8_mmmPKNSH_IJT9_bEEE
		.amdhsa_group_segment_fixed_size 6656
		.amdhsa_private_segment_fixed_size 0
		.amdhsa_kernarg_size 80
		.amdhsa_user_sgpr_count 6
		.amdhsa_user_sgpr_private_segment_buffer 1
		.amdhsa_user_sgpr_dispatch_ptr 0
		.amdhsa_user_sgpr_queue_ptr 0
		.amdhsa_user_sgpr_kernarg_segment_ptr 1
		.amdhsa_user_sgpr_dispatch_id 0
		.amdhsa_user_sgpr_flat_scratch_init 0
		.amdhsa_user_sgpr_kernarg_preload_length 0
		.amdhsa_user_sgpr_kernarg_preload_offset 0
		.amdhsa_user_sgpr_private_segment_size 0
		.amdhsa_uses_dynamic_stack 0
		.amdhsa_system_sgpr_private_segment_wavefront_offset 0
		.amdhsa_system_sgpr_workgroup_id_x 1
		.amdhsa_system_sgpr_workgroup_id_y 0
		.amdhsa_system_sgpr_workgroup_id_z 0
		.amdhsa_system_sgpr_workgroup_info 0
		.amdhsa_system_vgpr_workitem_id 0
		.amdhsa_next_free_vgpr 79
		.amdhsa_next_free_sgpr 77
		.amdhsa_accum_offset 80
		.amdhsa_reserve_vcc 1
		.amdhsa_reserve_flat_scratch 0
		.amdhsa_float_round_mode_32 0
		.amdhsa_float_round_mode_16_64 0
		.amdhsa_float_denorm_mode_32 3
		.amdhsa_float_denorm_mode_16_64 3
		.amdhsa_dx10_clamp 1
		.amdhsa_ieee_mode 1
		.amdhsa_fp16_overflow 0
		.amdhsa_tg_split 0
		.amdhsa_exception_fp_ieee_invalid_op 0
		.amdhsa_exception_fp_denorm_src 0
		.amdhsa_exception_fp_ieee_div_zero 0
		.amdhsa_exception_fp_ieee_overflow 0
		.amdhsa_exception_fp_ieee_underflow 0
		.amdhsa_exception_fp_ieee_inexact 0
		.amdhsa_exception_int_div_zero 0
	.end_amdhsa_kernel
	.section	.text._ZN7rocprim6detail25device_scan_by_key_kernelILNS0_25lookback_scan_determinismE0ELb1ENS0_26wrapped_scan_by_key_configINS_14default_configEi12hip_bfloat16EEPiN6hipcub22TransformInputIteratorIS5_NS8_6CastOpIS5_EEPS5_lEESC_S5_NS8_8EqualityENS8_3MaxENS0_19lookback_scan_stateINS_5tupleIJS5_bEEELb0ELb1EEES5_EEvT2_T3_T4_T5_T6_T7_T8_mmmPKNSH_IJT9_bEEE,"axG",@progbits,_ZN7rocprim6detail25device_scan_by_key_kernelILNS0_25lookback_scan_determinismE0ELb1ENS0_26wrapped_scan_by_key_configINS_14default_configEi12hip_bfloat16EEPiN6hipcub22TransformInputIteratorIS5_NS8_6CastOpIS5_EEPS5_lEESC_S5_NS8_8EqualityENS8_3MaxENS0_19lookback_scan_stateINS_5tupleIJS5_bEEELb0ELb1EEES5_EEvT2_T3_T4_T5_T6_T7_T8_mmmPKNSH_IJT9_bEEE,comdat
.Lfunc_end103:
	.size	_ZN7rocprim6detail25device_scan_by_key_kernelILNS0_25lookback_scan_determinismE0ELb1ENS0_26wrapped_scan_by_key_configINS_14default_configEi12hip_bfloat16EEPiN6hipcub22TransformInputIteratorIS5_NS8_6CastOpIS5_EEPS5_lEESC_S5_NS8_8EqualityENS8_3MaxENS0_19lookback_scan_stateINS_5tupleIJS5_bEEELb0ELb1EEES5_EEvT2_T3_T4_T5_T6_T7_T8_mmmPKNSH_IJT9_bEEE, .Lfunc_end103-_ZN7rocprim6detail25device_scan_by_key_kernelILNS0_25lookback_scan_determinismE0ELb1ENS0_26wrapped_scan_by_key_configINS_14default_configEi12hip_bfloat16EEPiN6hipcub22TransformInputIteratorIS5_NS8_6CastOpIS5_EEPS5_lEESC_S5_NS8_8EqualityENS8_3MaxENS0_19lookback_scan_stateINS_5tupleIJS5_bEEELb0ELb1EEES5_EEvT2_T3_T4_T5_T6_T7_T8_mmmPKNSH_IJT9_bEEE
                                        ; -- End function
	.section	.AMDGPU.csdata,"",@progbits
; Kernel info:
; codeLenInByte = 16472
; NumSgprs: 81
; NumVgprs: 79
; NumAgprs: 0
; TotalNumVgprs: 79
; ScratchSize: 0
; MemoryBound: 0
; FloatMode: 240
; IeeeMode: 1
; LDSByteSize: 6656 bytes/workgroup (compile time only)
; SGPRBlocks: 10
; VGPRBlocks: 9
; NumSGPRsForWavesPerEU: 81
; NumVGPRsForWavesPerEU: 79
; AccumOffset: 80
; Occupancy: 3
; WaveLimiterHint : 1
; COMPUTE_PGM_RSRC2:SCRATCH_EN: 0
; COMPUTE_PGM_RSRC2:USER_SGPR: 6
; COMPUTE_PGM_RSRC2:TRAP_HANDLER: 0
; COMPUTE_PGM_RSRC2:TGID_X_EN: 1
; COMPUTE_PGM_RSRC2:TGID_Y_EN: 0
; COMPUTE_PGM_RSRC2:TGID_Z_EN: 0
; COMPUTE_PGM_RSRC2:TIDIG_COMP_CNT: 0
; COMPUTE_PGM_RSRC3_GFX90A:ACCUM_OFFSET: 19
; COMPUTE_PGM_RSRC3_GFX90A:TG_SPLIT: 0
	.section	.text._ZN7rocprim6detail25device_scan_by_key_kernelILNS0_25lookback_scan_determinismE0ELb1ENS0_26wrapped_scan_by_key_configINS_14default_configEiiEEPiN6hipcub22TransformInputIteratorIiNS7_6CastOpIiEES6_lEEPdiNS7_8EqualityENS7_3SumENS0_19lookback_scan_stateINS_5tupleIJibEEELb1ELb1EEEiEEvT2_T3_T4_T5_T6_T7_T8_mmmPKNSG_IJT9_bEEE,"axG",@progbits,_ZN7rocprim6detail25device_scan_by_key_kernelILNS0_25lookback_scan_determinismE0ELb1ENS0_26wrapped_scan_by_key_configINS_14default_configEiiEEPiN6hipcub22TransformInputIteratorIiNS7_6CastOpIiEES6_lEEPdiNS7_8EqualityENS7_3SumENS0_19lookback_scan_stateINS_5tupleIJibEEELb1ELb1EEEiEEvT2_T3_T4_T5_T6_T7_T8_mmmPKNSG_IJT9_bEEE,comdat
	.protected	_ZN7rocprim6detail25device_scan_by_key_kernelILNS0_25lookback_scan_determinismE0ELb1ENS0_26wrapped_scan_by_key_configINS_14default_configEiiEEPiN6hipcub22TransformInputIteratorIiNS7_6CastOpIiEES6_lEEPdiNS7_8EqualityENS7_3SumENS0_19lookback_scan_stateINS_5tupleIJibEEELb1ELb1EEEiEEvT2_T3_T4_T5_T6_T7_T8_mmmPKNSG_IJT9_bEEE ; -- Begin function _ZN7rocprim6detail25device_scan_by_key_kernelILNS0_25lookback_scan_determinismE0ELb1ENS0_26wrapped_scan_by_key_configINS_14default_configEiiEEPiN6hipcub22TransformInputIteratorIiNS7_6CastOpIiEES6_lEEPdiNS7_8EqualityENS7_3SumENS0_19lookback_scan_stateINS_5tupleIJibEEELb1ELb1EEEiEEvT2_T3_T4_T5_T6_T7_T8_mmmPKNSG_IJT9_bEEE
	.globl	_ZN7rocprim6detail25device_scan_by_key_kernelILNS0_25lookback_scan_determinismE0ELb1ENS0_26wrapped_scan_by_key_configINS_14default_configEiiEEPiN6hipcub22TransformInputIteratorIiNS7_6CastOpIiEES6_lEEPdiNS7_8EqualityENS7_3SumENS0_19lookback_scan_stateINS_5tupleIJibEEELb1ELb1EEEiEEvT2_T3_T4_T5_T6_T7_T8_mmmPKNSG_IJT9_bEEE
	.p2align	8
	.type	_ZN7rocprim6detail25device_scan_by_key_kernelILNS0_25lookback_scan_determinismE0ELb1ENS0_26wrapped_scan_by_key_configINS_14default_configEiiEEPiN6hipcub22TransformInputIteratorIiNS7_6CastOpIiEES6_lEEPdiNS7_8EqualityENS7_3SumENS0_19lookback_scan_stateINS_5tupleIJibEEELb1ELb1EEEiEEvT2_T3_T4_T5_T6_T7_T8_mmmPKNSG_IJT9_bEEE,@function
_ZN7rocprim6detail25device_scan_by_key_kernelILNS0_25lookback_scan_determinismE0ELb1ENS0_26wrapped_scan_by_key_configINS_14default_configEiiEEPiN6hipcub22TransformInputIteratorIiNS7_6CastOpIiEES6_lEEPdiNS7_8EqualityENS7_3SumENS0_19lookback_scan_stateINS_5tupleIJibEEELb1ELb1EEEiEEvT2_T3_T4_T5_T6_T7_T8_mmmPKNSG_IJT9_bEEE: ; @_ZN7rocprim6detail25device_scan_by_key_kernelILNS0_25lookback_scan_determinismE0ELb1ENS0_26wrapped_scan_by_key_configINS_14default_configEiiEEPiN6hipcub22TransformInputIteratorIiNS7_6CastOpIiEES6_lEEPdiNS7_8EqualityENS7_3SumENS0_19lookback_scan_stateINS_5tupleIJibEEELb1ELb1EEEiEEvT2_T3_T4_T5_T6_T7_T8_mmmPKNSG_IJT9_bEEE
; %bb.0:
	s_endpgm
	.section	.rodata,"a",@progbits
	.p2align	6, 0x0
	.amdhsa_kernel _ZN7rocprim6detail25device_scan_by_key_kernelILNS0_25lookback_scan_determinismE0ELb1ENS0_26wrapped_scan_by_key_configINS_14default_configEiiEEPiN6hipcub22TransformInputIteratorIiNS7_6CastOpIiEES6_lEEPdiNS7_8EqualityENS7_3SumENS0_19lookback_scan_stateINS_5tupleIJibEEELb1ELb1EEEiEEvT2_T3_T4_T5_T6_T7_T8_mmmPKNSG_IJT9_bEEE
		.amdhsa_group_segment_fixed_size 0
		.amdhsa_private_segment_fixed_size 0
		.amdhsa_kernarg_size 80
		.amdhsa_user_sgpr_count 6
		.amdhsa_user_sgpr_private_segment_buffer 1
		.amdhsa_user_sgpr_dispatch_ptr 0
		.amdhsa_user_sgpr_queue_ptr 0
		.amdhsa_user_sgpr_kernarg_segment_ptr 1
		.amdhsa_user_sgpr_dispatch_id 0
		.amdhsa_user_sgpr_flat_scratch_init 0
		.amdhsa_user_sgpr_kernarg_preload_length 0
		.amdhsa_user_sgpr_kernarg_preload_offset 0
		.amdhsa_user_sgpr_private_segment_size 0
		.amdhsa_uses_dynamic_stack 0
		.amdhsa_system_sgpr_private_segment_wavefront_offset 0
		.amdhsa_system_sgpr_workgroup_id_x 1
		.amdhsa_system_sgpr_workgroup_id_y 0
		.amdhsa_system_sgpr_workgroup_id_z 0
		.amdhsa_system_sgpr_workgroup_info 0
		.amdhsa_system_vgpr_workitem_id 0
		.amdhsa_next_free_vgpr 1
		.amdhsa_next_free_sgpr 0
		.amdhsa_accum_offset 4
		.amdhsa_reserve_vcc 0
		.amdhsa_reserve_flat_scratch 0
		.amdhsa_float_round_mode_32 0
		.amdhsa_float_round_mode_16_64 0
		.amdhsa_float_denorm_mode_32 3
		.amdhsa_float_denorm_mode_16_64 3
		.amdhsa_dx10_clamp 1
		.amdhsa_ieee_mode 1
		.amdhsa_fp16_overflow 0
		.amdhsa_tg_split 0
		.amdhsa_exception_fp_ieee_invalid_op 0
		.amdhsa_exception_fp_denorm_src 0
		.amdhsa_exception_fp_ieee_div_zero 0
		.amdhsa_exception_fp_ieee_overflow 0
		.amdhsa_exception_fp_ieee_underflow 0
		.amdhsa_exception_fp_ieee_inexact 0
		.amdhsa_exception_int_div_zero 0
	.end_amdhsa_kernel
	.section	.text._ZN7rocprim6detail25device_scan_by_key_kernelILNS0_25lookback_scan_determinismE0ELb1ENS0_26wrapped_scan_by_key_configINS_14default_configEiiEEPiN6hipcub22TransformInputIteratorIiNS7_6CastOpIiEES6_lEEPdiNS7_8EqualityENS7_3SumENS0_19lookback_scan_stateINS_5tupleIJibEEELb1ELb1EEEiEEvT2_T3_T4_T5_T6_T7_T8_mmmPKNSG_IJT9_bEEE,"axG",@progbits,_ZN7rocprim6detail25device_scan_by_key_kernelILNS0_25lookback_scan_determinismE0ELb1ENS0_26wrapped_scan_by_key_configINS_14default_configEiiEEPiN6hipcub22TransformInputIteratorIiNS7_6CastOpIiEES6_lEEPdiNS7_8EqualityENS7_3SumENS0_19lookback_scan_stateINS_5tupleIJibEEELb1ELb1EEEiEEvT2_T3_T4_T5_T6_T7_T8_mmmPKNSG_IJT9_bEEE,comdat
.Lfunc_end104:
	.size	_ZN7rocprim6detail25device_scan_by_key_kernelILNS0_25lookback_scan_determinismE0ELb1ENS0_26wrapped_scan_by_key_configINS_14default_configEiiEEPiN6hipcub22TransformInputIteratorIiNS7_6CastOpIiEES6_lEEPdiNS7_8EqualityENS7_3SumENS0_19lookback_scan_stateINS_5tupleIJibEEELb1ELb1EEEiEEvT2_T3_T4_T5_T6_T7_T8_mmmPKNSG_IJT9_bEEE, .Lfunc_end104-_ZN7rocprim6detail25device_scan_by_key_kernelILNS0_25lookback_scan_determinismE0ELb1ENS0_26wrapped_scan_by_key_configINS_14default_configEiiEEPiN6hipcub22TransformInputIteratorIiNS7_6CastOpIiEES6_lEEPdiNS7_8EqualityENS7_3SumENS0_19lookback_scan_stateINS_5tupleIJibEEELb1ELb1EEEiEEvT2_T3_T4_T5_T6_T7_T8_mmmPKNSG_IJT9_bEEE
                                        ; -- End function
	.section	.AMDGPU.csdata,"",@progbits
; Kernel info:
; codeLenInByte = 4
; NumSgprs: 4
; NumVgprs: 0
; NumAgprs: 0
; TotalNumVgprs: 0
; ScratchSize: 0
; MemoryBound: 0
; FloatMode: 240
; IeeeMode: 1
; LDSByteSize: 0 bytes/workgroup (compile time only)
; SGPRBlocks: 0
; VGPRBlocks: 0
; NumSGPRsForWavesPerEU: 4
; NumVGPRsForWavesPerEU: 1
; AccumOffset: 4
; Occupancy: 8
; WaveLimiterHint : 0
; COMPUTE_PGM_RSRC2:SCRATCH_EN: 0
; COMPUTE_PGM_RSRC2:USER_SGPR: 6
; COMPUTE_PGM_RSRC2:TRAP_HANDLER: 0
; COMPUTE_PGM_RSRC2:TGID_X_EN: 1
; COMPUTE_PGM_RSRC2:TGID_Y_EN: 0
; COMPUTE_PGM_RSRC2:TGID_Z_EN: 0
; COMPUTE_PGM_RSRC2:TIDIG_COMP_CNT: 0
; COMPUTE_PGM_RSRC3_GFX90A:ACCUM_OFFSET: 0
; COMPUTE_PGM_RSRC3_GFX90A:TG_SPLIT: 0
	.section	.text._ZN7rocprim6detail25device_scan_by_key_kernelILNS0_25lookback_scan_determinismE0ELb1ENS0_26wrapped_scan_by_key_configINS_14default_configEiiEEPiN6hipcub22TransformInputIteratorIiNS7_6CastOpIiEES6_lEEPdiNS7_8EqualityENS7_3SumENS0_19lookback_scan_stateINS_5tupleIJibEEELb0ELb1EEEiEEvT2_T3_T4_T5_T6_T7_T8_mmmPKNSG_IJT9_bEEE,"axG",@progbits,_ZN7rocprim6detail25device_scan_by_key_kernelILNS0_25lookback_scan_determinismE0ELb1ENS0_26wrapped_scan_by_key_configINS_14default_configEiiEEPiN6hipcub22TransformInputIteratorIiNS7_6CastOpIiEES6_lEEPdiNS7_8EqualityENS7_3SumENS0_19lookback_scan_stateINS_5tupleIJibEEELb0ELb1EEEiEEvT2_T3_T4_T5_T6_T7_T8_mmmPKNSG_IJT9_bEEE,comdat
	.protected	_ZN7rocprim6detail25device_scan_by_key_kernelILNS0_25lookback_scan_determinismE0ELb1ENS0_26wrapped_scan_by_key_configINS_14default_configEiiEEPiN6hipcub22TransformInputIteratorIiNS7_6CastOpIiEES6_lEEPdiNS7_8EqualityENS7_3SumENS0_19lookback_scan_stateINS_5tupleIJibEEELb0ELb1EEEiEEvT2_T3_T4_T5_T6_T7_T8_mmmPKNSG_IJT9_bEEE ; -- Begin function _ZN7rocprim6detail25device_scan_by_key_kernelILNS0_25lookback_scan_determinismE0ELb1ENS0_26wrapped_scan_by_key_configINS_14default_configEiiEEPiN6hipcub22TransformInputIteratorIiNS7_6CastOpIiEES6_lEEPdiNS7_8EqualityENS7_3SumENS0_19lookback_scan_stateINS_5tupleIJibEEELb0ELb1EEEiEEvT2_T3_T4_T5_T6_T7_T8_mmmPKNSG_IJT9_bEEE
	.globl	_ZN7rocprim6detail25device_scan_by_key_kernelILNS0_25lookback_scan_determinismE0ELb1ENS0_26wrapped_scan_by_key_configINS_14default_configEiiEEPiN6hipcub22TransformInputIteratorIiNS7_6CastOpIiEES6_lEEPdiNS7_8EqualityENS7_3SumENS0_19lookback_scan_stateINS_5tupleIJibEEELb0ELb1EEEiEEvT2_T3_T4_T5_T6_T7_T8_mmmPKNSG_IJT9_bEEE
	.p2align	8
	.type	_ZN7rocprim6detail25device_scan_by_key_kernelILNS0_25lookback_scan_determinismE0ELb1ENS0_26wrapped_scan_by_key_configINS_14default_configEiiEEPiN6hipcub22TransformInputIteratorIiNS7_6CastOpIiEES6_lEEPdiNS7_8EqualityENS7_3SumENS0_19lookback_scan_stateINS_5tupleIJibEEELb0ELb1EEEiEEvT2_T3_T4_T5_T6_T7_T8_mmmPKNSG_IJT9_bEEE,@function
_ZN7rocprim6detail25device_scan_by_key_kernelILNS0_25lookback_scan_determinismE0ELb1ENS0_26wrapped_scan_by_key_configINS_14default_configEiiEEPiN6hipcub22TransformInputIteratorIiNS7_6CastOpIiEES6_lEEPdiNS7_8EqualityENS7_3SumENS0_19lookback_scan_stateINS_5tupleIJibEEELb0ELb1EEEiEEvT2_T3_T4_T5_T6_T7_T8_mmmPKNSG_IJT9_bEEE: ; @_ZN7rocprim6detail25device_scan_by_key_kernelILNS0_25lookback_scan_determinismE0ELb1ENS0_26wrapped_scan_by_key_configINS_14default_configEiiEEPiN6hipcub22TransformInputIteratorIiNS7_6CastOpIiEES6_lEEPdiNS7_8EqualityENS7_3SumENS0_19lookback_scan_stateINS_5tupleIJibEEELb0ELb1EEEiEEvT2_T3_T4_T5_T6_T7_T8_mmmPKNSG_IJT9_bEEE
; %bb.0:
	s_load_dwordx4 s[0:3], s[4:5], 0x0
	s_load_dword s54, s[4:5], 0x20
	s_load_dwordx8 s[36:43], s[4:5], 0x28
	s_load_dwordx2 s[46:47], s[4:5], 0x48
	s_mul_i32 s44, s6, 0xe00
	s_mov_b32 s45, 0
	s_lshl_b64 s[8:9], s[44:45], 2
	s_waitcnt lgkmcnt(0)
	s_add_u32 s50, s0, s8
	s_addc_u32 s51, s1, s9
	s_add_u32 s48, s2, s8
	s_addc_u32 s49, s3, s9
	;; [unrolled: 2-line block ×3, first 2 shown]
	s_add_u32 s8, s42, -1
	s_addc_u32 s9, s43, -1
	v_pk_mov_b32 v[2:3], s[8:9], s[8:9] op_sel:[0,1]
	v_cmp_ge_u64_e64 s[0:1], s[0:1], v[2:3]
	s_mov_b64 s[2:3], -1
	s_and_b64 vcc, exec, s[0:1]
	s_mul_i32 s33, s8, 0xfffff200
	v_lshlrev_b32_e32 v1, 2, v0
	s_cbranch_vccz .LBB105_76
; %bb.1:
	s_load_dword s39, s[50:51], 0x0
	s_add_i32 s7, s33, s38
	v_mov_b32_e32 v3, s51
	v_add_co_u32_e32 v2, vcc, s50, v1
	v_addc_co_u32_e32 v3, vcc, 0, v3, vcc
	v_cmp_gt_u32_e64 s[2:3], s7, v0
	s_waitcnt lgkmcnt(0)
	v_mov_b32_e32 v4, s39
	s_and_saveexec_b64 s[8:9], s[2:3]
	s_cbranch_execz .LBB105_3
; %bb.2:
	global_load_dword v4, v[2:3], off
.LBB105_3:
	s_or_b64 exec, exec, s[8:9]
	v_or_b32_e32 v5, 0x100, v0
	v_cmp_gt_u32_e64 s[34:35], s7, v5
	v_mov_b32_e32 v5, s39
	s_and_saveexec_b64 s[8:9], s[34:35]
	s_cbranch_execz .LBB105_5
; %bb.4:
	global_load_dword v5, v[2:3], off offset:1024
.LBB105_5:
	s_or_b64 exec, exec, s[8:9]
	v_or_b32_e32 v6, 0x200, v0
	v_cmp_gt_u32_e64 s[8:9], s7, v6
	v_mov_b32_e32 v6, s39
	s_and_saveexec_b64 s[10:11], s[8:9]
	s_cbranch_execz .LBB105_7
; %bb.6:
	global_load_dword v6, v[2:3], off offset:2048
.LBB105_7:
	;; [unrolled: 9-line block ×3, first 2 shown]
	s_or_b64 exec, exec, s[12:13]
	v_or_b32_e32 v8, 0x400, v0
	v_cmp_gt_u32_e64 s[12:13], s7, v8
	v_mov_b32_e32 v8, s39
	s_and_saveexec_b64 s[14:15], s[12:13]
	s_cbranch_execz .LBB105_11
; %bb.10:
	v_add_co_u32_e32 v8, vcc, 0x1000, v2
	v_addc_co_u32_e32 v9, vcc, 0, v3, vcc
	global_load_dword v8, v[8:9], off
.LBB105_11:
	s_or_b64 exec, exec, s[14:15]
	v_or_b32_e32 v9, 0x500, v0
	v_cmp_gt_u32_e64 s[14:15], s7, v9
	v_mov_b32_e32 v9, s39
	s_and_saveexec_b64 s[16:17], s[14:15]
	s_cbranch_execz .LBB105_13
; %bb.12:
	v_add_co_u32_e32 v10, vcc, 0x1000, v2
	v_addc_co_u32_e32 v11, vcc, 0, v3, vcc
	global_load_dword v9, v[10:11], off offset:1024
.LBB105_13:
	s_or_b64 exec, exec, s[16:17]
	v_or_b32_e32 v10, 0x600, v0
	v_cmp_gt_u32_e64 s[16:17], s7, v10
	v_mov_b32_e32 v10, s39
	s_and_saveexec_b64 s[18:19], s[16:17]
	s_cbranch_execz .LBB105_15
; %bb.14:
	v_add_co_u32_e32 v10, vcc, 0x1000, v2
	v_addc_co_u32_e32 v11, vcc, 0, v3, vcc
	global_load_dword v10, v[10:11], off offset:2048
.LBB105_15:
	;; [unrolled: 11-line block ×3, first 2 shown]
	s_or_b64 exec, exec, s[20:21]
	v_or_b32_e32 v12, 0x800, v0
	v_cmp_gt_u32_e64 s[20:21], s7, v12
	v_mov_b32_e32 v12, s39
	s_and_saveexec_b64 s[22:23], s[20:21]
	s_cbranch_execz .LBB105_19
; %bb.18:
	v_add_co_u32_e32 v12, vcc, 0x2000, v2
	v_addc_co_u32_e32 v13, vcc, 0, v3, vcc
	global_load_dword v12, v[12:13], off
.LBB105_19:
	s_or_b64 exec, exec, s[22:23]
	v_or_b32_e32 v13, 0x900, v0
	v_cmp_gt_u32_e64 s[22:23], s7, v13
	v_mov_b32_e32 v13, s39
	s_and_saveexec_b64 s[24:25], s[22:23]
	s_cbranch_execz .LBB105_21
; %bb.20:
	v_add_co_u32_e32 v14, vcc, 0x2000, v2
	v_addc_co_u32_e32 v15, vcc, 0, v3, vcc
	global_load_dword v13, v[14:15], off offset:1024
.LBB105_21:
	s_or_b64 exec, exec, s[24:25]
	v_or_b32_e32 v14, 0xa00, v0
	v_cmp_gt_u32_e64 s[24:25], s7, v14
	v_mov_b32_e32 v14, s39
	s_and_saveexec_b64 s[26:27], s[24:25]
	s_cbranch_execz .LBB105_23
; %bb.22:
	v_add_co_u32_e32 v14, vcc, 0x2000, v2
	v_addc_co_u32_e32 v15, vcc, 0, v3, vcc
	global_load_dword v14, v[14:15], off offset:2048
.LBB105_23:
	;; [unrolled: 11-line block ×3, first 2 shown]
	s_or_b64 exec, exec, s[28:29]
	v_or_b32_e32 v16, 0xc00, v0
	v_cmp_gt_u32_e64 s[28:29], s7, v16
	v_mov_b32_e32 v16, s39
	s_and_saveexec_b64 s[30:31], s[28:29]
	s_cbranch_execz .LBB105_27
; %bb.26:
	v_add_co_u32_e32 v16, vcc, 0x3000, v2
	v_addc_co_u32_e32 v17, vcc, 0, v3, vcc
	global_load_dword v16, v[16:17], off
.LBB105_27:
	s_or_b64 exec, exec, s[30:31]
	v_or_b32_e32 v17, 0xd00, v0
	v_cmp_gt_u32_e64 s[30:31], s7, v17
	v_mov_b32_e32 v17, s39
	s_and_saveexec_b64 s[40:41], s[30:31]
	s_cbranch_execz .LBB105_29
; %bb.28:
	v_add_co_u32_e32 v2, vcc, 0x3000, v2
	v_addc_co_u32_e32 v3, vcc, 0, v3, vcc
	global_load_dword v17, v[2:3], off offset:1024
.LBB105_29:
	s_or_b64 exec, exec, s[40:41]
	v_mad_u32_u24 v44, v0, 52, v1
	s_waitcnt vmcnt(0)
	ds_write2st64_b32 v1, v4, v5 offset1:4
	ds_write2st64_b32 v1, v6, v7 offset0:8 offset1:12
	ds_write2st64_b32 v1, v8, v9 offset0:16 offset1:20
	;; [unrolled: 1-line block ×6, first 2 shown]
	s_waitcnt lgkmcnt(0)
	s_barrier
	ds_read2_b64 v[34:37], v44 offset1:1
	ds_read2_b64 v[30:33], v44 offset0:2 offset1:3
	ds_read2_b64 v[26:29], v44 offset0:4 offset1:5
	ds_read_b64 v[40:41], v44 offset:48
	s_load_dword s39, s[50:51], 0x0
	s_movk_i32 s40, 0xffcc
	v_mad_i32_i24 v2, v0, s40, v44
	s_movk_i32 s40, 0xff
	v_cmp_ne_u32_e32 vcc, s40, v0
	s_waitcnt lgkmcnt(0)
	v_mov_b32_e32 v45, s39
	ds_write_b32 v2, v34 offset:15360
	s_waitcnt lgkmcnt(0)
	s_barrier
	s_and_saveexec_b64 s[40:41], vcc
	s_cbranch_execz .LBB105_31
; %bb.30:
	ds_read_b32 v45, v1 offset:15364
.LBB105_31:
	s_or_b64 exec, exec, s[40:41]
	v_mov_b32_e32 v3, s49
	v_add_co_u32_e32 v2, vcc, s48, v1
	v_addc_co_u32_e32 v3, vcc, 0, v3, vcc
	s_waitcnt lgkmcnt(0)
	s_barrier
	s_waitcnt lgkmcnt(0)
                                        ; implicit-def: $vgpr4
	s_and_saveexec_b64 s[40:41], s[2:3]
	s_cbranch_execz .LBB105_123
; %bb.32:
	global_load_dword v4, v[2:3], off
	s_or_b64 exec, exec, s[40:41]
                                        ; implicit-def: $vgpr5
	s_and_saveexec_b64 s[2:3], s[34:35]
	s_cbranch_execnz .LBB105_124
.LBB105_33:
	s_or_b64 exec, exec, s[2:3]
                                        ; implicit-def: $vgpr6
	s_and_saveexec_b64 s[2:3], s[8:9]
	s_cbranch_execz .LBB105_125
.LBB105_34:
	global_load_dword v6, v[2:3], off offset:2048
	s_or_b64 exec, exec, s[2:3]
                                        ; implicit-def: $vgpr7
	s_and_saveexec_b64 s[2:3], s[10:11]
	s_cbranch_execnz .LBB105_126
.LBB105_35:
	s_or_b64 exec, exec, s[2:3]
                                        ; implicit-def: $vgpr8
	s_and_saveexec_b64 s[2:3], s[12:13]
	s_cbranch_execz .LBB105_127
.LBB105_36:
	v_add_co_u32_e32 v8, vcc, 0x1000, v2
	v_addc_co_u32_e32 v9, vcc, 0, v3, vcc
	global_load_dword v8, v[8:9], off
	s_or_b64 exec, exec, s[2:3]
                                        ; implicit-def: $vgpr9
	s_and_saveexec_b64 s[2:3], s[14:15]
	s_cbranch_execnz .LBB105_128
.LBB105_37:
	s_or_b64 exec, exec, s[2:3]
                                        ; implicit-def: $vgpr10
	s_and_saveexec_b64 s[2:3], s[16:17]
	s_cbranch_execz .LBB105_129
.LBB105_38:
	v_add_co_u32_e32 v10, vcc, 0x1000, v2
	v_addc_co_u32_e32 v11, vcc, 0, v3, vcc
	global_load_dword v10, v[10:11], off offset:2048
	s_or_b64 exec, exec, s[2:3]
                                        ; implicit-def: $vgpr11
	s_and_saveexec_b64 s[2:3], s[18:19]
	s_cbranch_execnz .LBB105_130
.LBB105_39:
	s_or_b64 exec, exec, s[2:3]
                                        ; implicit-def: $vgpr12
	s_and_saveexec_b64 s[2:3], s[20:21]
	s_cbranch_execz .LBB105_131
.LBB105_40:
	v_add_co_u32_e32 v12, vcc, 0x2000, v2
	v_addc_co_u32_e32 v13, vcc, 0, v3, vcc
	global_load_dword v12, v[12:13], off
	s_or_b64 exec, exec, s[2:3]
                                        ; implicit-def: $vgpr13
	s_and_saveexec_b64 s[2:3], s[22:23]
	s_cbranch_execnz .LBB105_132
.LBB105_41:
	s_or_b64 exec, exec, s[2:3]
                                        ; implicit-def: $vgpr14
	s_and_saveexec_b64 s[2:3], s[24:25]
	s_cbranch_execz .LBB105_133
.LBB105_42:
	v_add_co_u32_e32 v14, vcc, 0x2000, v2
	v_addc_co_u32_e32 v15, vcc, 0, v3, vcc
	global_load_dword v14, v[14:15], off offset:2048
	s_or_b64 exec, exec, s[2:3]
                                        ; implicit-def: $vgpr15
	s_and_saveexec_b64 s[2:3], s[26:27]
	s_cbranch_execnz .LBB105_134
.LBB105_43:
	s_or_b64 exec, exec, s[2:3]
                                        ; implicit-def: $vgpr16
	s_and_saveexec_b64 s[2:3], s[28:29]
	s_cbranch_execz .LBB105_45
.LBB105_44:
	v_add_co_u32_e32 v16, vcc, 0x3000, v2
	v_addc_co_u32_e32 v17, vcc, 0, v3, vcc
	global_load_dword v16, v[16:17], off
.LBB105_45:
	s_or_b64 exec, exec, s[2:3]
	v_mul_u32_u24_e32 v46, 14, v0
                                        ; implicit-def: $vgpr17
	s_and_saveexec_b64 s[2:3], s[30:31]
	s_cbranch_execz .LBB105_47
; %bb.46:
	v_add_co_u32_e32 v2, vcc, 0x3000, v2
	v_addc_co_u32_e32 v3, vcc, 0, v3, vcc
	global_load_dword v17, v[2:3], off offset:1024
.LBB105_47:
	s_or_b64 exec, exec, s[2:3]
	s_mov_b32 s8, 0
	s_mov_b32 s9, s8
	s_waitcnt vmcnt(0)
	ds_write2st64_b32 v1, v4, v5 offset1:4
	ds_write2st64_b32 v1, v6, v7 offset0:8 offset1:12
	ds_write2st64_b32 v1, v8, v9 offset0:16 offset1:20
	;; [unrolled: 1-line block ×6, first 2 shown]
	s_mov_b32 s10, s8
	s_mov_b32 s11, s8
	;; [unrolled: 1-line block ×6, first 2 shown]
	v_pk_mov_b32 v[2:3], s[8:9], s[8:9] op_sel:[0,1]
	v_pk_mov_b32 v[8:9], s[14:15], s[14:15] op_sel:[0,1]
	v_pk_mov_b32 v[4:5], s[10:11], s[10:11] op_sel:[0,1]
	v_pk_mov_b32 v[6:7], s[12:13], s[12:13] op_sel:[0,1]
	v_pk_mov_b32 v[16:17], v[8:9], v[8:9] op_sel:[0,1]
	v_pk_mov_b32 v[24:25], v[8:9], v[8:9] op_sel:[0,1]
	v_cmp_gt_u32_e32 vcc, s7, v46
	s_mov_b64 s[2:3], 0
	v_pk_mov_b32 v[38:39], 0, 0
	s_mov_b64 s[20:21], 0
	v_pk_mov_b32 v[14:15], v[6:7], v[6:7] op_sel:[0,1]
	v_pk_mov_b32 v[12:13], v[4:5], v[4:5] op_sel:[0,1]
	;; [unrolled: 1-line block ×6, first 2 shown]
	s_waitcnt lgkmcnt(0)
	s_barrier
	s_waitcnt lgkmcnt(0)
                                        ; implicit-def: $sgpr18_sgpr19
                                        ; implicit-def: $vgpr42
	s_and_saveexec_b64 s[16:17], vcc
	s_cbranch_execz .LBB105_75
; %bb.48:
	ds_read_b32 v2, v44
	v_mov_b32_e32 v4, s54
	v_cmp_eq_u32_e32 vcc, v34, v35
	v_or_b32_e32 v3, 1, v46
                                        ; implicit-def: $vgpr42
	s_waitcnt lgkmcnt(0)
	v_cndmask_b32_e32 v38, v4, v2, vcc
	v_cmp_ne_u32_e32 vcc, v34, v35
	v_cndmask_b32_e64 v39, 0, 1, vcc
	v_cmp_gt_u32_e32 vcc, s7, v3
	v_pk_mov_b32 v[2:3], s[8:9], s[8:9] op_sel:[0,1]
	v_pk_mov_b32 v[8:9], s[14:15], s[14:15] op_sel:[0,1]
	v_pk_mov_b32 v[4:5], s[10:11], s[10:11] op_sel:[0,1]
	v_pk_mov_b32 v[6:7], s[12:13], s[12:13] op_sel:[0,1]
	v_pk_mov_b32 v[16:17], v[8:9], v[8:9] op_sel:[0,1]
	v_pk_mov_b32 v[24:25], v[8:9], v[8:9] op_sel:[0,1]
	v_pk_mov_b32 v[14:15], v[6:7], v[6:7] op_sel:[0,1]
	v_pk_mov_b32 v[12:13], v[4:5], v[4:5] op_sel:[0,1]
	v_pk_mov_b32 v[10:11], v[2:3], v[2:3] op_sel:[0,1]
	v_pk_mov_b32 v[22:23], v[6:7], v[6:7] op_sel:[0,1]
	v_pk_mov_b32 v[20:21], v[4:5], v[4:5] op_sel:[0,1]
	v_pk_mov_b32 v[18:19], v[2:3], v[2:3] op_sel:[0,1]
                                        ; implicit-def: $sgpr8_sgpr9
	s_and_saveexec_b64 s[18:19], vcc
	s_cbranch_execz .LBB105_74
; %bb.49:
	ds_read2_b32 v[42:43], v44 offset0:1 offset1:2
	s_mov_b32 s8, 0
	v_mov_b32_e32 v3, s54
	v_cmp_eq_u32_e32 vcc, v35, v36
	s_mov_b32 s14, s8
	s_mov_b32 s15, s8
	v_add_u32_e32 v2, 2, v46
	s_waitcnt lgkmcnt(0)
	v_cndmask_b32_e32 v8, v3, v42, vcc
	v_cmp_ne_u32_e32 vcc, v35, v36
	s_mov_b32 s9, s8
	s_mov_b32 s10, s8
	;; [unrolled: 1-line block ×5, first 2 shown]
	v_pk_mov_b32 v[16:17], s[14:15], s[14:15] op_sel:[0,1]
	v_cndmask_b32_e64 v9, 0, 1, vcc
	v_cmp_gt_u32_e32 vcc, s7, v2
	v_mov_b32_e32 v2, 0
	v_pk_mov_b32 v[14:15], s[12:13], s[12:13] op_sel:[0,1]
	v_pk_mov_b32 v[12:13], s[10:11], s[10:11] op_sel:[0,1]
	v_pk_mov_b32 v[10:11], s[8:9], s[8:9] op_sel:[0,1]
	v_pk_mov_b32 v[24:25], v[16:17], v[16:17] op_sel:[0,1]
	v_mov_b32_e32 v3, v2
	v_mov_b32_e32 v4, v2
	;; [unrolled: 1-line block ×5, first 2 shown]
	s_mov_b64 s[22:23], 0
	v_pk_mov_b32 v[22:23], v[14:15], v[14:15] op_sel:[0,1]
	v_pk_mov_b32 v[20:21], v[12:13], v[12:13] op_sel:[0,1]
	;; [unrolled: 1-line block ×3, first 2 shown]
                                        ; implicit-def: $sgpr26_sgpr27
                                        ; implicit-def: $vgpr42
	s_and_saveexec_b64 s[20:21], vcc
	s_cbranch_execz .LBB105_73
; %bb.50:
	v_mov_b32_e32 v4, s54
	v_cmp_eq_u32_e32 vcc, v36, v37
	v_pk_mov_b32 v[16:17], s[14:15], s[14:15] op_sel:[0,1]
	v_add_u32_e32 v3, 3, v46
	v_cndmask_b32_e32 v6, v4, v43, vcc
	v_cmp_ne_u32_e32 vcc, v36, v37
	v_pk_mov_b32 v[14:15], s[12:13], s[12:13] op_sel:[0,1]
	v_pk_mov_b32 v[12:13], s[10:11], s[10:11] op_sel:[0,1]
	;; [unrolled: 1-line block ×4, first 2 shown]
	v_cndmask_b32_e64 v7, 0, 1, vcc
	v_cmp_gt_u32_e32 vcc, s7, v3
	v_mov_b32_e32 v3, v2
	v_mov_b32_e32 v4, v2
	;; [unrolled: 1-line block ×3, first 2 shown]
	s_mov_b64 s[24:25], 0
	v_pk_mov_b32 v[22:23], v[14:15], v[14:15] op_sel:[0,1]
	v_pk_mov_b32 v[20:21], v[12:13], v[12:13] op_sel:[0,1]
	;; [unrolled: 1-line block ×3, first 2 shown]
                                        ; implicit-def: $sgpr8_sgpr9
                                        ; implicit-def: $vgpr42
	s_and_saveexec_b64 s[22:23], vcc
	s_cbranch_execz .LBB105_72
; %bb.51:
	ds_read2_b32 v[34:35], v44 offset0:3 offset1:4
	s_mov_b32 s8, 0
	s_mov_b32 s14, s8
	;; [unrolled: 1-line block ×3, first 2 shown]
	v_mov_b32_e32 v3, s54
	v_cmp_eq_u32_e32 vcc, v37, v30
	s_mov_b32 s9, s8
	s_mov_b32 s10, s8
	;; [unrolled: 1-line block ×5, first 2 shown]
	v_pk_mov_b32 v[16:17], s[14:15], s[14:15] op_sel:[0,1]
	v_add_u32_e32 v2, 4, v46
	s_waitcnt lgkmcnt(0)
	v_cndmask_b32_e32 v4, v3, v34, vcc
	v_cmp_ne_u32_e32 vcc, v37, v30
	v_pk_mov_b32 v[14:15], s[12:13], s[12:13] op_sel:[0,1]
	v_pk_mov_b32 v[12:13], s[10:11], s[10:11] op_sel:[0,1]
	;; [unrolled: 1-line block ×4, first 2 shown]
	v_cndmask_b32_e64 v5, 0, 1, vcc
	v_cmp_gt_u32_e32 vcc, s7, v2
	v_mov_b32_e32 v2, s8
	v_mov_b32_e32 v3, s8
	s_mov_b64 s[26:27], 0
	v_pk_mov_b32 v[22:23], v[14:15], v[14:15] op_sel:[0,1]
	v_pk_mov_b32 v[20:21], v[12:13], v[12:13] op_sel:[0,1]
	;; [unrolled: 1-line block ×3, first 2 shown]
                                        ; implicit-def: $sgpr28_sgpr29
                                        ; implicit-def: $vgpr42
	s_and_saveexec_b64 s[24:25], vcc
	s_cbranch_execz .LBB105_71
; %bb.52:
	v_mov_b32_e32 v2, s54
	v_cmp_eq_u32_e32 vcc, v30, v31
	v_add_u32_e32 v10, 5, v46
	v_cndmask_b32_e32 v2, v2, v35, vcc
	v_cmp_ne_u32_e32 vcc, v30, v31
	v_cndmask_b32_e64 v3, 0, 1, vcc
	v_cmp_gt_u32_e32 vcc, s7, v10
	v_pk_mov_b32 v[16:17], s[14:15], s[14:15] op_sel:[0,1]
	v_pk_mov_b32 v[14:15], s[12:13], s[12:13] op_sel:[0,1]
	;; [unrolled: 1-line block ×5, first 2 shown]
	s_mov_b64 s[30:31], 0
	v_pk_mov_b32 v[22:23], v[14:15], v[14:15] op_sel:[0,1]
	v_pk_mov_b32 v[20:21], v[12:13], v[12:13] op_sel:[0,1]
	;; [unrolled: 1-line block ×3, first 2 shown]
                                        ; implicit-def: $sgpr8_sgpr9
                                        ; implicit-def: $vgpr42
	s_and_saveexec_b64 s[26:27], vcc
	s_cbranch_execz .LBB105_70
; %bb.53:
	ds_read2_b32 v[34:35], v44 offset0:5 offset1:6
	v_mov_b32_e32 v11, s54
	v_cmp_eq_u32_e32 vcc, v31, v32
	s_mov_b32 s8, 0
	v_add_u32_e32 v10, 6, v46
	s_waitcnt lgkmcnt(0)
	v_cndmask_b32_e32 v16, v11, v34, vcc
	v_cmp_ne_u32_e32 vcc, v31, v32
	s_mov_b32 s14, s8
	s_mov_b32 s15, s8
	v_cndmask_b32_e64 v17, 0, 1, vcc
	v_cmp_gt_u32_e32 vcc, s7, v10
	v_mov_b32_e32 v10, 0
	s_mov_b32 s9, s8
	s_mov_b32 s10, s8
	;; [unrolled: 1-line block ×5, first 2 shown]
	v_pk_mov_b32 v[24:25], s[14:15], s[14:15] op_sel:[0,1]
	v_mov_b32_e32 v11, v10
	v_mov_b32_e32 v12, v10
	;; [unrolled: 1-line block ×5, first 2 shown]
	v_pk_mov_b32 v[22:23], s[12:13], s[12:13] op_sel:[0,1]
	v_pk_mov_b32 v[20:21], s[10:11], s[10:11] op_sel:[0,1]
	;; [unrolled: 1-line block ×3, first 2 shown]
                                        ; implicit-def: $sgpr40_sgpr41
                                        ; implicit-def: $vgpr42
	s_and_saveexec_b64 s[28:29], vcc
	s_cbranch_execz .LBB105_69
; %bb.54:
	v_mov_b32_e32 v12, s54
	v_cmp_eq_u32_e32 vcc, v32, v33
	v_add_u32_e32 v11, 7, v46
	v_cndmask_b32_e32 v14, v12, v35, vcc
	v_cmp_ne_u32_e32 vcc, v32, v33
	v_pk_mov_b32 v[24:25], s[14:15], s[14:15] op_sel:[0,1]
	v_cndmask_b32_e64 v15, 0, 1, vcc
	v_cmp_gt_u32_e32 vcc, s7, v11
	v_mov_b32_e32 v11, v10
	v_mov_b32_e32 v12, v10
	;; [unrolled: 1-line block ×3, first 2 shown]
	s_mov_b64 s[34:35], 0
	v_pk_mov_b32 v[22:23], s[12:13], s[12:13] op_sel:[0,1]
	v_pk_mov_b32 v[20:21], s[10:11], s[10:11] op_sel:[0,1]
	;; [unrolled: 1-line block ×3, first 2 shown]
                                        ; implicit-def: $sgpr8_sgpr9
                                        ; implicit-def: $vgpr42
	s_and_saveexec_b64 s[30:31], vcc
	s_cbranch_execz .LBB105_68
; %bb.55:
	ds_read2_b32 v[30:31], v44 offset0:7 offset1:8
	s_mov_b32 s8, 0
	v_mov_b32_e32 v11, s54
	v_cmp_eq_u32_e32 vcc, v33, v26
	s_mov_b32 s14, s8
	s_mov_b32 s15, s8
	v_add_u32_e32 v10, 8, v46
	s_waitcnt lgkmcnt(0)
	v_cndmask_b32_e32 v12, v11, v30, vcc
	v_cmp_ne_u32_e32 vcc, v33, v26
	s_mov_b32 s9, s8
	s_mov_b32 s10, s8
	;; [unrolled: 1-line block ×5, first 2 shown]
	v_pk_mov_b32 v[24:25], s[14:15], s[14:15] op_sel:[0,1]
	v_cndmask_b32_e64 v13, 0, 1, vcc
	v_cmp_gt_u32_e32 vcc, s7, v10
	v_mov_b32_e32 v10, s8
	v_mov_b32_e32 v11, s8
	s_mov_b64 s[40:41], 0
	v_pk_mov_b32 v[22:23], s[12:13], s[12:13] op_sel:[0,1]
	v_pk_mov_b32 v[20:21], s[10:11], s[10:11] op_sel:[0,1]
	;; [unrolled: 1-line block ×3, first 2 shown]
                                        ; implicit-def: $sgpr42_sgpr43
                                        ; implicit-def: $vgpr42
	s_and_saveexec_b64 s[34:35], vcc
	s_cbranch_execz .LBB105_67
; %bb.56:
	v_mov_b32_e32 v10, s54
	v_cmp_eq_u32_e32 vcc, v26, v27
	v_add_u32_e32 v18, 9, v46
	v_cndmask_b32_e32 v10, v10, v31, vcc
	v_cmp_ne_u32_e32 vcc, v26, v27
	v_cndmask_b32_e64 v11, 0, 1, vcc
	v_cmp_gt_u32_e32 vcc, s7, v18
	v_pk_mov_b32 v[24:25], s[14:15], s[14:15] op_sel:[0,1]
	v_pk_mov_b32 v[22:23], s[12:13], s[12:13] op_sel:[0,1]
	;; [unrolled: 1-line block ×4, first 2 shown]
                                        ; implicit-def: $sgpr10_sgpr11
                                        ; implicit-def: $vgpr42
	s_and_saveexec_b64 s[8:9], vcc
	s_cbranch_execz .LBB105_66
; %bb.57:
	ds_read2_b32 v[30:31], v44 offset0:9 offset1:10
	v_mov_b32_e32 v18, s54
	v_cmp_eq_u32_e32 vcc, v27, v28
	v_add_u32_e32 v20, 10, v46
	v_mov_b32_e32 v22, 0
	s_waitcnt lgkmcnt(0)
	v_cndmask_b32_e32 v18, v18, v30, vcc
	v_cmp_ne_u32_e32 vcc, v27, v28
	v_cndmask_b32_e64 v19, 0, 1, vcc
	v_cmp_gt_u32_e32 vcc, s7, v20
	v_mov_b32_e32 v20, v22
	v_mov_b32_e32 v21, v22
	;; [unrolled: 1-line block ×5, first 2 shown]
	s_mov_b64 s[12:13], 0
                                        ; implicit-def: $sgpr40_sgpr41
                                        ; implicit-def: $vgpr42
	s_and_saveexec_b64 s[10:11], vcc
	s_cbranch_execz .LBB105_65
; %bb.58:
	v_mov_b32_e32 v20, s54
	v_cmp_eq_u32_e32 vcc, v28, v29
	v_add_u32_e32 v23, 11, v46
	v_cndmask_b32_e32 v20, v20, v31, vcc
	v_cmp_ne_u32_e32 vcc, v28, v29
	v_cndmask_b32_e64 v21, 0, 1, vcc
	v_cmp_gt_u32_e32 vcc, s7, v23
	s_mov_b32 s39, 0
	v_mov_b32_e32 v23, v22
	v_mov_b32_e32 v24, v22
	;; [unrolled: 1-line block ×3, first 2 shown]
	s_mov_b64 s[14:15], 0
                                        ; implicit-def: $sgpr42_sgpr43
                                        ; implicit-def: $vgpr42
	s_and_saveexec_b64 s[12:13], vcc
	s_cbranch_execz .LBB105_64
; %bb.59:
	ds_read2_b32 v[26:27], v44 offset0:11 offset1:12
	v_mov_b32_e32 v22, s54
	v_cmp_eq_u32_e32 vcc, v29, v40
	v_add_u32_e32 v24, 12, v46
	v_mov_b32_e32 v25, s39
	s_waitcnt lgkmcnt(0)
	v_cndmask_b32_e32 v22, v22, v26, vcc
	v_cmp_ne_u32_e32 vcc, v29, v40
	v_cndmask_b32_e64 v23, 0, 1, vcc
	v_cmp_gt_u32_e32 vcc, s7, v24
	v_mov_b32_e32 v24, s39
	s_mov_b64 s[40:41], 0
                                        ; implicit-def: $sgpr42_sgpr43
                                        ; implicit-def: $vgpr42
	s_and_saveexec_b64 s[14:15], vcc
	s_cbranch_execz .LBB105_63
; %bb.60:
	v_mov_b32_e32 v24, s54
	v_cmp_eq_u32_e32 vcc, v40, v41
	v_add_u32_e32 v26, 13, v46
	v_cndmask_b32_e32 v24, v24, v27, vcc
	v_cmp_ne_u32_e32 vcc, v40, v41
	v_cndmask_b32_e64 v25, 0, 1, vcc
	v_cmp_gt_u32_e32 vcc, s7, v26
                                        ; implicit-def: $sgpr42_sgpr43
                                        ; implicit-def: $vgpr42
	s_and_saveexec_b64 s[52:53], vcc
	s_xor_b64 s[52:53], exec, s[52:53]
	s_cbranch_execz .LBB105_62
; %bb.61:
	ds_read_b32 v26, v44 offset:52
	v_mov_b32_e32 v27, s54
	v_cmp_ne_u32_e32 vcc, v41, v45
	s_mov_b64 s[40:41], exec
	s_and_b64 s[42:43], vcc, exec
	s_waitcnt lgkmcnt(0)
	v_cndmask_b32_e32 v42, v26, v27, vcc
.LBB105_62:
	s_or_b64 exec, exec, s[52:53]
	s_and_b64 s[42:43], s[42:43], exec
	s_and_b64 s[40:41], s[40:41], exec
.LBB105_63:
	s_or_b64 exec, exec, s[14:15]
	s_and_b64 s[42:43], s[42:43], exec
	s_and_b64 s[14:15], s[40:41], exec
.LBB105_64:
	s_or_b64 exec, exec, s[12:13]
	s_and_b64 s[40:41], s[42:43], exec
	s_and_b64 s[12:13], s[14:15], exec
.LBB105_65:
	s_or_b64 exec, exec, s[10:11]
	s_and_b64 s[10:11], s[40:41], exec
	s_and_b64 s[40:41], s[12:13], exec
.LBB105_66:
	s_or_b64 exec, exec, s[8:9]
	s_and_b64 s[42:43], s[10:11], exec
	s_and_b64 s[40:41], s[40:41], exec
.LBB105_67:
	s_or_b64 exec, exec, s[34:35]
	s_and_b64 s[8:9], s[42:43], exec
	s_and_b64 s[34:35], s[40:41], exec
.LBB105_68:
	s_or_b64 exec, exec, s[30:31]
	s_and_b64 s[40:41], s[8:9], exec
	s_and_b64 s[30:31], s[34:35], exec
.LBB105_69:
	s_or_b64 exec, exec, s[28:29]
	s_and_b64 s[8:9], s[40:41], exec
	s_and_b64 s[30:31], s[30:31], exec
.LBB105_70:
	s_or_b64 exec, exec, s[26:27]
	s_and_b64 s[28:29], s[8:9], exec
	s_and_b64 s[26:27], s[30:31], exec
.LBB105_71:
	s_or_b64 exec, exec, s[24:25]
	s_and_b64 s[8:9], s[28:29], exec
	s_and_b64 s[24:25], s[26:27], exec
.LBB105_72:
	s_or_b64 exec, exec, s[22:23]
	s_and_b64 s[26:27], s[8:9], exec
	s_and_b64 s[22:23], s[24:25], exec
.LBB105_73:
	s_or_b64 exec, exec, s[20:21]
	s_and_b64 s[8:9], s[26:27], exec
	s_and_b64 s[20:21], s[22:23], exec
.LBB105_74:
	s_or_b64 exec, exec, s[18:19]
	s_and_b64 s[18:19], s[8:9], exec
	s_and_b64 s[20:21], s[20:21], exec
.LBB105_75:
	s_or_b64 exec, exec, s[16:17]
	s_and_b64 vcc, exec, s[2:3]
	s_cbranch_vccnz .LBB105_77
	s_branch .LBB105_82
.LBB105_76:
	s_mov_b64 s[20:21], 0
                                        ; implicit-def: $sgpr18_sgpr19
                                        ; implicit-def: $vgpr2_vgpr3_vgpr4_vgpr5_vgpr6_vgpr7_vgpr8_vgpr9
                                        ; implicit-def: $vgpr10_vgpr11_vgpr12_vgpr13_vgpr14_vgpr15_vgpr16_vgpr17
                                        ; implicit-def: $vgpr18_vgpr19_vgpr20_vgpr21_vgpr22_vgpr23_vgpr24_vgpr25
                                        ; implicit-def: $vgpr42
                                        ; implicit-def: $vgpr38_vgpr39
	s_and_b64 vcc, exec, s[2:3]
	s_cbranch_vccz .LBB105_82
.LBB105_77:
	v_mov_b32_e32 v2, s51
	v_add_co_u32_e32 v6, vcc, s50, v1
	v_addc_co_u32_e32 v7, vcc, 0, v2, vcc
	v_add_co_u32_e32 v2, vcc, 0x1000, v6
	v_addc_co_u32_e32 v3, vcc, 0, v7, vcc
	;; [unrolled: 2-line block ×3, first 2 shown]
	global_load_dword v8, v1, s[50:51]
	global_load_dword v9, v1, s[50:51] offset:1024
	global_load_dword v10, v1, s[50:51] offset:2048
	;; [unrolled: 1-line block ×3, first 2 shown]
	global_load_dword v12, v[2:3], off
	global_load_dword v13, v[2:3], off offset:1024
	global_load_dword v14, v[2:3], off offset:2048
	;; [unrolled: 1-line block ×3, first 2 shown]
	global_load_dword v16, v[4:5], off
	global_load_dword v17, v[4:5], off offset:1024
	global_load_dword v18, v[4:5], off offset:2048
	;; [unrolled: 1-line block ×3, first 2 shown]
	v_add_co_u32_e32 v2, vcc, 0x3000, v6
	v_addc_co_u32_e32 v3, vcc, 0, v7, vcc
	global_load_dword v4, v[2:3], off
	global_load_dword v5, v[2:3], off offset:1024
	v_mad_u32_u24 v6, v0, 52, v1
	s_movk_i32 s8, 0xffcc
	v_mad_i32_i24 v2, v0, s8, v6
	s_movk_i32 s9, 0xff
	s_movk_i32 s10, 0x1000
	s_mov_b32 s2, 0
	s_movk_i32 s7, 0x2000
	s_movk_i32 s3, 0x3000
	v_cmp_ne_u32_e32 vcc, s9, v0
	s_waitcnt vmcnt(12)
	ds_write2st64_b32 v1, v8, v9 offset1:4
	s_waitcnt vmcnt(10)
	ds_write2st64_b32 v1, v10, v11 offset0:8 offset1:12
	s_waitcnt vmcnt(8)
	ds_write2st64_b32 v1, v12, v13 offset0:16 offset1:20
	;; [unrolled: 2-line block ×6, first 2 shown]
	s_waitcnt lgkmcnt(0)
	s_barrier
	ds_read2_b32 v[26:27], v6 offset1:13
	ds_read2_b32 v[18:19], v6 offset0:7 offset1:8
	ds_read2_b32 v[20:21], v6 offset0:5 offset1:6
	;; [unrolled: 1-line block ×6, first 2 shown]
	s_load_dword s8, s[50:51], 0x3800
	s_waitcnt lgkmcnt(0)
	ds_write_b32 v2, v26 offset:15360
	s_waitcnt lgkmcnt(0)
	s_barrier
	v_mov_b32_e32 v34, s8
	s_and_saveexec_b64 s[8:9], vcc
	s_cbranch_execz .LBB105_79
; %bb.78:
	ds_read_b32 v34, v1 offset:15364
.LBB105_79:
	s_or_b64 exec, exec, s[8:9]
	v_mov_b32_e32 v2, s49
	v_add_co_u32_e32 v7, vcc, s48, v1
	v_addc_co_u32_e32 v8, vcc, 0, v2, vcc
	v_add_co_u32_e32 v2, vcc, s10, v7
	v_addc_co_u32_e32 v3, vcc, 0, v8, vcc
	v_add_co_u32_e32 v4, vcc, s7, v7
	v_addc_co_u32_e32 v5, vcc, 0, v8, vcc
	s_waitcnt lgkmcnt(0)
	s_barrier
	global_load_dword v9, v1, s[48:49] offset:1024
	global_load_dword v14, v1, s[48:49] offset:2048
	;; [unrolled: 1-line block ×3, first 2 shown]
	global_load_dword v16, v[2:3], off offset:1024
	global_load_dword v17, v[2:3], off offset:2048
	;; [unrolled: 1-line block ×3, first 2 shown]
	global_load_dword v23, v[4:5], off offset:-4096
	global_load_dword v24, v[4:5], off
	global_load_dword v25, v[4:5], off offset:1024
	global_load_dword v32, v[4:5], off offset:2048
	global_load_dword v33, v1, s[48:49]
	global_load_dword v35, v[4:5], off offset:3072
	v_add_co_u32_e32 v2, vcc, s3, v7
	v_addc_co_u32_e32 v3, vcc, 0, v8, vcc
	global_load_dword v4, v[2:3], off
	global_load_dword v5, v[2:3], off offset:1024
	s_mov_b32 s3, 1
	v_cmp_eq_u32_e32 vcc, v26, v12
	v_pk_mov_b32 v[38:39], s[2:3], s[2:3] op_sel:[0,1]
	v_mov_b32_e32 v7, s54
	s_waitcnt vmcnt(3)
	ds_write2st64_b32 v1, v33, v9 offset1:4
	ds_write2st64_b32 v1, v14, v15 offset0:8 offset1:12
	ds_write2st64_b32 v1, v17, v22 offset0:24 offset1:28
	;; [unrolled: 1-line block ×4, first 2 shown]
	s_waitcnt vmcnt(2)
	ds_write2st64_b32 v1, v32, v35 offset0:40 offset1:44
	s_waitcnt vmcnt(0)
	ds_write2st64_b32 v1, v4, v5 offset0:48 offset1:52
	s_waitcnt lgkmcnt(0)
	s_barrier
	ds_read2_b32 v[24:25], v6 offset0:7 offset1:8
	ds_read2_b32 v[14:15], v6 offset0:5 offset1:6
	;; [unrolled: 1-line block ×4, first 2 shown]
	ds_read_b32 v1, v6 offset:52
	ds_read2_b32 v[22:23], v6 offset0:11 offset1:12
	ds_read2_b32 v[32:33], v6 offset0:9 offset1:10
	s_and_saveexec_b64 s[2:3], vcc
	s_cbranch_execz .LBB105_81
; %bb.80:
	ds_read_b32 v7, v6
	v_pk_mov_b32 v[38:39], 0, 0
.LBB105_81:
	s_or_b64 exec, exec, s[2:3]
	v_mov_b32_e32 v26, s54
	v_cmp_eq_u32_e32 vcc, v12, v13
	s_waitcnt lgkmcnt(3)
	v_cndmask_b32_e32 v8, v26, v4, vcc
	v_cmp_eq_u32_e32 vcc, v13, v10
	v_cndmask_b32_e32 v6, v26, v5, vcc
	v_cmp_eq_u32_e32 vcc, v10, v11
	;; [unrolled: 2-line block ×3, first 2 shown]
	v_cndmask_b32_e32 v2, v26, v3, vcc
	v_cmp_ne_u32_e32 vcc, v12, v13
	v_cndmask_b32_e64 v9, 0, 1, vcc
	v_cmp_ne_u32_e32 vcc, v13, v10
	s_waitcnt lgkmcnt(0)
	v_or_b32_e32 v38, v38, v7
	v_cndmask_b32_e64 v7, 0, 1, vcc
	v_cmp_ne_u32_e32 vcc, v10, v11
	v_cndmask_b32_e64 v5, 0, 1, vcc
	v_cmp_ne_u32_e32 vcc, v11, v20
	v_cndmask_b32_e64 v3, 0, 1, vcc
	v_cmp_eq_u32_e32 vcc, v20, v21
	v_cndmask_b32_e32 v16, v26, v14, vcc
	v_cmp_eq_u32_e32 vcc, v21, v18
	v_cndmask_b32_e32 v14, v26, v15, vcc
	;; [unrolled: 2-line block ×4, first 2 shown]
	v_cmp_ne_u32_e32 vcc, v20, v21
	v_cndmask_b32_e64 v17, 0, 1, vcc
	v_cmp_ne_u32_e32 vcc, v21, v18
	v_cndmask_b32_e64 v15, 0, 1, vcc
	;; [unrolled: 2-line block ×4, first 2 shown]
	v_cmp_eq_u32_e32 vcc, v31, v27
	v_cndmask_b32_e32 v24, v26, v23, vcc
	v_cmp_eq_u32_e32 vcc, v30, v31
	v_cndmask_b32_e32 v22, v26, v22, vcc
	;; [unrolled: 2-line block ×4, first 2 shown]
	v_cmp_ne_u32_e32 vcc, v31, v27
	v_cndmask_b32_e64 v25, 0, 1, vcc
	v_cmp_ne_u32_e32 vcc, v30, v31
	v_cndmask_b32_e64 v23, 0, 1, vcc
	;; [unrolled: 2-line block ×3, first 2 shown]
	v_cmp_ne_u32_e32 vcc, v28, v29
	v_cmp_ne_u32_e64 s[18:19], v27, v34
	v_cndmask_b32_e64 v19, 0, 1, vcc
	v_cndmask_b32_e64 v42, v1, v26, s[18:19]
	s_mov_b64 s[20:21], -1
                                        ; implicit-def: $sgpr2_sgpr3
.LBB105_82:
	v_pk_mov_b32 v[40:41], s[2:3], s[2:3] op_sel:[0,1]
	s_and_saveexec_b64 s[2:3], s[20:21]
; %bb.83:
	v_cndmask_b32_e64 v43, 0, 1, s[18:19]
	v_pk_mov_b32 v[40:41], v[42:43], v[42:43] op_sel:[0,1]
; %bb.84:
	s_or_b64 exec, exec, s[2:3]
	s_mov_b32 s28, 0
	s_cmp_lg_u32 s6, 0
	v_mbcnt_lo_u32_b32 v1, -1, 0
	s_barrier
	s_cbranch_scc0 .LBB105_135
; %bb.85:
	s_mov_b32 s29, 1
	v_cmp_gt_u64_e64 s[2:3], s[28:29], v[8:9]
	v_cndmask_b32_e64 v27, 0, v38, s[2:3]
	v_add_u32_e32 v27, v27, v8
	v_cmp_gt_u64_e64 s[30:31], s[28:29], v[6:7]
	v_cndmask_b32_e64 v27, 0, v27, s[30:31]
	v_add_u32_e32 v27, v27, v6
	;; [unrolled: 3-line block ×12, first 2 shown]
	v_cmp_gt_u64_e32 vcc, s[28:29], v[40:41]
	v_cndmask_b32_e32 v27, 0, v27, vcc
	v_add_u32_e32 v28, v27, v40
	v_or3_b32 v27, v41, v25, v23
	v_or3_b32 v27, v27, v21, v19
	;; [unrolled: 1-line block ×6, first 2 shown]
	v_mov_b32_e32 v26, 0
	v_and_b32_e32 v27, 1, v27
	v_cmp_eq_u64_e32 vcc, 0, v[26:27]
	v_cndmask_b32_e32 v27, 1, v39, vcc
	v_and_b32_e32 v29, 0xff, v27
	v_mbcnt_hi_u32_b32 v44, -1, v1
	v_mov_b32_dpp v26, v28 row_shr:1 row_mask:0xf bank_mask:0xf
	v_mov_b32_dpp v31, v29 row_shr:1 row_mask:0xf bank_mask:0xf
	v_cmp_eq_u16_e32 vcc, 0, v29
	v_and_b32_e32 v32, 1, v27
	v_and_b32_e32 v30, 15, v44
	v_cndmask_b32_e32 v26, 0, v26, vcc
	v_and_b32_e32 v31, 1, v31
	v_cmp_eq_u32_e32 vcc, 1, v32
	v_cndmask_b32_e64 v31, v31, 1, vcc
	v_cmp_eq_u32_e32 vcc, 0, v30
	v_and_b32_e32 v32, 0xffff, v31
	v_cndmask_b32_e64 v26, v26, 0, vcc
	v_add_u32_e32 v26, v26, v28
	v_cndmask_b32_e32 v28, v32, v29, vcc
	v_cndmask_b32_e32 v27, v31, v27, vcc
	v_mov_b32_dpp v32, v26 row_shr:2 row_mask:0xf bank_mask:0xf
	v_mov_b32_dpp v33, v28 row_shr:2 row_mask:0xf bank_mask:0xf
	v_cmp_lt_u32_e32 vcc, 1, v30
	v_mov_b32_e32 v29, v28
	s_and_saveexec_b64 s[28:29], vcc
; %bb.86:
	v_and_b32_e32 v27, 1, v31
	v_and_b32_e32 v28, 1, v33
	v_cmp_eq_u32_e32 vcc, 1, v27
	v_cndmask_b32_e64 v27, v28, 1, vcc
	v_cmp_eq_u16_e32 vcc, 0, v31
	v_cndmask_b32_e32 v28, 0, v32, vcc
	v_and_b32_e32 v29, 0xffff, v27
	v_add_u32_e32 v26, v28, v26
	v_mov_b32_e32 v28, v27
; %bb.87:
	s_or_b64 exec, exec, s[28:29]
	v_mov_b32_dpp v31, v26 row_shr:4 row_mask:0xf bank_mask:0xf
	v_mov_b32_dpp v32, v29 row_shr:4 row_mask:0xf bank_mask:0xf
	v_cmp_lt_u32_e32 vcc, 3, v30
	s_and_saveexec_b64 s[28:29], vcc
; %bb.88:
	v_and_b32_e32 v27, 1, v28
	v_and_b32_e32 v29, 1, v32
	v_cmp_eq_u32_e32 vcc, 1, v27
	v_cndmask_b32_e64 v27, v29, 1, vcc
	v_cmp_eq_u16_e32 vcc, 0, v28
	v_cndmask_b32_e32 v28, 0, v31, vcc
	v_and_b32_e32 v29, 0xffff, v27
	v_add_u32_e32 v26, v28, v26
	v_mov_b32_e32 v28, v27
; %bb.89:
	s_or_b64 exec, exec, s[28:29]
	v_mov_b32_dpp v31, v26 row_shr:8 row_mask:0xf bank_mask:0xf
	v_mov_b32_dpp v32, v29 row_shr:8 row_mask:0xf bank_mask:0xf
	v_cmp_lt_u32_e32 vcc, 7, v30
	s_and_saveexec_b64 s[28:29], vcc
; %bb.90:
	v_and_b32_e32 v27, 1, v28
	v_and_b32_e32 v29, 1, v32
	v_cmp_eq_u32_e32 vcc, 1, v27
	v_cndmask_b32_e64 v27, v29, 1, vcc
	v_cmp_eq_u16_e32 vcc, 0, v28
	v_cndmask_b32_e32 v28, 0, v31, vcc
	v_and_b32_e32 v29, 0xffff, v27
	v_add_u32_e32 v26, v28, v26
	v_mov_b32_e32 v28, v27
; %bb.91:
	s_or_b64 exec, exec, s[28:29]
	v_and_b32_e32 v32, 16, v44
	v_mov_b32_dpp v30, v26 row_bcast:15 row_mask:0xf bank_mask:0xf
	v_mov_b32_dpp v31, v29 row_bcast:15 row_mask:0xf bank_mask:0xf
	v_cmp_ne_u32_e32 vcc, 0, v32
	s_and_saveexec_b64 s[28:29], vcc
; %bb.92:
	v_and_b32_e32 v27, 1, v28
	v_and_b32_e32 v29, 1, v31
	v_cmp_eq_u32_e32 vcc, 1, v27
	v_cndmask_b32_e64 v27, v29, 1, vcc
	v_cmp_eq_u16_e32 vcc, 0, v28
	v_cndmask_b32_e32 v28, 0, v30, vcc
	v_and_b32_e32 v29, 0xffff, v27
	v_add_u32_e32 v26, v28, v26
	v_mov_b32_e32 v28, v27
; %bb.93:
	s_or_b64 exec, exec, s[28:29]
	v_mov_b32_e32 v31, 0
	v_mov_b32_dpp v29, v29 row_bcast:31 row_mask:0xf bank_mask:0xf
	v_cmp_eq_u16_sdwa s[28:29], v28, v31 src0_sel:BYTE_0 src1_sel:DWORD
	v_and_b32_e32 v28, 1, v28
	v_and_b32_e32 v29, 1, v29
	v_cmp_eq_u32_e32 vcc, 1, v28
	v_cndmask_b32_e64 v28, v29, 1, vcc
	v_cmp_lt_u32_e32 vcc, 31, v44
	v_mov_b32_dpp v30, v26 row_bcast:31 row_mask:0xf bank_mask:0xf
	v_cndmask_b32_e32 v29, v27, v28, vcc
	s_and_b64 vcc, vcc, s[28:29]
	v_cndmask_b32_e32 v27, 0, v30, vcc
	v_add_u32_e32 v28, v27, v26
	v_or_b32_e32 v26, 63, v0
	v_lshrrev_b32_e32 v30, 6, v0
	v_cmp_eq_u32_e32 vcc, v26, v0
	s_and_saveexec_b64 s[28:29], vcc
	s_cbranch_execz .LBB105_95
; %bb.94:
	v_lshlrev_b32_e32 v26, 3, v30
	ds_write_b32 v26, v28
	ds_write_b8 v26, v29 offset:4
.LBB105_95:
	s_or_b64 exec, exec, s[28:29]
	v_cmp_gt_u32_e32 vcc, 4, v0
	s_waitcnt lgkmcnt(0)
	s_barrier
	s_and_saveexec_b64 s[28:29], vcc
	s_cbranch_execz .LBB105_101
; %bb.96:
	v_lshlrev_b32_e32 v31, 3, v0
	ds_read_b64 v[26:27], v31
	v_and_b32_e32 v32, 3, v44
	v_cmp_ne_u32_e32 vcc, 0, v32
	s_waitcnt lgkmcnt(0)
	v_mov_b32_dpp v34, v26 row_shr:1 row_mask:0xf bank_mask:0xf
	v_mov_b32_dpp v35, v27 row_shr:1 row_mask:0xf bank_mask:0xf
	v_mov_b32_e32 v33, v27
	s_and_saveexec_b64 s[34:35], vcc
	s_cbranch_execz .LBB105_98
; %bb.97:
	v_and_b32_e32 v33, 1, v27
	v_and_b32_e32 v35, 1, v35
	v_cmp_eq_u32_e32 vcc, 1, v33
	v_mov_b32_e32 v33, 0
	v_cndmask_b32_e64 v35, v35, 1, vcc
	v_cmp_eq_u16_sdwa vcc, v27, v33 src0_sel:BYTE_0 src1_sel:DWORD
	v_cndmask_b32_e32 v33, 0, v34, vcc
	v_add_u32_e32 v26, v33, v26
	v_and_b32_e32 v33, 0xffff, v35
	s_movk_i32 s7, 0xff00
	v_and_or_b32 v33, v27, s7, v33
	v_mov_b32_e32 v27, v35
.LBB105_98:
	s_or_b64 exec, exec, s[34:35]
	v_mov_b32_dpp v34, v26 row_shr:2 row_mask:0xf bank_mask:0xf
	v_mov_b32_dpp v35, v33 row_shr:2 row_mask:0xf bank_mask:0xf
	v_cmp_lt_u32_e32 vcc, 1, v32
	s_and_saveexec_b64 s[34:35], vcc
; %bb.99:
	v_and_b32_e32 v27, 1, v33
	v_and_b32_e32 v32, 1, v35
	v_cmp_eq_u32_e32 vcc, 1, v27
	v_cndmask_b32_e64 v27, v32, 1, vcc
	v_mov_b32_e32 v32, 0
	v_cmp_eq_u32_sdwa vcc, v33, v32 src0_sel:BYTE_0 src1_sel:DWORD
	v_cndmask_b32_e32 v32, 0, v34, vcc
	v_add_u32_e32 v26, v32, v26
; %bb.100:
	s_or_b64 exec, exec, s[34:35]
	ds_write_b32 v31, v26
	ds_write_b8 v31, v27 offset:4
.LBB105_101:
	s_or_b64 exec, exec, s[28:29]
	v_cmp_gt_u32_e32 vcc, 64, v0
	v_cmp_lt_u32_e64 s[28:29], 63, v0
	v_mov_b32_e32 v42, 0
	v_mov_b32_e32 v43, 0
	s_waitcnt lgkmcnt(0)
	s_barrier
	s_and_saveexec_b64 s[34:35], s[28:29]
	s_cbranch_execz .LBB105_103
; %bb.102:
	v_lshl_add_u32 v26, v30, 3, -8
	ds_read_b32 v42, v26
	ds_read_u8 v43, v26 offset:4
	v_mov_b32_e32 v27, 0
	v_and_b32_e32 v30, 1, v29
	v_cmp_eq_u16_sdwa s[28:29], v29, v27 src0_sel:BYTE_0 src1_sel:DWORD
	s_waitcnt lgkmcnt(1)
	v_cndmask_b32_e64 v26, 0, v42, s[28:29]
	v_cmp_eq_u32_e64 s[28:29], 1, v30
	v_add_u32_e32 v28, v26, v28
	s_waitcnt lgkmcnt(0)
	v_cndmask_b32_e64 v29, v43, 1, s[28:29]
.LBB105_103:
	s_or_b64 exec, exec, s[34:35]
	v_and_b32_e32 v26, 0xff, v29
	v_add_u32_e32 v27, -1, v44
	v_and_b32_e32 v29, 64, v44
	v_cmp_lt_i32_e64 s[28:29], v27, v29
	v_cndmask_b32_e64 v27, v27, v44, s[28:29]
	v_lshlrev_b32_e32 v27, 2, v27
	ds_bpermute_b32 v45, v27, v28
	ds_bpermute_b32 v46, v27, v26
	v_cmp_eq_u32_e64 s[28:29], 0, v44
	s_and_saveexec_b64 s[40:41], vcc
	s_cbranch_execz .LBB105_122
; %bb.104:
	v_mov_b32_e32 v29, 0
	ds_read_b64 v[26:27], v29 offset:24
	s_waitcnt lgkmcnt(0)
	v_readfirstlane_b32 s7, v27
	s_and_saveexec_b64 s[34:35], s[28:29]
	s_cbranch_execz .LBB105_106
; %bb.105:
	s_add_i32 s42, s6, 64
	s_mov_b32 s43, 0
	s_lshl_b64 s[48:49], s[42:43], 4
	s_add_u32 s48, s36, s48
	s_addc_u32 s49, s37, s49
	s_and_b32 s51, s7, 0xff000000
	s_mov_b32 s50, s43
	s_and_b32 s53, s7, 0xff0000
	s_mov_b32 s52, s43
	s_or_b64 s[50:51], s[52:53], s[50:51]
	s_and_b32 s53, s7, 0xff00
	s_or_b64 s[50:51], s[50:51], s[52:53]
	s_and_b32 s53, s7, 0xff
	s_or_b64 s[42:43], s[50:51], s[52:53]
	v_mov_b32_e32 v27, s43
	v_mov_b32_e32 v28, 1
	v_pk_mov_b32 v[30:31], s[48:49], s[48:49] op_sel:[0,1]
	;;#ASMSTART
	global_store_dwordx4 v[30:31], v[26:29] off	
s_waitcnt vmcnt(0)
	;;#ASMEND
.LBB105_106:
	s_or_b64 exec, exec, s[34:35]
	v_xad_u32 v34, v44, -1, s6
	v_add_u32_e32 v28, 64, v34
	v_lshlrev_b64 v[30:31], 4, v[28:29]
	v_mov_b32_e32 v27, s37
	v_add_co_u32_e32 v36, vcc, s36, v30
	v_addc_co_u32_e32 v37, vcc, v27, v31, vcc
	;;#ASMSTART
	global_load_dwordx4 v[30:33], v[36:37] off glc	
s_waitcnt vmcnt(0)
	;;#ASMEND
	v_cmp_eq_u16_sdwa s[42:43], v32, v29 src0_sel:BYTE_0 src1_sel:DWORD
	s_and_saveexec_b64 s[34:35], s[42:43]
	s_cbranch_execz .LBB105_110
; %bb.107:
	s_mov_b64 s[42:43], 0
	v_mov_b32_e32 v27, 0
.LBB105_108:                            ; =>This Inner Loop Header: Depth=1
	;;#ASMSTART
	global_load_dwordx4 v[30:33], v[36:37] off glc	
s_waitcnt vmcnt(0)
	;;#ASMEND
	v_cmp_ne_u16_sdwa s[48:49], v32, v27 src0_sel:BYTE_0 src1_sel:DWORD
	s_or_b64 s[42:43], s[48:49], s[42:43]
	s_andn2_b64 exec, exec, s[42:43]
	s_cbranch_execnz .LBB105_108
; %bb.109:
	s_or_b64 exec, exec, s[42:43]
.LBB105_110:
	s_or_b64 exec, exec, s[34:35]
	v_mov_b32_e32 v27, 2
	v_cmp_eq_u16_sdwa s[34:35], v32, v27 src0_sel:BYTE_0 src1_sel:DWORD
	v_lshlrev_b64 v[28:29], v44, -1
	v_and_b32_e32 v33, s35, v29
	v_or_b32_e32 v33, 0x80000000, v33
	v_and_b32_e32 v35, s34, v28
	v_ffbl_b32_e32 v33, v33
	v_and_b32_e32 v57, 63, v44
	v_add_u32_e32 v33, 32, v33
	v_ffbl_b32_e32 v35, v35
	v_cmp_ne_u32_e32 vcc, 63, v57
	v_min_u32_e32 v33, v35, v33
	v_addc_co_u32_e32 v35, vcc, 0, v44, vcc
	v_and_b32_e32 v37, 0xff, v31
	v_lshlrev_b32_e32 v47, 2, v35
	ds_bpermute_b32 v35, v47, v37
	ds_bpermute_b32 v49, v47, v30
	s_mov_b32 s42, 0
	v_and_b32_e32 v31, 1, v31
	v_mov_b32_e32 v36, v30
	s_mov_b32 s43, 1
	s_waitcnt lgkmcnt(1)
	v_and_b32_e32 v35, 1, v35
	v_cmp_eq_u32_e32 vcc, 1, v31
	v_add_u32_e32 v48, 1, v44
	v_cndmask_b32_e64 v31, v35, 1, vcc
	v_cmp_gt_u64_e32 vcc, s[42:43], v[36:37]
	v_and_b32_e32 v35, 0xffff, v31
	s_waitcnt lgkmcnt(0)
	v_cndmask_b32_e32 v36, 0, v49, vcc
	v_cmp_gt_u32_e32 vcc, v48, v33
	v_cndmask_b32_e32 v31, v31, v37, vcc
	v_cndmask_b32_e64 v36, v36, 0, vcc
	v_cndmask_b32_e32 v35, v35, v37, vcc
	v_cmp_gt_u32_e32 vcc, 62, v57
	v_cndmask_b32_e64 v37, 0, 1, vcc
	v_lshlrev_b32_e32 v37, 1, v37
	v_add_lshl_u32 v49, v37, v44, 2
	ds_bpermute_b32 v37, v49, v35
	v_add_u32_e32 v30, v36, v30
	ds_bpermute_b32 v36, v49, v30
	v_and_b32_e32 v51, 1, v31
	v_cmp_eq_u32_e32 vcc, 1, v51
	s_waitcnt lgkmcnt(1)
	v_and_b32_e32 v37, 1, v37
	v_add_u32_e32 v50, 2, v44
	v_cndmask_b32_e64 v37, v37, 1, vcc
	v_cmp_eq_u16_e32 vcc, 0, v31
	v_and_b32_e32 v51, 0xffff, v37
	s_waitcnt lgkmcnt(0)
	v_cndmask_b32_e32 v36, 0, v36, vcc
	v_cmp_gt_u32_e32 vcc, v50, v33
	v_cndmask_b32_e32 v31, v37, v31, vcc
	v_cndmask_b32_e64 v36, v36, 0, vcc
	v_cndmask_b32_e32 v35, v51, v35, vcc
	v_cmp_gt_u32_e32 vcc, 60, v57
	v_cndmask_b32_e64 v37, 0, 1, vcc
	v_lshlrev_b32_e32 v37, 2, v37
	v_add_lshl_u32 v51, v37, v44, 2
	ds_bpermute_b32 v37, v51, v35
	v_add_u32_e32 v30, v36, v30
	ds_bpermute_b32 v36, v51, v30
	v_and_b32_e32 v53, 1, v31
	v_cmp_eq_u32_e32 vcc, 1, v53
	s_waitcnt lgkmcnt(1)
	v_and_b32_e32 v37, 1, v37
	v_add_u32_e32 v52, 4, v44
	v_cndmask_b32_e64 v37, v37, 1, vcc
	v_cmp_eq_u16_e32 vcc, 0, v31
	;; [unrolled: 21-line block ×3, first 2 shown]
	v_and_b32_e32 v55, 0xffff, v37
	s_waitcnt lgkmcnt(0)
	v_cndmask_b32_e32 v36, 0, v36, vcc
	v_cmp_gt_u32_e32 vcc, v54, v33
	v_cndmask_b32_e32 v31, v37, v31, vcc
	v_cndmask_b32_e64 v36, v36, 0, vcc
	v_cndmask_b32_e32 v37, v55, v35, vcc
	v_cmp_gt_u32_e32 vcc, 48, v57
	v_cndmask_b32_e64 v35, 0, 1, vcc
	v_lshlrev_b32_e32 v35, 4, v35
	v_add_lshl_u32 v55, v35, v44, 2
	ds_bpermute_b32 v35, v55, v37
	v_add_u32_e32 v30, v36, v30
	ds_bpermute_b32 v36, v55, v30
	v_and_b32_e32 v58, 1, v31
	v_cmp_eq_u32_e32 vcc, 1, v58
	s_waitcnt lgkmcnt(1)
	v_and_b32_e32 v35, 1, v35
	v_cndmask_b32_e64 v58, v35, 1, vcc
	v_mov_b32_e32 v35, 0
	v_add_u32_e32 v56, 16, v44
	v_cmp_eq_u16_sdwa vcc, v31, v35 src0_sel:BYTE_0 src1_sel:DWORD
	s_waitcnt lgkmcnt(0)
	v_cndmask_b32_e32 v36, 0, v36, vcc
	v_cmp_gt_u32_e32 vcc, v56, v33
	v_cndmask_b32_e64 v36, v36, 0, vcc
	v_cmp_gt_u32_e64 s[34:35], 32, v57
	v_add_u32_e32 v30, v36, v30
	v_cndmask_b32_e64 v36, 0, 1, s[34:35]
	v_and_b32_e32 v59, 0xffff, v58
	v_lshlrev_b32_e32 v36, 5, v36
	v_cndmask_b32_e32 v31, v58, v31, vcc
	v_add_lshl_u32 v58, v36, v44, 2
	v_cndmask_b32_e32 v37, v59, v37, vcc
	ds_bpermute_b32 v36, v58, v30
	ds_bpermute_b32 v37, v58, v37
	v_add_u32_e32 v59, 32, v44
	v_cmp_eq_u16_sdwa vcc, v31, v35 src0_sel:BYTE_0 src1_sel:DWORD
	v_and_b32_e32 v44, 1, v31
	s_waitcnt lgkmcnt(1)
	v_cndmask_b32_e32 v36, 0, v36, vcc
	s_waitcnt lgkmcnt(0)
	v_and_b32_e32 v37, 1, v37
	v_cmp_eq_u32_e32 vcc, 1, v44
	v_cndmask_b32_e64 v37, v37, 1, vcc
	v_cmp_gt_u32_e32 vcc, v59, v33
	v_cndmask_b32_e64 v33, v36, 0, vcc
	v_cndmask_b32_e32 v31, v37, v31, vcc
	v_add_u32_e32 v30, v33, v30
	s_branch .LBB105_112
.LBB105_111:                            ;   in Loop: Header=BB105_112 Depth=1
	s_or_b64 exec, exec, s[34:35]
	v_cmp_eq_u16_sdwa s[34:35], v32, v27 src0_sel:BYTE_0 src1_sel:DWORD
	v_and_b32_e32 v33, s35, v29
	v_and_b32_e32 v37, 0xff, v31
	v_or_b32_e32 v33, 0x80000000, v33
	v_and_b32_e32 v60, s34, v28
	v_ffbl_b32_e32 v33, v33
	ds_bpermute_b32 v61, v47, v37
	v_add_u32_e32 v33, 32, v33
	v_ffbl_b32_e32 v60, v60
	v_min_u32_e32 v33, v60, v33
	ds_bpermute_b32 v60, v47, v30
	v_and_b32_e32 v31, 1, v31
	v_mov_b32_e32 v36, v30
	s_waitcnt lgkmcnt(1)
	v_and_b32_e32 v61, 1, v61
	v_cmp_eq_u32_e32 vcc, 1, v31
	v_cndmask_b32_e64 v31, v61, 1, vcc
	v_cmp_gt_u64_e32 vcc, s[42:43], v[36:37]
	v_and_b32_e32 v61, 0xffff, v31
	s_waitcnt lgkmcnt(0)
	v_cndmask_b32_e32 v36, 0, v60, vcc
	v_cmp_gt_u32_e32 vcc, v48, v33
	v_cndmask_b32_e32 v31, v31, v37, vcc
	v_cndmask_b32_e32 v37, v61, v37, vcc
	ds_bpermute_b32 v60, v49, v37
	v_cndmask_b32_e64 v36, v36, 0, vcc
	v_add_u32_e32 v30, v36, v30
	ds_bpermute_b32 v36, v49, v30
	v_and_b32_e32 v61, 1, v31
	s_waitcnt lgkmcnt(1)
	v_and_b32_e32 v60, 1, v60
	v_cmp_eq_u32_e32 vcc, 1, v61
	v_cndmask_b32_e64 v60, v60, 1, vcc
	v_cmp_eq_u16_e32 vcc, 0, v31
	v_and_b32_e32 v61, 0xffff, v60
	s_waitcnt lgkmcnt(0)
	v_cndmask_b32_e32 v36, 0, v36, vcc
	v_cmp_gt_u32_e32 vcc, v50, v33
	v_cndmask_b32_e32 v37, v61, v37, vcc
	v_cndmask_b32_e32 v31, v60, v31, vcc
	ds_bpermute_b32 v60, v51, v37
	v_cndmask_b32_e64 v36, v36, 0, vcc
	v_add_u32_e32 v30, v36, v30
	ds_bpermute_b32 v36, v51, v30
	v_and_b32_e32 v61, 1, v31
	s_waitcnt lgkmcnt(1)
	v_and_b32_e32 v60, 1, v60
	v_cmp_eq_u32_e32 vcc, 1, v61
	v_cndmask_b32_e64 v60, v60, 1, vcc
	v_cmp_eq_u16_e32 vcc, 0, v31
	;; [unrolled: 16-line block ×3, first 2 shown]
	v_and_b32_e32 v61, 0xffff, v60
	s_waitcnt lgkmcnt(0)
	v_cndmask_b32_e32 v36, 0, v36, vcc
	v_cmp_gt_u32_e32 vcc, v54, v33
	v_cndmask_b32_e32 v37, v61, v37, vcc
	v_cndmask_b32_e32 v31, v60, v31, vcc
	ds_bpermute_b32 v60, v55, v37
	v_cndmask_b32_e64 v36, v36, 0, vcc
	v_add_u32_e32 v30, v36, v30
	ds_bpermute_b32 v36, v55, v30
	v_and_b32_e32 v61, 1, v31
	s_waitcnt lgkmcnt(1)
	v_and_b32_e32 v60, 1, v60
	v_cmp_eq_u32_e32 vcc, 1, v61
	v_cndmask_b32_e64 v60, v60, 1, vcc
	v_cmp_eq_u16_sdwa vcc, v31, v35 src0_sel:BYTE_0 src1_sel:DWORD
	s_waitcnt lgkmcnt(0)
	v_cndmask_b32_e32 v36, 0, v36, vcc
	v_cmp_gt_u32_e32 vcc, v56, v33
	v_cndmask_b32_e64 v36, v36, 0, vcc
	v_cndmask_b32_e32 v31, v60, v31, vcc
	v_add_u32_e32 v30, v36, v30
	v_and_b32_e32 v60, 0xffff, v60
	ds_bpermute_b32 v36, v58, v30
	v_cndmask_b32_e32 v37, v60, v37, vcc
	ds_bpermute_b32 v37, v58, v37
	v_cmp_eq_u16_sdwa vcc, v31, v35 src0_sel:BYTE_0 src1_sel:DWORD
	v_and_b32_e32 v60, 1, v31
	s_waitcnt lgkmcnt(1)
	v_cndmask_b32_e32 v36, 0, v36, vcc
	v_cmp_eq_u32_e32 vcc, 1, v60
	s_waitcnt lgkmcnt(0)
	v_cndmask_b32_e64 v37, v37, 1, vcc
	v_cmp_gt_u32_e32 vcc, v59, v33
	v_cndmask_b32_e64 v33, v36, 0, vcc
	v_cndmask_b32_e32 v31, v37, v31, vcc
	v_add_u32_e32 v30, v33, v30
	v_cmp_eq_u16_sdwa vcc, v44, v35 src0_sel:BYTE_0 src1_sel:DWORD
	v_and_b32_e32 v33, 1, v44
	v_cndmask_b32_e32 v30, 0, v30, vcc
	v_and_b32_e32 v31, 1, v31
	v_cmp_eq_u32_e32 vcc, 1, v33
	v_subrev_u32_e32 v34, 64, v34
	v_add_u32_e32 v30, v30, v57
	v_cndmask_b32_e64 v31, v31, 1, vcc
.LBB105_112:                            ; =>This Loop Header: Depth=1
                                        ;     Child Loop BB105_115 Depth 2
	v_cmp_ne_u16_sdwa s[34:35], v32, v27 src0_sel:BYTE_0 src1_sel:DWORD
	v_mov_b32_e32 v44, v31
	v_cndmask_b32_e64 v31, 0, 1, s[34:35]
	;;#ASMSTART
	;;#ASMEND
	v_cmp_ne_u32_e32 vcc, 0, v31
	s_cmp_lg_u64 vcc, exec
	v_mov_b32_e32 v57, v30
	s_cbranch_scc1 .LBB105_117
; %bb.113:                              ;   in Loop: Header=BB105_112 Depth=1
	v_lshlrev_b64 v[30:31], 4, v[34:35]
	v_mov_b32_e32 v32, s37
	v_add_co_u32_e32 v36, vcc, s36, v30
	v_addc_co_u32_e32 v37, vcc, v32, v31, vcc
	;;#ASMSTART
	global_load_dwordx4 v[30:33], v[36:37] off glc	
s_waitcnt vmcnt(0)
	;;#ASMEND
	v_cmp_eq_u16_sdwa s[48:49], v32, v35 src0_sel:BYTE_0 src1_sel:DWORD
	s_and_saveexec_b64 s[34:35], s[48:49]
	s_cbranch_execz .LBB105_111
; %bb.114:                              ;   in Loop: Header=BB105_112 Depth=1
	s_mov_b64 s[48:49], 0
.LBB105_115:                            ;   Parent Loop BB105_112 Depth=1
                                        ; =>  This Inner Loop Header: Depth=2
	;;#ASMSTART
	global_load_dwordx4 v[30:33], v[36:37] off glc	
s_waitcnt vmcnt(0)
	;;#ASMEND
	v_cmp_ne_u16_sdwa s[50:51], v32, v35 src0_sel:BYTE_0 src1_sel:DWORD
	s_or_b64 s[48:49], s[50:51], s[48:49]
	s_andn2_b64 exec, exec, s[48:49]
	s_cbranch_execnz .LBB105_115
; %bb.116:                              ;   in Loop: Header=BB105_112 Depth=1
	s_or_b64 exec, exec, s[48:49]
	s_branch .LBB105_111
.LBB105_117:                            ;   in Loop: Header=BB105_112 Depth=1
                                        ; implicit-def: $vgpr31
                                        ; implicit-def: $vgpr30
                                        ; implicit-def: $vgpr32
	s_cbranch_execz .LBB105_112
; %bb.118:
	s_and_saveexec_b64 s[34:35], s[28:29]
	s_cbranch_execz .LBB105_120
; %bb.119:
	s_and_b32 s39, s7, 0xff
	s_cmp_eq_u32 s39, 0
	s_cselect_b64 vcc, -1, 0
	s_bitcmp1_b32 s7, 0
	s_mov_b32 s43, 0
	s_cselect_b64 s[48:49], -1, 0
	s_add_i32 s42, s6, 64
	s_lshl_b64 s[6:7], s[42:43], 4
	v_cndmask_b32_e32 v27, 0, v57, vcc
	s_add_u32 s6, s36, s6
	v_add_u32_e32 v26, v27, v26
	v_and_b32_e32 v27, 1, v44
	s_addc_u32 s7, s37, s7
	v_mov_b32_e32 v29, 0
	v_cndmask_b32_e64 v27, v27, 1, s[48:49]
	v_mov_b32_e32 v28, 2
	v_pk_mov_b32 v[30:31], s[6:7], s[6:7] op_sel:[0,1]
	;;#ASMSTART
	global_store_dwordx4 v[30:31], v[26:29] off	
s_waitcnt vmcnt(0)
	;;#ASMEND
.LBB105_120:
	s_or_b64 exec, exec, s[34:35]
	v_cmp_eq_u32_e32 vcc, 0, v0
	s_and_b64 exec, exec, vcc
	s_cbranch_execz .LBB105_122
; %bb.121:
	v_mov_b32_e32 v26, 0
	ds_write_b32 v26, v57 offset:24
	ds_write_b8 v26, v44 offset:28
.LBB105_122:
	s_or_b64 exec, exec, s[40:41]
	v_mov_b32_e32 v28, 0
	s_waitcnt lgkmcnt(0)
	s_barrier
	ds_read_b32 v26, v28 offset:24
	v_cndmask_b32_e64 v27, v46, v43, s[28:29]
	v_cmp_eq_u16_sdwa vcc, v27, v28 src0_sel:BYTE_0 src1_sel:DWORD
	v_cndmask_b32_e64 v29, v45, v42, s[28:29]
	s_waitcnt lgkmcnt(0)
	v_cndmask_b32_e32 v27, 0, v26, vcc
	v_add_u32_e32 v27, v27, v29
	v_cmp_eq_u32_e32 vcc, 0, v0
	v_and_b32_e32 v29, 0xff, v39
	v_cndmask_b32_e32 v26, v27, v26, vcc
	v_cmp_eq_u64_e32 vcc, 0, v[28:29]
	v_cndmask_b32_e32 v27, 0, v26, vcc
	v_add_u32_e32 v27, v27, v38
	v_cndmask_b32_e64 v28, 0, v27, s[2:3]
	v_add_u32_e32 v42, v28, v8
	v_cndmask_b32_e64 v28, 0, v42, s[30:31]
	;; [unrolled: 2-line block ×12, first 2 shown]
	v_add_u32_e32 v49, v28, v24
	s_branch .LBB105_159
.LBB105_123:
	s_or_b64 exec, exec, s[40:41]
                                        ; implicit-def: $vgpr5
	s_and_saveexec_b64 s[2:3], s[34:35]
	s_cbranch_execz .LBB105_33
.LBB105_124:
	global_load_dword v5, v[2:3], off offset:1024
	s_or_b64 exec, exec, s[2:3]
                                        ; implicit-def: $vgpr6
	s_and_saveexec_b64 s[2:3], s[8:9]
	s_cbranch_execnz .LBB105_34
.LBB105_125:
	s_or_b64 exec, exec, s[2:3]
                                        ; implicit-def: $vgpr7
	s_and_saveexec_b64 s[2:3], s[10:11]
	s_cbranch_execz .LBB105_35
.LBB105_126:
	global_load_dword v7, v[2:3], off offset:3072
	s_or_b64 exec, exec, s[2:3]
                                        ; implicit-def: $vgpr8
	s_and_saveexec_b64 s[2:3], s[12:13]
	s_cbranch_execnz .LBB105_36
.LBB105_127:
	s_or_b64 exec, exec, s[2:3]
                                        ; implicit-def: $vgpr9
	s_and_saveexec_b64 s[2:3], s[14:15]
	s_cbranch_execz .LBB105_37
.LBB105_128:
	v_add_co_u32_e32 v10, vcc, 0x1000, v2
	v_addc_co_u32_e32 v11, vcc, 0, v3, vcc
	global_load_dword v9, v[10:11], off offset:1024
	s_or_b64 exec, exec, s[2:3]
                                        ; implicit-def: $vgpr10
	s_and_saveexec_b64 s[2:3], s[16:17]
	s_cbranch_execnz .LBB105_38
.LBB105_129:
	s_or_b64 exec, exec, s[2:3]
                                        ; implicit-def: $vgpr11
	s_and_saveexec_b64 s[2:3], s[18:19]
	s_cbranch_execz .LBB105_39
.LBB105_130:
	v_add_co_u32_e32 v12, vcc, 0x1000, v2
	v_addc_co_u32_e32 v13, vcc, 0, v3, vcc
	global_load_dword v11, v[12:13], off offset:3072
	s_or_b64 exec, exec, s[2:3]
                                        ; implicit-def: $vgpr12
	s_and_saveexec_b64 s[2:3], s[20:21]
	s_cbranch_execnz .LBB105_40
.LBB105_131:
	s_or_b64 exec, exec, s[2:3]
                                        ; implicit-def: $vgpr13
	s_and_saveexec_b64 s[2:3], s[22:23]
	s_cbranch_execz .LBB105_41
.LBB105_132:
	v_add_co_u32_e32 v14, vcc, 0x2000, v2
	v_addc_co_u32_e32 v15, vcc, 0, v3, vcc
	global_load_dword v13, v[14:15], off offset:1024
	s_or_b64 exec, exec, s[2:3]
                                        ; implicit-def: $vgpr14
	s_and_saveexec_b64 s[2:3], s[24:25]
	s_cbranch_execnz .LBB105_42
.LBB105_133:
	s_or_b64 exec, exec, s[2:3]
                                        ; implicit-def: $vgpr15
	s_and_saveexec_b64 s[2:3], s[26:27]
	s_cbranch_execz .LBB105_43
.LBB105_134:
	v_add_co_u32_e32 v16, vcc, 0x2000, v2
	v_addc_co_u32_e32 v17, vcc, 0, v3, vcc
	global_load_dword v15, v[16:17], off offset:3072
	s_or_b64 exec, exec, s[2:3]
                                        ; implicit-def: $vgpr16
	s_and_saveexec_b64 s[2:3], s[28:29]
	s_cbranch_execz .LBB105_45
	s_branch .LBB105_44
.LBB105_135:
                                        ; implicit-def: $vgpr48_vgpr49
                                        ; implicit-def: $vgpr46_vgpr47
                                        ; implicit-def: $vgpr44_vgpr45
                                        ; implicit-def: $vgpr42_vgpr43
                                        ; implicit-def: $vgpr34_vgpr35_vgpr36_vgpr37
                                        ; implicit-def: $vgpr30_vgpr31_vgpr32_vgpr33
                                        ; implicit-def: $vgpr26_vgpr27_vgpr28_vgpr29
	s_cbranch_execz .LBB105_159
; %bb.136:
	s_cmp_eq_u64 s[46:47], 0
	s_cbranch_scc1 .LBB105_138
; %bb.137:
	s_load_dword s54, s[46:47], 0x0
.LBB105_138:
	s_mov_b32 s26, 0
	s_mov_b32 s27, 1
	v_cmp_gt_u64_e32 vcc, s[26:27], v[8:9]
	v_cndmask_b32_e32 v27, 0, v38, vcc
	v_add_u32_e32 v27, v27, v8
	v_cmp_gt_u64_e64 s[2:3], s[26:27], v[6:7]
	v_cndmask_b32_e64 v27, 0, v27, s[2:3]
	v_add_u32_e32 v27, v27, v6
	v_cmp_gt_u64_e64 s[6:7], s[26:27], v[4:5]
	v_cndmask_b32_e64 v27, 0, v27, s[6:7]
	;; [unrolled: 3-line block ×11, first 2 shown]
	v_mov_b32_e32 v26, 0
	v_add_u32_e32 v27, v27, v24
	v_cmp_gt_u64_e64 s[26:27], s[26:27], v[40:41]
	v_or3_b32 v7, v23, v15, v7
	v_cndmask_b32_e64 v27, 0, v27, s[26:27]
	v_or3_b32 v9, v25, v17, v9
	v_and_b32_e32 v33, 1, v7
	v_mov_b32_e32 v32, v26
	v_add_u32_e32 v34, v27, v40
	v_and_b32_e32 v27, 1, v41
	v_or3_b32 v3, v19, v11, v3
	v_and_b32_e32 v31, 1, v9
	v_mov_b32_e32 v30, v26
	v_cmp_ne_u64_e64 s[28:29], 0, v[32:33]
	v_cmp_eq_u32_e64 s[26:27], 1, v27
	v_or3_b32 v5, v21, v13, v5
	v_and_b32_e32 v27, 1, v3
	v_cndmask_b32_e64 v3, 0, 1, s[28:29]
	v_cmp_ne_u64_e64 s[28:29], 0, v[30:31]
	v_and_b32_e32 v29, 1, v5
	v_mov_b32_e32 v28, v26
	v_cndmask_b32_e64 v5, 0, 1, s[28:29]
	v_lshlrev_b16_e32 v3, 2, v3
	v_lshlrev_b16_e32 v5, 3, v5
	v_cmp_ne_u64_e64 s[28:29], 0, v[28:29]
	v_or_b32_e32 v3, v5, v3
	v_cndmask_b32_e64 v5, 0, 1, s[28:29]
	v_cmp_ne_u64_e64 s[28:29], 0, v[26:27]
	v_lshlrev_b16_e32 v5, 1, v5
	v_cndmask_b32_e64 v7, 0, 1, s[28:29]
	v_or_b32_e32 v5, v7, v5
	v_and_b32_e32 v5, 3, v5
	v_or_b32_e32 v3, v5, v3
	v_and_b32_e32 v3, 15, v3
	v_cmp_ne_u16_e64 s[28:29], 0, v3
	s_or_b64 s[26:27], s[26:27], s[28:29]
	v_cndmask_b32_e64 v5, v39, 1, s[26:27]
	v_and_b32_e32 v7, 0xff, v5
	v_mbcnt_hi_u32_b32 v1, -1, v1
	v_mov_b32_dpp v3, v34 row_shr:1 row_mask:0xf bank_mask:0xf
	v_mov_b32_dpp v9, v7 row_shr:1 row_mask:0xf bank_mask:0xf
	v_cmp_eq_u16_e64 s[26:27], 0, v7
	v_and_b32_e32 v13, 1, v5
	v_and_b32_e32 v11, 15, v1
	v_cndmask_b32_e64 v3, 0, v3, s[26:27]
	v_and_b32_e32 v9, 1, v9
	v_cmp_eq_u32_e64 s[26:27], 1, v13
	v_cndmask_b32_e64 v13, v9, 1, s[26:27]
	v_cmp_eq_u32_e64 s[26:27], 0, v11
	v_and_b32_e32 v9, 0xffff, v13
	v_cndmask_b32_e64 v3, v3, 0, s[26:27]
	v_add_u32_e32 v3, v3, v34
	v_cndmask_b32_e64 v7, v9, v7, s[26:27]
	v_cndmask_b32_e64 v5, v13, v5, s[26:27]
	v_mov_b32_dpp v15, v3 row_shr:2 row_mask:0xf bank_mask:0xf
	v_mov_b32_dpp v17, v7 row_shr:2 row_mask:0xf bank_mask:0xf
	v_cmp_lt_u32_e64 s[26:27], 1, v11
	v_mov_b32_e32 v9, v7
	s_and_saveexec_b64 s[28:29], s[26:27]
; %bb.139:
	v_and_b32_e32 v5, 1, v13
	v_and_b32_e32 v7, 1, v17
	v_cmp_eq_u32_e64 s[26:27], 1, v5
	v_cndmask_b32_e64 v5, v7, 1, s[26:27]
	v_cmp_eq_u16_e64 s[26:27], 0, v13
	v_cndmask_b32_e64 v7, 0, v15, s[26:27]
	v_and_b32_e32 v9, 0xffff, v5
	v_add_u32_e32 v3, v7, v3
	v_mov_b32_e32 v7, v5
; %bb.140:
	s_or_b64 exec, exec, s[28:29]
	v_mov_b32_dpp v13, v3 row_shr:4 row_mask:0xf bank_mask:0xf
	v_mov_b32_dpp v15, v9 row_shr:4 row_mask:0xf bank_mask:0xf
	v_cmp_lt_u32_e64 s[26:27], 3, v11
	s_and_saveexec_b64 s[28:29], s[26:27]
; %bb.141:
	v_and_b32_e32 v5, 1, v7
	v_and_b32_e32 v9, 1, v15
	v_cmp_eq_u32_e64 s[26:27], 1, v5
	v_cndmask_b32_e64 v5, v9, 1, s[26:27]
	v_cmp_eq_u16_e64 s[26:27], 0, v7
	v_cndmask_b32_e64 v7, 0, v13, s[26:27]
	v_and_b32_e32 v9, 0xffff, v5
	v_add_u32_e32 v3, v7, v3
	v_mov_b32_e32 v7, v5
; %bb.142:
	s_or_b64 exec, exec, s[28:29]
	v_mov_b32_dpp v13, v3 row_shr:8 row_mask:0xf bank_mask:0xf
	v_mov_b32_dpp v15, v9 row_shr:8 row_mask:0xf bank_mask:0xf
	v_cmp_lt_u32_e64 s[26:27], 7, v11
	s_and_saveexec_b64 s[28:29], s[26:27]
; %bb.143:
	v_and_b32_e32 v5, 1, v7
	v_and_b32_e32 v9, 1, v15
	v_cmp_eq_u32_e64 s[26:27], 1, v5
	v_cndmask_b32_e64 v5, v9, 1, s[26:27]
	v_cmp_eq_u16_e64 s[26:27], 0, v7
	v_cndmask_b32_e64 v7, 0, v13, s[26:27]
	v_and_b32_e32 v9, 0xffff, v5
	v_add_u32_e32 v3, v7, v3
	v_mov_b32_e32 v7, v5
; %bb.144:
	s_or_b64 exec, exec, s[28:29]
	v_and_b32_e32 v15, 16, v1
	v_mov_b32_dpp v11, v3 row_bcast:15 row_mask:0xf bank_mask:0xf
	v_mov_b32_dpp v13, v9 row_bcast:15 row_mask:0xf bank_mask:0xf
	v_cmp_ne_u32_e64 s[26:27], 0, v15
	s_and_saveexec_b64 s[28:29], s[26:27]
; %bb.145:
	v_and_b32_e32 v5, 1, v7
	v_and_b32_e32 v9, 1, v13
	v_cmp_eq_u32_e64 s[26:27], 1, v5
	v_cndmask_b32_e64 v5, v9, 1, s[26:27]
	v_cmp_eq_u16_e64 s[26:27], 0, v7
	v_cndmask_b32_e64 v7, 0, v11, s[26:27]
	v_and_b32_e32 v9, 0xffff, v5
	v_add_u32_e32 v3, v7, v3
	v_mov_b32_e32 v7, v5
; %bb.146:
	s_or_b64 exec, exec, s[28:29]
	v_mov_b32_e32 v13, 0
	v_mov_b32_dpp v9, v9 row_bcast:31 row_mask:0xf bank_mask:0xf
	v_cmp_eq_u16_sdwa s[28:29], v7, v13 src0_sel:BYTE_0 src1_sel:DWORD
	v_and_b32_e32 v7, 1, v7
	v_and_b32_e32 v9, 1, v9
	v_cmp_eq_u32_e64 s[26:27], 1, v7
	v_cndmask_b32_e64 v7, v9, 1, s[26:27]
	v_cmp_lt_u32_e64 s[26:27], 31, v1
	v_mov_b32_dpp v11, v3 row_bcast:31 row_mask:0xf bank_mask:0xf
	v_cndmask_b32_e64 v5, v5, v7, s[26:27]
	s_and_b64 s[26:27], s[26:27], s[28:29]
	v_cndmask_b32_e64 v7, 0, v11, s[26:27]
	v_or_b32_e32 v9, 63, v0
	v_add_u32_e32 v3, v7, v3
	v_lshrrev_b32_e32 v7, 6, v0
	v_cmp_eq_u32_e64 s[26:27], v9, v0
	s_and_saveexec_b64 s[28:29], s[26:27]
	s_cbranch_execz .LBB105_148
; %bb.147:
	v_lshlrev_b32_e32 v9, 3, v7
	ds_write_b32 v9, v3
	ds_write_b8 v9, v5 offset:4
.LBB105_148:
	s_or_b64 exec, exec, s[28:29]
	v_cmp_gt_u32_e64 s[26:27], 4, v0
	s_waitcnt lgkmcnt(0)
	s_barrier
	s_and_saveexec_b64 s[28:29], s[26:27]
	s_cbranch_execz .LBB105_154
; %bb.149:
	v_lshlrev_b32_e32 v9, 3, v0
	ds_read_b64 v[26:27], v9
	v_and_b32_e32 v11, 3, v1
	v_cmp_ne_u32_e64 s[26:27], 0, v11
	s_waitcnt lgkmcnt(0)
	v_mov_b32_dpp v15, v26 row_shr:1 row_mask:0xf bank_mask:0xf
	v_mov_b32_dpp v17, v27 row_shr:1 row_mask:0xf bank_mask:0xf
	v_mov_b32_e32 v13, v27
	s_and_saveexec_b64 s[30:31], s[26:27]
	s_cbranch_execz .LBB105_151
; %bb.150:
	v_and_b32_e32 v13, 1, v27
	v_and_b32_e32 v17, 1, v17
	v_cmp_eq_u32_e64 s[26:27], 1, v13
	v_mov_b32_e32 v13, 0
	v_cndmask_b32_e64 v17, v17, 1, s[26:27]
	v_cmp_eq_u16_sdwa s[26:27], v27, v13 src0_sel:BYTE_0 src1_sel:DWORD
	v_cndmask_b32_e64 v13, 0, v15, s[26:27]
	v_add_u32_e32 v26, v13, v26
	v_and_b32_e32 v13, 0xffff, v17
	s_movk_i32 s26, 0xff00
	v_and_or_b32 v13, v27, s26, v13
	v_mov_b32_e32 v27, v17
.LBB105_151:
	s_or_b64 exec, exec, s[30:31]
	v_mov_b32_dpp v15, v26 row_shr:2 row_mask:0xf bank_mask:0xf
	v_mov_b32_dpp v17, v13 row_shr:2 row_mask:0xf bank_mask:0xf
	v_cmp_lt_u32_e64 s[26:27], 1, v11
	s_and_saveexec_b64 s[30:31], s[26:27]
; %bb.152:
	v_and_b32_e32 v11, 1, v13
	v_and_b32_e32 v17, 1, v17
	v_cmp_eq_u32_e64 s[26:27], 1, v11
	v_mov_b32_e32 v11, 0
	v_cndmask_b32_e64 v27, v17, 1, s[26:27]
	v_cmp_eq_u32_sdwa s[26:27], v13, v11 src0_sel:BYTE_0 src1_sel:DWORD
	v_cndmask_b32_e64 v11, 0, v15, s[26:27]
	v_add_u32_e32 v26, v11, v26
; %bb.153:
	s_or_b64 exec, exec, s[30:31]
	ds_write_b32 v9, v26
	ds_write_b8 v9, v27 offset:4
.LBB105_154:
	s_or_b64 exec, exec, s[28:29]
	v_cmp_lt_u32_e64 s[26:27], 63, v0
	v_mov_b32_e32 v9, s54
	s_waitcnt lgkmcnt(0)
	s_barrier
	s_and_saveexec_b64 s[28:29], s[26:27]
	s_cbranch_execz .LBB105_156
; %bb.155:
	v_lshl_add_u32 v7, v7, 3, -8
	ds_read_u8 v9, v7 offset:4
	ds_read_b32 v7, v7
	v_mov_b32_e32 v11, s54
	s_waitcnt lgkmcnt(1)
	v_cmp_eq_u16_e64 s[26:27], 0, v9
	v_cndmask_b32_e64 v9, 0, v11, s[26:27]
	s_waitcnt lgkmcnt(0)
	v_add_u32_e32 v9, v9, v7
.LBB105_156:
	s_or_b64 exec, exec, s[28:29]
	v_mov_b32_e32 v28, 0
	v_cmp_eq_u16_sdwa s[26:27], v5, v28 src0_sel:BYTE_0 src1_sel:DWORD
	v_cndmask_b32_e64 v5, 0, v9, s[26:27]
	v_add_u32_e32 v3, v5, v3
	v_add_u32_e32 v5, -1, v1
	v_and_b32_e32 v7, 64, v1
	v_cmp_lt_i32_e64 s[26:27], v5, v7
	v_cndmask_b32_e64 v5, v5, v1, s[26:27]
	v_lshlrev_b32_e32 v5, 2, v5
	ds_bpermute_b32 v3, v5, v3
	v_cmp_eq_u32_e64 s[26:27], 0, v1
	v_mov_b32_e32 v1, s54
	v_and_b32_e32 v29, 0xff, v39
	v_cmp_eq_u64_e64 s[28:29], 0, v[28:29]
	s_waitcnt lgkmcnt(0)
	v_cndmask_b32_e64 v26, v3, v9, s[26:27]
	v_cmp_eq_u32_e64 s[26:27], 0, v0
	v_cndmask_b32_e64 v1, v26, v1, s[26:27]
	v_cndmask_b32_e64 v1, 0, v1, s[28:29]
	v_add_u32_e32 v27, v1, v38
	v_cndmask_b32_e32 v1, 0, v27, vcc
	v_add_u32_e32 v42, v1, v8
	v_cndmask_b32_e64 v1, 0, v42, s[2:3]
	v_add_u32_e32 v43, v1, v6
	v_cndmask_b32_e64 v1, 0, v43, s[6:7]
	v_add_u32_e32 v30, v1, v4
	v_cndmask_b32_e64 v1, 0, v30, s[8:9]
	v_add_u32_e32 v31, v1, v2
	v_cndmask_b32_e64 v1, 0, v31, s[10:11]
	v_add_u32_e32 v44, v1, v16
	v_cndmask_b32_e64 v1, 0, v44, s[12:13]
	v_add_u32_e32 v45, v1, v14
	v_cndmask_b32_e64 v1, 0, v45, s[14:15]
	v_add_u32_e32 v34, v1, v12
	v_cndmask_b32_e64 v1, 0, v34, s[16:17]
	v_add_u32_e32 v35, v1, v10
	v_cndmask_b32_e64 v1, 0, v35, s[18:19]
	v_add_u32_e32 v46, v1, v18
	v_cndmask_b32_e64 v1, 0, v46, s[20:21]
	v_add_u32_e32 v47, v1, v20
	v_cndmask_b32_e64 v1, 0, v47, s[22:23]
	v_add_u32_e32 v48, v1, v22
	v_cndmask_b32_e64 v1, 0, v48, s[24:25]
	v_add_u32_e32 v49, v1, v24
	s_and_saveexec_b64 s[2:3], s[26:27]
	s_cbranch_execz .LBB105_158
; %bb.157:
	ds_read_u8 v1, v28 offset:28
	ds_read_b32 v2, v28 offset:24
	v_mov_b32_e32 v4, 2
	v_mov_b32_e32 v5, v28
	;; [unrolled: 1-line block ×3, first 2 shown]
	s_waitcnt lgkmcnt(1)
	v_cmp_eq_u16_e32 vcc, 0, v1
	s_and_b64 s[6:7], vcc, exec
	s_cselect_b32 s7, s54, 0
	s_add_u32 s6, s36, 0x400
	s_waitcnt lgkmcnt(0)
	v_add_u32_e32 v2, s7, v2
	s_addc_u32 s7, s37, 0
	v_and_b32_e32 v3, 0xffff, v1
	v_pk_mov_b32 v[6:7], s[6:7], s[6:7] op_sel:[0,1]
	;;#ASMSTART
	global_store_dwordx4 v[6:7], v[2:5] off	
s_waitcnt vmcnt(0)
	;;#ASMEND
.LBB105_158:
	s_or_b64 exec, exec, s[2:3]
.LBB105_159:
	s_load_dwordx2 s[2:3], s[4:5], 0x18
	s_lshl_b64 s[4:5], s[44:45], 3
	v_mul_u32_u24_e32 v1, 14, v0
	v_lshlrev_b32_e32 v2, 2, v1
	v_lshlrev_b32_e32 v18, 3, v0
	s_waitcnt lgkmcnt(0)
	s_add_u32 s2, s2, s4
	s_addc_u32 s3, s3, s5
	s_and_b64 vcc, exec, s[0:1]
	s_cbranch_vccz .LBB105_187
; %bb.160:
	s_movk_i32 s0, 0xffcc
	v_mad_i32_i24 v3, v0, s0, v2
	s_barrier
	ds_write2_b64 v2, v[26:27], v[42:43] offset1:1
	ds_write2_b64 v2, v[30:31], v[44:45] offset0:2 offset1:3
	ds_write2_b64 v2, v[34:35], v[46:47] offset0:4 offset1:5
	ds_write_b64 v2, v[48:49] offset:48
	s_waitcnt lgkmcnt(0)
	s_barrier
	ds_read2st64_b32 v[16:17], v3 offset0:4 offset1:8
	ds_read2st64_b32 v[14:15], v3 offset0:12 offset1:16
	;; [unrolled: 1-line block ×6, first 2 shown]
	ds_read_b32 v3, v3 offset:13312
	v_mov_b32_e32 v5, s3
	v_add_co_u32_e32 v4, vcc, s2, v18
	s_add_i32 s33, s33, s38
	v_addc_co_u32_e32 v5, vcc, 0, v5, vcc
	v_mov_b32_e32 v1, 0
	v_cmp_gt_u32_e32 vcc, s33, v0
	s_and_saveexec_b64 s[0:1], vcc
	s_cbranch_execz .LBB105_162
; %bb.161:
	v_mul_i32_i24_e32 v19, 0xffffffcc, v0
	v_add_u32_e32 v19, v2, v19
	ds_read_b32 v19, v19
	s_waitcnt lgkmcnt(0)
	v_cvt_f64_i32_e32 v[20:21], v19
	global_store_dwordx2 v[4:5], v[20:21], off
.LBB105_162:
	s_or_b64 exec, exec, s[0:1]
	v_or_b32_e32 v19, 0x100, v0
	v_cmp_gt_u32_e32 vcc, s33, v19
	s_and_saveexec_b64 s[0:1], vcc
	s_cbranch_execz .LBB105_164
; %bb.163:
	s_waitcnt lgkmcnt(6)
	v_cvt_f64_i32_e32 v[20:21], v16
	global_store_dwordx2 v[4:5], v[20:21], off offset:2048
.LBB105_164:
	s_or_b64 exec, exec, s[0:1]
	s_waitcnt lgkmcnt(6)
	v_or_b32_e32 v16, 0x200, v0
	v_cmp_gt_u32_e32 vcc, s33, v16
	s_and_saveexec_b64 s[0:1], vcc
	s_cbranch_execz .LBB105_166
; %bb.165:
	v_add_co_u32_e32 v20, vcc, 0x1000, v4
	v_cvt_f64_i32_e32 v[16:17], v17
	v_addc_co_u32_e32 v21, vcc, 0, v5, vcc
	global_store_dwordx2 v[20:21], v[16:17], off
.LBB105_166:
	s_or_b64 exec, exec, s[0:1]
	v_or_b32_e32 v16, 0x300, v0
	v_cmp_gt_u32_e32 vcc, s33, v16
	s_and_saveexec_b64 s[0:1], vcc
	s_cbranch_execz .LBB105_168
; %bb.167:
	v_add_co_u32_e32 v20, vcc, 0x1000, v4
	s_waitcnt lgkmcnt(5)
	v_cvt_f64_i32_e32 v[16:17], v14
	v_addc_co_u32_e32 v21, vcc, 0, v5, vcc
	global_store_dwordx2 v[20:21], v[16:17], off offset:2048
.LBB105_168:
	s_or_b64 exec, exec, s[0:1]
	s_waitcnt lgkmcnt(5)
	v_or_b32_e32 v14, 0x400, v0
	v_cmp_gt_u32_e32 vcc, s33, v14
	s_and_saveexec_b64 s[0:1], vcc
	s_cbranch_execz .LBB105_170
; %bb.169:
	v_add_co_u32_e32 v16, vcc, 0x2000, v4
	v_cvt_f64_i32_e32 v[14:15], v15
	v_addc_co_u32_e32 v17, vcc, 0, v5, vcc
	global_store_dwordx2 v[16:17], v[14:15], off
.LBB105_170:
	s_or_b64 exec, exec, s[0:1]
	v_or_b32_e32 v14, 0x500, v0
	v_cmp_gt_u32_e32 vcc, s33, v14
	s_and_saveexec_b64 s[0:1], vcc
	s_cbranch_execz .LBB105_172
; %bb.171:
	v_add_co_u32_e32 v16, vcc, 0x2000, v4
	s_waitcnt lgkmcnt(4)
	v_cvt_f64_i32_e32 v[14:15], v12
	v_addc_co_u32_e32 v17, vcc, 0, v5, vcc
	global_store_dwordx2 v[16:17], v[14:15], off offset:2048
.LBB105_172:
	;; [unrolled: 24-line block ×5, first 2 shown]
	s_or_b64 exec, exec, s[0:1]
	s_waitcnt lgkmcnt(1)
	v_or_b32_e32 v6, 0xc00, v0
	v_cmp_gt_u32_e32 vcc, s33, v6
	s_and_saveexec_b64 s[0:1], vcc
	s_cbranch_execz .LBB105_186
; %bb.185:
	v_add_co_u32_e32 v4, vcc, 0x6000, v4
	v_cvt_f64_i32_e32 v[6:7], v7
	v_addc_co_u32_e32 v5, vcc, 0, v5, vcc
	global_store_dwordx2 v[4:5], v[6:7], off
.LBB105_186:
	s_or_b64 exec, exec, s[0:1]
	v_or_b32_e32 v4, 0xd00, v0
	v_cmp_gt_u32_e64 s[0:1], s33, v4
	s_branch .LBB105_189
.LBB105_187:
	s_mov_b64 s[0:1], 0
                                        ; implicit-def: $vgpr3
	s_cbranch_execz .LBB105_189
; %bb.188:
	s_movk_i32 s4, 0xffcc
	s_waitcnt lgkmcnt(0)
	s_barrier
	ds_write2_b64 v2, v[26:27], v[42:43] offset1:1
	ds_write2_b64 v2, v[30:31], v[44:45] offset0:2 offset1:3
	ds_write2_b64 v2, v[34:35], v[46:47] offset0:4 offset1:5
	ds_write_b64 v2, v[48:49] offset:48
	v_mad_i32_i24 v2, v0, s4, v2
	v_mov_b32_e32 v16, s3
	v_add_co_u32_e32 v20, vcc, s2, v18
	s_waitcnt lgkmcnt(0)
	s_barrier
	ds_read2st64_b32 v[4:5], v2 offset1:4
	ds_read2st64_b32 v[6:7], v2 offset0:8 offset1:12
	ds_read2st64_b32 v[8:9], v2 offset0:16 offset1:20
	;; [unrolled: 1-line block ×6, first 2 shown]
	v_addc_co_u32_e32 v21, vcc, 0, v16, vcc
	s_waitcnt lgkmcnt(6)
	v_cvt_f64_i32_e32 v[16:17], v4
	s_movk_i32 s4, 0x1000
	global_store_dwordx2 v18, v[16:17], s[2:3]
	v_add_co_u32_e32 v16, vcc, s4, v20
	v_cvt_f64_i32_e32 v[4:5], v5
	v_addc_co_u32_e32 v17, vcc, 0, v21, vcc
	s_movk_i32 s4, 0x2000
	global_store_dwordx2 v18, v[4:5], s[2:3] offset:2048
	v_add_co_u32_e32 v18, vcc, s4, v20
	s_waitcnt lgkmcnt(5)
	v_cvt_f64_i32_e32 v[4:5], v6
	v_addc_co_u32_e32 v19, vcc, 0, v21, vcc
	s_movk_i32 s4, 0x3000
	global_store_dwordx2 v[18:19], v[4:5], off offset:-4096
	v_cvt_f64_i32_e32 v[4:5], v7
	v_add_co_u32_e32 v6, vcc, s4, v20
	global_store_dwordx2 v[16:17], v[4:5], off offset:2048
	s_waitcnt lgkmcnt(4)
	v_cvt_f64_i32_e32 v[4:5], v8
	v_addc_co_u32_e32 v7, vcc, 0, v21, vcc
	s_movk_i32 s4, 0x4000
	global_store_dwordx2 v[18:19], v[4:5], off
	v_cvt_f64_i32_e32 v[4:5], v9
	v_add_co_u32_e32 v8, vcc, s4, v20
	global_store_dwordx2 v[18:19], v[4:5], off offset:2048
	s_waitcnt lgkmcnt(3)
	v_cvt_f64_i32_e32 v[4:5], v10
	v_addc_co_u32_e32 v9, vcc, 0, v21, vcc
	global_store_dwordx2 v[8:9], v[4:5], off offset:-4096
	v_cvt_f64_i32_e32 v[4:5], v11
	global_store_dwordx2 v[6:7], v[4:5], off offset:2048
	s_waitcnt lgkmcnt(2)
	v_cvt_f64_i32_e32 v[4:5], v12
	global_store_dwordx2 v[8:9], v[4:5], off
	v_cvt_f64_i32_e32 v[4:5], v13
	v_add_co_u32_e32 v6, vcc, 0x5000, v20
	global_store_dwordx2 v[8:9], v[4:5], off offset:2048
	s_waitcnt lgkmcnt(1)
	v_cvt_f64_i32_e32 v[4:5], v14
	v_addc_co_u32_e32 v7, vcc, 0, v21, vcc
	global_store_dwordx2 v[6:7], v[4:5], off
	v_cvt_f64_i32_e32 v[4:5], v15
	global_store_dwordx2 v[6:7], v[4:5], off offset:2048
	v_add_co_u32_e32 v6, vcc, 0x6000, v20
	v_mov_b32_e32 v1, 0
	s_waitcnt lgkmcnt(0)
	v_cvt_f64_i32_e32 v[4:5], v2
	v_addc_co_u32_e32 v7, vcc, 0, v21, vcc
	s_or_b64 s[0:1], s[0:1], exec
	global_store_dwordx2 v[6:7], v[4:5], off
.LBB105_189:
	s_and_saveexec_b64 s[4:5], s[0:1]
	s_cbranch_execz .LBB105_191
; %bb.190:
	v_lshlrev_b64 v[0:1], 3, v[0:1]
	v_mov_b32_e32 v2, s3
	v_add_co_u32_e32 v4, vcc, s2, v0
	v_addc_co_u32_e32 v5, vcc, v2, v1, vcc
	v_add_co_u32_e32 v2, vcc, 0x6000, v4
	s_waitcnt lgkmcnt(0)
	v_cvt_f64_i32_e32 v[0:1], v3
	v_addc_co_u32_e32 v3, vcc, 0, v5, vcc
	global_store_dwordx2 v[2:3], v[0:1], off offset:2048
	s_endpgm
.LBB105_191:
	s_endpgm
	.section	.rodata,"a",@progbits
	.p2align	6, 0x0
	.amdhsa_kernel _ZN7rocprim6detail25device_scan_by_key_kernelILNS0_25lookback_scan_determinismE0ELb1ENS0_26wrapped_scan_by_key_configINS_14default_configEiiEEPiN6hipcub22TransformInputIteratorIiNS7_6CastOpIiEES6_lEEPdiNS7_8EqualityENS7_3SumENS0_19lookback_scan_stateINS_5tupleIJibEEELb0ELb1EEEiEEvT2_T3_T4_T5_T6_T7_T8_mmmPKNSG_IJT9_bEEE
		.amdhsa_group_segment_fixed_size 16384
		.amdhsa_private_segment_fixed_size 0
		.amdhsa_kernarg_size 80
		.amdhsa_user_sgpr_count 6
		.amdhsa_user_sgpr_private_segment_buffer 1
		.amdhsa_user_sgpr_dispatch_ptr 0
		.amdhsa_user_sgpr_queue_ptr 0
		.amdhsa_user_sgpr_kernarg_segment_ptr 1
		.amdhsa_user_sgpr_dispatch_id 0
		.amdhsa_user_sgpr_flat_scratch_init 0
		.amdhsa_user_sgpr_kernarg_preload_length 0
		.amdhsa_user_sgpr_kernarg_preload_offset 0
		.amdhsa_user_sgpr_private_segment_size 0
		.amdhsa_uses_dynamic_stack 0
		.amdhsa_system_sgpr_private_segment_wavefront_offset 0
		.amdhsa_system_sgpr_workgroup_id_x 1
		.amdhsa_system_sgpr_workgroup_id_y 0
		.amdhsa_system_sgpr_workgroup_id_z 0
		.amdhsa_system_sgpr_workgroup_info 0
		.amdhsa_system_vgpr_workitem_id 0
		.amdhsa_next_free_vgpr 62
		.amdhsa_next_free_sgpr 55
		.amdhsa_accum_offset 64
		.amdhsa_reserve_vcc 1
		.amdhsa_reserve_flat_scratch 0
		.amdhsa_float_round_mode_32 0
		.amdhsa_float_round_mode_16_64 0
		.amdhsa_float_denorm_mode_32 3
		.amdhsa_float_denorm_mode_16_64 3
		.amdhsa_dx10_clamp 1
		.amdhsa_ieee_mode 1
		.amdhsa_fp16_overflow 0
		.amdhsa_tg_split 0
		.amdhsa_exception_fp_ieee_invalid_op 0
		.amdhsa_exception_fp_denorm_src 0
		.amdhsa_exception_fp_ieee_div_zero 0
		.amdhsa_exception_fp_ieee_overflow 0
		.amdhsa_exception_fp_ieee_underflow 0
		.amdhsa_exception_fp_ieee_inexact 0
		.amdhsa_exception_int_div_zero 0
	.end_amdhsa_kernel
	.section	.text._ZN7rocprim6detail25device_scan_by_key_kernelILNS0_25lookback_scan_determinismE0ELb1ENS0_26wrapped_scan_by_key_configINS_14default_configEiiEEPiN6hipcub22TransformInputIteratorIiNS7_6CastOpIiEES6_lEEPdiNS7_8EqualityENS7_3SumENS0_19lookback_scan_stateINS_5tupleIJibEEELb0ELb1EEEiEEvT2_T3_T4_T5_T6_T7_T8_mmmPKNSG_IJT9_bEEE,"axG",@progbits,_ZN7rocprim6detail25device_scan_by_key_kernelILNS0_25lookback_scan_determinismE0ELb1ENS0_26wrapped_scan_by_key_configINS_14default_configEiiEEPiN6hipcub22TransformInputIteratorIiNS7_6CastOpIiEES6_lEEPdiNS7_8EqualityENS7_3SumENS0_19lookback_scan_stateINS_5tupleIJibEEELb0ELb1EEEiEEvT2_T3_T4_T5_T6_T7_T8_mmmPKNSG_IJT9_bEEE,comdat
.Lfunc_end105:
	.size	_ZN7rocprim6detail25device_scan_by_key_kernelILNS0_25lookback_scan_determinismE0ELb1ENS0_26wrapped_scan_by_key_configINS_14default_configEiiEEPiN6hipcub22TransformInputIteratorIiNS7_6CastOpIiEES6_lEEPdiNS7_8EqualityENS7_3SumENS0_19lookback_scan_stateINS_5tupleIJibEEELb0ELb1EEEiEEvT2_T3_T4_T5_T6_T7_T8_mmmPKNSG_IJT9_bEEE, .Lfunc_end105-_ZN7rocprim6detail25device_scan_by_key_kernelILNS0_25lookback_scan_determinismE0ELb1ENS0_26wrapped_scan_by_key_configINS_14default_configEiiEEPiN6hipcub22TransformInputIteratorIiNS7_6CastOpIiEES6_lEEPdiNS7_8EqualityENS7_3SumENS0_19lookback_scan_stateINS_5tupleIJibEEELb0ELb1EEEiEEvT2_T3_T4_T5_T6_T7_T8_mmmPKNSG_IJT9_bEEE
                                        ; -- End function
	.section	.AMDGPU.csdata,"",@progbits
; Kernel info:
; codeLenInByte = 10952
; NumSgprs: 59
; NumVgprs: 62
; NumAgprs: 0
; TotalNumVgprs: 62
; ScratchSize: 0
; MemoryBound: 0
; FloatMode: 240
; IeeeMode: 1
; LDSByteSize: 16384 bytes/workgroup (compile time only)
; SGPRBlocks: 7
; VGPRBlocks: 7
; NumSGPRsForWavesPerEU: 59
; NumVGPRsForWavesPerEU: 62
; AccumOffset: 64
; Occupancy: 4
; WaveLimiterHint : 1
; COMPUTE_PGM_RSRC2:SCRATCH_EN: 0
; COMPUTE_PGM_RSRC2:USER_SGPR: 6
; COMPUTE_PGM_RSRC2:TRAP_HANDLER: 0
; COMPUTE_PGM_RSRC2:TGID_X_EN: 1
; COMPUTE_PGM_RSRC2:TGID_Y_EN: 0
; COMPUTE_PGM_RSRC2:TGID_Z_EN: 0
; COMPUTE_PGM_RSRC2:TIDIG_COMP_CNT: 0
; COMPUTE_PGM_RSRC3_GFX90A:ACCUM_OFFSET: 15
; COMPUTE_PGM_RSRC3_GFX90A:TG_SPLIT: 0
	.section	.text._ZN7rocprim6detail25device_scan_by_key_kernelILNS0_25lookback_scan_determinismE0ELb1ENS0_26wrapped_scan_by_key_configINS_14default_configEiiEEPiN6hipcub22TransformInputIteratorIsNS7_6CastOpIsEEPslEEPfsNS7_8EqualityENS7_3SumENS0_19lookback_scan_stateINS_5tupleIJibEEELb1ELb1EEEiEEvT2_T3_T4_T5_T6_T7_T8_mmmPKNSH_IJT9_bEEE,"axG",@progbits,_ZN7rocprim6detail25device_scan_by_key_kernelILNS0_25lookback_scan_determinismE0ELb1ENS0_26wrapped_scan_by_key_configINS_14default_configEiiEEPiN6hipcub22TransformInputIteratorIsNS7_6CastOpIsEEPslEEPfsNS7_8EqualityENS7_3SumENS0_19lookback_scan_stateINS_5tupleIJibEEELb1ELb1EEEiEEvT2_T3_T4_T5_T6_T7_T8_mmmPKNSH_IJT9_bEEE,comdat
	.protected	_ZN7rocprim6detail25device_scan_by_key_kernelILNS0_25lookback_scan_determinismE0ELb1ENS0_26wrapped_scan_by_key_configINS_14default_configEiiEEPiN6hipcub22TransformInputIteratorIsNS7_6CastOpIsEEPslEEPfsNS7_8EqualityENS7_3SumENS0_19lookback_scan_stateINS_5tupleIJibEEELb1ELb1EEEiEEvT2_T3_T4_T5_T6_T7_T8_mmmPKNSH_IJT9_bEEE ; -- Begin function _ZN7rocprim6detail25device_scan_by_key_kernelILNS0_25lookback_scan_determinismE0ELb1ENS0_26wrapped_scan_by_key_configINS_14default_configEiiEEPiN6hipcub22TransformInputIteratorIsNS7_6CastOpIsEEPslEEPfsNS7_8EqualityENS7_3SumENS0_19lookback_scan_stateINS_5tupleIJibEEELb1ELb1EEEiEEvT2_T3_T4_T5_T6_T7_T8_mmmPKNSH_IJT9_bEEE
	.globl	_ZN7rocprim6detail25device_scan_by_key_kernelILNS0_25lookback_scan_determinismE0ELb1ENS0_26wrapped_scan_by_key_configINS_14default_configEiiEEPiN6hipcub22TransformInputIteratorIsNS7_6CastOpIsEEPslEEPfsNS7_8EqualityENS7_3SumENS0_19lookback_scan_stateINS_5tupleIJibEEELb1ELb1EEEiEEvT2_T3_T4_T5_T6_T7_T8_mmmPKNSH_IJT9_bEEE
	.p2align	8
	.type	_ZN7rocprim6detail25device_scan_by_key_kernelILNS0_25lookback_scan_determinismE0ELb1ENS0_26wrapped_scan_by_key_configINS_14default_configEiiEEPiN6hipcub22TransformInputIteratorIsNS7_6CastOpIsEEPslEEPfsNS7_8EqualityENS7_3SumENS0_19lookback_scan_stateINS_5tupleIJibEEELb1ELb1EEEiEEvT2_T3_T4_T5_T6_T7_T8_mmmPKNSH_IJT9_bEEE,@function
_ZN7rocprim6detail25device_scan_by_key_kernelILNS0_25lookback_scan_determinismE0ELb1ENS0_26wrapped_scan_by_key_configINS_14default_configEiiEEPiN6hipcub22TransformInputIteratorIsNS7_6CastOpIsEEPslEEPfsNS7_8EqualityENS7_3SumENS0_19lookback_scan_stateINS_5tupleIJibEEELb1ELb1EEEiEEvT2_T3_T4_T5_T6_T7_T8_mmmPKNSH_IJT9_bEEE: ; @_ZN7rocprim6detail25device_scan_by_key_kernelILNS0_25lookback_scan_determinismE0ELb1ENS0_26wrapped_scan_by_key_configINS_14default_configEiiEEPiN6hipcub22TransformInputIteratorIsNS7_6CastOpIsEEPslEEPfsNS7_8EqualityENS7_3SumENS0_19lookback_scan_stateINS_5tupleIJibEEELb1ELb1EEEiEEvT2_T3_T4_T5_T6_T7_T8_mmmPKNSH_IJT9_bEEE
; %bb.0:
	s_endpgm
	.section	.rodata,"a",@progbits
	.p2align	6, 0x0
	.amdhsa_kernel _ZN7rocprim6detail25device_scan_by_key_kernelILNS0_25lookback_scan_determinismE0ELb1ENS0_26wrapped_scan_by_key_configINS_14default_configEiiEEPiN6hipcub22TransformInputIteratorIsNS7_6CastOpIsEEPslEEPfsNS7_8EqualityENS7_3SumENS0_19lookback_scan_stateINS_5tupleIJibEEELb1ELb1EEEiEEvT2_T3_T4_T5_T6_T7_T8_mmmPKNSH_IJT9_bEEE
		.amdhsa_group_segment_fixed_size 0
		.amdhsa_private_segment_fixed_size 0
		.amdhsa_kernarg_size 80
		.amdhsa_user_sgpr_count 6
		.amdhsa_user_sgpr_private_segment_buffer 1
		.amdhsa_user_sgpr_dispatch_ptr 0
		.amdhsa_user_sgpr_queue_ptr 0
		.amdhsa_user_sgpr_kernarg_segment_ptr 1
		.amdhsa_user_sgpr_dispatch_id 0
		.amdhsa_user_sgpr_flat_scratch_init 0
		.amdhsa_user_sgpr_kernarg_preload_length 0
		.amdhsa_user_sgpr_kernarg_preload_offset 0
		.amdhsa_user_sgpr_private_segment_size 0
		.amdhsa_uses_dynamic_stack 0
		.amdhsa_system_sgpr_private_segment_wavefront_offset 0
		.amdhsa_system_sgpr_workgroup_id_x 1
		.amdhsa_system_sgpr_workgroup_id_y 0
		.amdhsa_system_sgpr_workgroup_id_z 0
		.amdhsa_system_sgpr_workgroup_info 0
		.amdhsa_system_vgpr_workitem_id 0
		.amdhsa_next_free_vgpr 1
		.amdhsa_next_free_sgpr 0
		.amdhsa_accum_offset 4
		.amdhsa_reserve_vcc 0
		.amdhsa_reserve_flat_scratch 0
		.amdhsa_float_round_mode_32 0
		.amdhsa_float_round_mode_16_64 0
		.amdhsa_float_denorm_mode_32 3
		.amdhsa_float_denorm_mode_16_64 3
		.amdhsa_dx10_clamp 1
		.amdhsa_ieee_mode 1
		.amdhsa_fp16_overflow 0
		.amdhsa_tg_split 0
		.amdhsa_exception_fp_ieee_invalid_op 0
		.amdhsa_exception_fp_denorm_src 0
		.amdhsa_exception_fp_ieee_div_zero 0
		.amdhsa_exception_fp_ieee_overflow 0
		.amdhsa_exception_fp_ieee_underflow 0
		.amdhsa_exception_fp_ieee_inexact 0
		.amdhsa_exception_int_div_zero 0
	.end_amdhsa_kernel
	.section	.text._ZN7rocprim6detail25device_scan_by_key_kernelILNS0_25lookback_scan_determinismE0ELb1ENS0_26wrapped_scan_by_key_configINS_14default_configEiiEEPiN6hipcub22TransformInputIteratorIsNS7_6CastOpIsEEPslEEPfsNS7_8EqualityENS7_3SumENS0_19lookback_scan_stateINS_5tupleIJibEEELb1ELb1EEEiEEvT2_T3_T4_T5_T6_T7_T8_mmmPKNSH_IJT9_bEEE,"axG",@progbits,_ZN7rocprim6detail25device_scan_by_key_kernelILNS0_25lookback_scan_determinismE0ELb1ENS0_26wrapped_scan_by_key_configINS_14default_configEiiEEPiN6hipcub22TransformInputIteratorIsNS7_6CastOpIsEEPslEEPfsNS7_8EqualityENS7_3SumENS0_19lookback_scan_stateINS_5tupleIJibEEELb1ELb1EEEiEEvT2_T3_T4_T5_T6_T7_T8_mmmPKNSH_IJT9_bEEE,comdat
.Lfunc_end106:
	.size	_ZN7rocprim6detail25device_scan_by_key_kernelILNS0_25lookback_scan_determinismE0ELb1ENS0_26wrapped_scan_by_key_configINS_14default_configEiiEEPiN6hipcub22TransformInputIteratorIsNS7_6CastOpIsEEPslEEPfsNS7_8EqualityENS7_3SumENS0_19lookback_scan_stateINS_5tupleIJibEEELb1ELb1EEEiEEvT2_T3_T4_T5_T6_T7_T8_mmmPKNSH_IJT9_bEEE, .Lfunc_end106-_ZN7rocprim6detail25device_scan_by_key_kernelILNS0_25lookback_scan_determinismE0ELb1ENS0_26wrapped_scan_by_key_configINS_14default_configEiiEEPiN6hipcub22TransformInputIteratorIsNS7_6CastOpIsEEPslEEPfsNS7_8EqualityENS7_3SumENS0_19lookback_scan_stateINS_5tupleIJibEEELb1ELb1EEEiEEvT2_T3_T4_T5_T6_T7_T8_mmmPKNSH_IJT9_bEEE
                                        ; -- End function
	.section	.AMDGPU.csdata,"",@progbits
; Kernel info:
; codeLenInByte = 4
; NumSgprs: 4
; NumVgprs: 0
; NumAgprs: 0
; TotalNumVgprs: 0
; ScratchSize: 0
; MemoryBound: 0
; FloatMode: 240
; IeeeMode: 1
; LDSByteSize: 0 bytes/workgroup (compile time only)
; SGPRBlocks: 0
; VGPRBlocks: 0
; NumSGPRsForWavesPerEU: 4
; NumVGPRsForWavesPerEU: 1
; AccumOffset: 4
; Occupancy: 8
; WaveLimiterHint : 0
; COMPUTE_PGM_RSRC2:SCRATCH_EN: 0
; COMPUTE_PGM_RSRC2:USER_SGPR: 6
; COMPUTE_PGM_RSRC2:TRAP_HANDLER: 0
; COMPUTE_PGM_RSRC2:TGID_X_EN: 1
; COMPUTE_PGM_RSRC2:TGID_Y_EN: 0
; COMPUTE_PGM_RSRC2:TGID_Z_EN: 0
; COMPUTE_PGM_RSRC2:TIDIG_COMP_CNT: 0
; COMPUTE_PGM_RSRC3_GFX90A:ACCUM_OFFSET: 0
; COMPUTE_PGM_RSRC3_GFX90A:TG_SPLIT: 0
	.section	.text._ZN7rocprim6detail25device_scan_by_key_kernelILNS0_25lookback_scan_determinismE0ELb1ENS0_26wrapped_scan_by_key_configINS_14default_configEiiEEPiN6hipcub22TransformInputIteratorIsNS7_6CastOpIsEEPslEEPfsNS7_8EqualityENS7_3SumENS0_19lookback_scan_stateINS_5tupleIJibEEELb0ELb1EEEiEEvT2_T3_T4_T5_T6_T7_T8_mmmPKNSH_IJT9_bEEE,"axG",@progbits,_ZN7rocprim6detail25device_scan_by_key_kernelILNS0_25lookback_scan_determinismE0ELb1ENS0_26wrapped_scan_by_key_configINS_14default_configEiiEEPiN6hipcub22TransformInputIteratorIsNS7_6CastOpIsEEPslEEPfsNS7_8EqualityENS7_3SumENS0_19lookback_scan_stateINS_5tupleIJibEEELb0ELb1EEEiEEvT2_T3_T4_T5_T6_T7_T8_mmmPKNSH_IJT9_bEEE,comdat
	.protected	_ZN7rocprim6detail25device_scan_by_key_kernelILNS0_25lookback_scan_determinismE0ELb1ENS0_26wrapped_scan_by_key_configINS_14default_configEiiEEPiN6hipcub22TransformInputIteratorIsNS7_6CastOpIsEEPslEEPfsNS7_8EqualityENS7_3SumENS0_19lookback_scan_stateINS_5tupleIJibEEELb0ELb1EEEiEEvT2_T3_T4_T5_T6_T7_T8_mmmPKNSH_IJT9_bEEE ; -- Begin function _ZN7rocprim6detail25device_scan_by_key_kernelILNS0_25lookback_scan_determinismE0ELb1ENS0_26wrapped_scan_by_key_configINS_14default_configEiiEEPiN6hipcub22TransformInputIteratorIsNS7_6CastOpIsEEPslEEPfsNS7_8EqualityENS7_3SumENS0_19lookback_scan_stateINS_5tupleIJibEEELb0ELb1EEEiEEvT2_T3_T4_T5_T6_T7_T8_mmmPKNSH_IJT9_bEEE
	.globl	_ZN7rocprim6detail25device_scan_by_key_kernelILNS0_25lookback_scan_determinismE0ELb1ENS0_26wrapped_scan_by_key_configINS_14default_configEiiEEPiN6hipcub22TransformInputIteratorIsNS7_6CastOpIsEEPslEEPfsNS7_8EqualityENS7_3SumENS0_19lookback_scan_stateINS_5tupleIJibEEELb0ELb1EEEiEEvT2_T3_T4_T5_T6_T7_T8_mmmPKNSH_IJT9_bEEE
	.p2align	8
	.type	_ZN7rocprim6detail25device_scan_by_key_kernelILNS0_25lookback_scan_determinismE0ELb1ENS0_26wrapped_scan_by_key_configINS_14default_configEiiEEPiN6hipcub22TransformInputIteratorIsNS7_6CastOpIsEEPslEEPfsNS7_8EqualityENS7_3SumENS0_19lookback_scan_stateINS_5tupleIJibEEELb0ELb1EEEiEEvT2_T3_T4_T5_T6_T7_T8_mmmPKNSH_IJT9_bEEE,@function
_ZN7rocprim6detail25device_scan_by_key_kernelILNS0_25lookback_scan_determinismE0ELb1ENS0_26wrapped_scan_by_key_configINS_14default_configEiiEEPiN6hipcub22TransformInputIteratorIsNS7_6CastOpIsEEPslEEPfsNS7_8EqualityENS7_3SumENS0_19lookback_scan_stateINS_5tupleIJibEEELb0ELb1EEEiEEvT2_T3_T4_T5_T6_T7_T8_mmmPKNSH_IJT9_bEEE: ; @_ZN7rocprim6detail25device_scan_by_key_kernelILNS0_25lookback_scan_determinismE0ELb1ENS0_26wrapped_scan_by_key_configINS_14default_configEiiEEPiN6hipcub22TransformInputIteratorIsNS7_6CastOpIsEEPslEEPfsNS7_8EqualityENS7_3SumENS0_19lookback_scan_stateINS_5tupleIJibEEELb0ELb1EEEiEEvT2_T3_T4_T5_T6_T7_T8_mmmPKNSH_IJT9_bEEE
; %bb.0:
	s_load_dword s7, s[4:5], 0x20
	s_load_dwordx4 s[0:3], s[4:5], 0x0
	s_load_dwordx8 s[36:43], s[4:5], 0x28
	s_load_dwordx2 s[46:47], s[4:5], 0x48
	s_mul_i32 s8, s6, 0xe00
	s_mov_b32 s9, 0
	s_lshl_b64 s[44:45], s[8:9], 2
	s_waitcnt lgkmcnt(0)
	s_add_u32 s50, s0, s44
	s_addc_u32 s51, s1, s45
	s_lshl_b64 s[0:1], s[8:9], 1
	s_add_u32 s48, s2, s0
	s_addc_u32 s49, s3, s1
	s_add_u32 s0, s6, s40
	s_addc_u32 s1, 0, s41
	s_add_u32 s8, s42, -1
	s_addc_u32 s9, s43, -1
	v_pk_mov_b32 v[2:3], s[8:9], s[8:9] op_sel:[0,1]
	v_cmp_ge_u64_e64 s[0:1], s[0:1], v[2:3]
	s_sext_i32_i16 s39, s7
	s_mov_b64 s[2:3], -1
	s_and_b64 vcc, exec, s[0:1]
	s_mul_i32 s33, s8, 0xfffff200
	v_lshlrev_b32_e32 v50, 2, v0
	s_cbranch_vccz .LBB107_76
; %bb.1:
	s_load_dword s40, s[50:51], 0x0
	s_add_i32 s7, s33, s38
	v_mov_b32_e32 v1, s51
	v_add_co_u32_e32 v2, vcc, s50, v50
	v_addc_co_u32_e32 v3, vcc, 0, v1, vcc
	v_cmp_gt_u32_e64 s[2:3], s7, v0
	s_waitcnt lgkmcnt(0)
	v_mov_b32_e32 v1, s40
	s_and_saveexec_b64 s[8:9], s[2:3]
	s_cbranch_execz .LBB107_3
; %bb.2:
	global_load_dword v1, v[2:3], off
.LBB107_3:
	s_or_b64 exec, exec, s[8:9]
	v_or_b32_e32 v4, 0x100, v0
	v_cmp_gt_u32_e64 s[34:35], s7, v4
	v_mov_b32_e32 v4, s40
	s_and_saveexec_b64 s[8:9], s[34:35]
	s_cbranch_execz .LBB107_5
; %bb.4:
	global_load_dword v4, v[2:3], off offset:1024
.LBB107_5:
	s_or_b64 exec, exec, s[8:9]
	v_or_b32_e32 v5, 0x200, v0
	v_cmp_gt_u32_e64 s[8:9], s7, v5
	v_mov_b32_e32 v5, s40
	s_and_saveexec_b64 s[10:11], s[8:9]
	s_cbranch_execz .LBB107_7
; %bb.6:
	global_load_dword v5, v[2:3], off offset:2048
.LBB107_7:
	;; [unrolled: 9-line block ×3, first 2 shown]
	s_or_b64 exec, exec, s[12:13]
	v_or_b32_e32 v7, 0x400, v0
	v_cmp_gt_u32_e64 s[12:13], s7, v7
	v_mov_b32_e32 v7, s40
	s_and_saveexec_b64 s[14:15], s[12:13]
	s_cbranch_execz .LBB107_11
; %bb.10:
	v_add_co_u32_e32 v8, vcc, 0x1000, v2
	v_addc_co_u32_e32 v9, vcc, 0, v3, vcc
	global_load_dword v7, v[8:9], off
.LBB107_11:
	s_or_b64 exec, exec, s[14:15]
	v_or_b32_e32 v8, 0x500, v0
	v_cmp_gt_u32_e64 s[14:15], s7, v8
	v_mov_b32_e32 v8, s40
	s_and_saveexec_b64 s[16:17], s[14:15]
	s_cbranch_execz .LBB107_13
; %bb.12:
	v_add_co_u32_e32 v8, vcc, 0x1000, v2
	v_addc_co_u32_e32 v9, vcc, 0, v3, vcc
	global_load_dword v8, v[8:9], off offset:1024
.LBB107_13:
	s_or_b64 exec, exec, s[16:17]
	v_or_b32_e32 v9, 0x600, v0
	v_cmp_gt_u32_e64 s[16:17], s7, v9
	v_mov_b32_e32 v9, s40
	s_and_saveexec_b64 s[18:19], s[16:17]
	s_cbranch_execz .LBB107_15
; %bb.14:
	v_add_co_u32_e32 v10, vcc, 0x1000, v2
	v_addc_co_u32_e32 v11, vcc, 0, v3, vcc
	global_load_dword v9, v[10:11], off offset:2048
.LBB107_15:
	;; [unrolled: 11-line block ×3, first 2 shown]
	s_or_b64 exec, exec, s[20:21]
	v_or_b32_e32 v11, 0x800, v0
	v_cmp_gt_u32_e64 s[20:21], s7, v11
	v_mov_b32_e32 v11, s40
	s_and_saveexec_b64 s[22:23], s[20:21]
	s_cbranch_execz .LBB107_19
; %bb.18:
	v_add_co_u32_e32 v12, vcc, 0x2000, v2
	v_addc_co_u32_e32 v13, vcc, 0, v3, vcc
	global_load_dword v11, v[12:13], off
.LBB107_19:
	s_or_b64 exec, exec, s[22:23]
	v_or_b32_e32 v12, 0x900, v0
	v_cmp_gt_u32_e64 s[22:23], s7, v12
	v_mov_b32_e32 v12, s40
	s_and_saveexec_b64 s[24:25], s[22:23]
	s_cbranch_execz .LBB107_21
; %bb.20:
	v_add_co_u32_e32 v12, vcc, 0x2000, v2
	v_addc_co_u32_e32 v13, vcc, 0, v3, vcc
	global_load_dword v12, v[12:13], off offset:1024
.LBB107_21:
	s_or_b64 exec, exec, s[24:25]
	v_or_b32_e32 v13, 0xa00, v0
	v_cmp_gt_u32_e64 s[24:25], s7, v13
	v_mov_b32_e32 v13, s40
	s_and_saveexec_b64 s[26:27], s[24:25]
	s_cbranch_execz .LBB107_23
; %bb.22:
	v_add_co_u32_e32 v14, vcc, 0x2000, v2
	v_addc_co_u32_e32 v15, vcc, 0, v3, vcc
	global_load_dword v13, v[14:15], off offset:2048
.LBB107_23:
	;; [unrolled: 11-line block ×3, first 2 shown]
	s_or_b64 exec, exec, s[28:29]
	v_or_b32_e32 v15, 0xc00, v0
	v_cmp_gt_u32_e64 s[28:29], s7, v15
	v_mov_b32_e32 v15, s40
	s_and_saveexec_b64 s[30:31], s[28:29]
	s_cbranch_execz .LBB107_27
; %bb.26:
	v_add_co_u32_e32 v16, vcc, 0x3000, v2
	v_addc_co_u32_e32 v17, vcc, 0, v3, vcc
	global_load_dword v15, v[16:17], off
.LBB107_27:
	s_or_b64 exec, exec, s[30:31]
	v_or_b32_e32 v16, 0xd00, v0
	v_cmp_gt_u32_e64 s[30:31], s7, v16
	v_mov_b32_e32 v16, s40
	s_and_saveexec_b64 s[40:41], s[30:31]
	s_cbranch_execz .LBB107_29
; %bb.28:
	v_add_co_u32_e32 v2, vcc, 0x3000, v2
	v_addc_co_u32_e32 v3, vcc, 0, v3, vcc
	global_load_dword v16, v[2:3], off offset:1024
.LBB107_29:
	s_or_b64 exec, exec, s[40:41]
	s_waitcnt vmcnt(0)
	ds_write2st64_b32 v50, v1, v4 offset1:4
	ds_write2st64_b32 v50, v5, v6 offset0:8 offset1:12
	ds_write2st64_b32 v50, v7, v8 offset0:16 offset1:20
	;; [unrolled: 1-line block ×6, first 2 shown]
	v_mad_u32_u24 v1, v0, 52, v50
	s_waitcnt lgkmcnt(0)
	s_barrier
	ds_read2_b64 v[34:37], v1 offset1:1
	ds_read2_b64 v[30:33], v1 offset0:2 offset1:3
	ds_read2_b64 v[26:29], v1 offset0:4 offset1:5
	ds_read_b64 v[40:41], v1 offset:48
	s_load_dword s40, s[50:51], 0x0
	s_movk_i32 s41, 0xffcc
	v_mad_i32_i24 v2, v0, s41, v1
	s_movk_i32 s41, 0xff
	v_cmp_ne_u32_e32 vcc, s41, v0
	s_waitcnt lgkmcnt(0)
	v_mov_b32_e32 v44, s40
	ds_write_b32 v2, v34 offset:15360
	s_waitcnt lgkmcnt(0)
	s_barrier
	s_and_saveexec_b64 s[40:41], vcc
	s_cbranch_execz .LBB107_31
; %bb.30:
	ds_read_b32 v44, v50 offset:15364
.LBB107_31:
	s_or_b64 exec, exec, s[40:41]
	v_lshlrev_b32_e32 v2, 1, v0
	v_mov_b32_e32 v3, s49
	v_add_co_u32_e32 v2, vcc, s48, v2
	v_addc_co_u32_e32 v3, vcc, 0, v3, vcc
	s_waitcnt lgkmcnt(0)
	s_barrier
	s_waitcnt lgkmcnt(0)
                                        ; implicit-def: $vgpr4
	s_and_saveexec_b64 s[40:41], s[2:3]
	s_cbranch_execz .LBB107_123
; %bb.32:
	global_load_sshort v4, v[2:3], off
	s_or_b64 exec, exec, s[40:41]
                                        ; implicit-def: $vgpr5
	s_and_saveexec_b64 s[2:3], s[34:35]
	s_cbranch_execnz .LBB107_124
.LBB107_33:
	s_or_b64 exec, exec, s[2:3]
                                        ; implicit-def: $vgpr6
	s_and_saveexec_b64 s[2:3], s[8:9]
	s_cbranch_execz .LBB107_125
.LBB107_34:
	global_load_sshort v6, v[2:3], off offset:1024
	s_or_b64 exec, exec, s[2:3]
                                        ; implicit-def: $vgpr7
	s_and_saveexec_b64 s[2:3], s[10:11]
	s_cbranch_execnz .LBB107_126
.LBB107_35:
	s_or_b64 exec, exec, s[2:3]
                                        ; implicit-def: $vgpr8
	s_and_saveexec_b64 s[2:3], s[12:13]
	s_cbranch_execz .LBB107_127
.LBB107_36:
	global_load_sshort v8, v[2:3], off offset:2048
	s_or_b64 exec, exec, s[2:3]
                                        ; implicit-def: $vgpr9
	s_and_saveexec_b64 s[2:3], s[14:15]
	s_cbranch_execnz .LBB107_128
.LBB107_37:
	s_or_b64 exec, exec, s[2:3]
                                        ; implicit-def: $vgpr10
	s_and_saveexec_b64 s[2:3], s[16:17]
	s_cbranch_execz .LBB107_129
.LBB107_38:
	global_load_sshort v10, v[2:3], off offset:3072
	s_or_b64 exec, exec, s[2:3]
                                        ; implicit-def: $vgpr11
	s_and_saveexec_b64 s[2:3], s[18:19]
	s_cbranch_execnz .LBB107_130
.LBB107_39:
	s_or_b64 exec, exec, s[2:3]
                                        ; implicit-def: $vgpr12
	s_and_saveexec_b64 s[2:3], s[20:21]
	s_cbranch_execz .LBB107_131
.LBB107_40:
	v_add_co_u32_e32 v12, vcc, 0x1000, v2
	v_addc_co_u32_e32 v13, vcc, 0, v3, vcc
	global_load_sshort v12, v[12:13], off
	s_or_b64 exec, exec, s[2:3]
                                        ; implicit-def: $vgpr13
	s_and_saveexec_b64 s[2:3], s[22:23]
	s_cbranch_execnz .LBB107_132
.LBB107_41:
	s_or_b64 exec, exec, s[2:3]
                                        ; implicit-def: $vgpr14
	s_and_saveexec_b64 s[2:3], s[24:25]
	s_cbranch_execz .LBB107_133
.LBB107_42:
	v_add_co_u32_e32 v14, vcc, 0x1000, v2
	v_addc_co_u32_e32 v15, vcc, 0, v3, vcc
	global_load_sshort v14, v[14:15], off offset:1024
	s_or_b64 exec, exec, s[2:3]
                                        ; implicit-def: $vgpr15
	s_and_saveexec_b64 s[2:3], s[26:27]
	s_cbranch_execnz .LBB107_134
.LBB107_43:
	s_or_b64 exec, exec, s[2:3]
                                        ; implicit-def: $vgpr16
	s_and_saveexec_b64 s[2:3], s[28:29]
	s_cbranch_execz .LBB107_45
.LBB107_44:
	v_add_co_u32_e32 v16, vcc, 0x1000, v2
	v_addc_co_u32_e32 v17, vcc, 0, v3, vcc
	global_load_sshort v16, v[16:17], off offset:2048
.LBB107_45:
	s_or_b64 exec, exec, s[2:3]
	v_mul_u32_u24_e32 v45, 14, v0
                                        ; implicit-def: $vgpr17
	s_and_saveexec_b64 s[2:3], s[30:31]
	s_cbranch_execz .LBB107_47
; %bb.46:
	v_add_co_u32_e32 v2, vcc, 0x1000, v2
	v_addc_co_u32_e32 v3, vcc, 0, v3, vcc
	global_load_sshort v17, v[2:3], off offset:2560
.LBB107_47:
	s_or_b64 exec, exec, s[2:3]
	s_mov_b32 s8, 0
	s_mov_b32 s9, s8
	s_waitcnt vmcnt(0)
	ds_write2st64_b32 v50, v4, v5 offset1:4
	ds_write2st64_b32 v50, v6, v7 offset0:8 offset1:12
	ds_write2st64_b32 v50, v8, v9 offset0:16 offset1:20
	;; [unrolled: 1-line block ×6, first 2 shown]
	s_mov_b32 s10, s8
	s_mov_b32 s11, s8
	;; [unrolled: 1-line block ×6, first 2 shown]
	v_pk_mov_b32 v[2:3], s[8:9], s[8:9] op_sel:[0,1]
	v_pk_mov_b32 v[8:9], s[14:15], s[14:15] op_sel:[0,1]
	;; [unrolled: 1-line block ×6, first 2 shown]
	v_cmp_gt_u32_e32 vcc, s7, v45
	s_mov_b64 s[2:3], 0
	v_pk_mov_b32 v[38:39], 0, 0
	s_mov_b64 s[20:21], 0
	v_pk_mov_b32 v[14:15], v[6:7], v[6:7] op_sel:[0,1]
	v_pk_mov_b32 v[12:13], v[4:5], v[4:5] op_sel:[0,1]
	;; [unrolled: 1-line block ×6, first 2 shown]
	s_waitcnt lgkmcnt(0)
	s_barrier
	s_waitcnt lgkmcnt(0)
                                        ; implicit-def: $sgpr18_sgpr19
                                        ; implicit-def: $vgpr42
	s_and_saveexec_b64 s[16:17], vcc
	s_cbranch_execz .LBB107_75
; %bb.48:
	ds_read_b32 v2, v1
	v_mov_b32_e32 v4, s39
	v_cmp_eq_u32_e32 vcc, v34, v35
	v_or_b32_e32 v3, 1, v45
                                        ; implicit-def: $vgpr42
	s_waitcnt lgkmcnt(0)
	v_cndmask_b32_e32 v38, v4, v2, vcc
	v_cmp_ne_u32_e32 vcc, v34, v35
	v_cndmask_b32_e64 v39, 0, 1, vcc
	v_cmp_gt_u32_e32 vcc, s7, v3
	v_pk_mov_b32 v[2:3], s[8:9], s[8:9] op_sel:[0,1]
	v_pk_mov_b32 v[8:9], s[14:15], s[14:15] op_sel:[0,1]
	;; [unrolled: 1-line block ×12, first 2 shown]
                                        ; implicit-def: $sgpr8_sgpr9
	s_and_saveexec_b64 s[18:19], vcc
	s_cbranch_execz .LBB107_74
; %bb.49:
	ds_read2_b32 v[42:43], v1 offset0:1 offset1:2
	s_mov_b32 s8, 0
	v_mov_b32_e32 v3, s39
	v_cmp_eq_u32_e32 vcc, v35, v36
	s_mov_b32 s14, s8
	s_mov_b32 s15, s8
	v_add_u32_e32 v2, 2, v45
	s_waitcnt lgkmcnt(0)
	v_cndmask_b32_e32 v8, v3, v42, vcc
	v_cmp_ne_u32_e32 vcc, v35, v36
	s_mov_b32 s9, s8
	s_mov_b32 s10, s8
	;; [unrolled: 1-line block ×5, first 2 shown]
	v_pk_mov_b32 v[16:17], s[14:15], s[14:15] op_sel:[0,1]
	v_cndmask_b32_e64 v9, 0, 1, vcc
	v_cmp_gt_u32_e32 vcc, s7, v2
	v_mov_b32_e32 v2, 0
	v_pk_mov_b32 v[14:15], s[12:13], s[12:13] op_sel:[0,1]
	v_pk_mov_b32 v[12:13], s[10:11], s[10:11] op_sel:[0,1]
	;; [unrolled: 1-line block ×4, first 2 shown]
	v_mov_b32_e32 v3, v2
	v_mov_b32_e32 v4, v2
	;; [unrolled: 1-line block ×5, first 2 shown]
	s_mov_b64 s[22:23], 0
	v_pk_mov_b32 v[22:23], v[14:15], v[14:15] op_sel:[0,1]
	v_pk_mov_b32 v[20:21], v[12:13], v[12:13] op_sel:[0,1]
	;; [unrolled: 1-line block ×3, first 2 shown]
                                        ; implicit-def: $sgpr26_sgpr27
                                        ; implicit-def: $vgpr42
	s_and_saveexec_b64 s[20:21], vcc
	s_cbranch_execz .LBB107_73
; %bb.50:
	v_mov_b32_e32 v4, s39
	v_cmp_eq_u32_e32 vcc, v36, v37
	v_pk_mov_b32 v[16:17], s[14:15], s[14:15] op_sel:[0,1]
	v_add_u32_e32 v3, 3, v45
	v_cndmask_b32_e32 v6, v4, v43, vcc
	v_cmp_ne_u32_e32 vcc, v36, v37
	v_pk_mov_b32 v[14:15], s[12:13], s[12:13] op_sel:[0,1]
	v_pk_mov_b32 v[12:13], s[10:11], s[10:11] op_sel:[0,1]
	;; [unrolled: 1-line block ×4, first 2 shown]
	v_cndmask_b32_e64 v7, 0, 1, vcc
	v_cmp_gt_u32_e32 vcc, s7, v3
	v_mov_b32_e32 v3, v2
	v_mov_b32_e32 v4, v2
	;; [unrolled: 1-line block ×3, first 2 shown]
	s_mov_b64 s[24:25], 0
	v_pk_mov_b32 v[22:23], v[14:15], v[14:15] op_sel:[0,1]
	v_pk_mov_b32 v[20:21], v[12:13], v[12:13] op_sel:[0,1]
	;; [unrolled: 1-line block ×3, first 2 shown]
                                        ; implicit-def: $sgpr8_sgpr9
                                        ; implicit-def: $vgpr42
	s_and_saveexec_b64 s[22:23], vcc
	s_cbranch_execz .LBB107_72
; %bb.51:
	ds_read2_b32 v[34:35], v1 offset0:3 offset1:4
	s_mov_b32 s8, 0
	s_mov_b32 s14, s8
	;; [unrolled: 1-line block ×3, first 2 shown]
	v_mov_b32_e32 v3, s39
	v_cmp_eq_u32_e32 vcc, v37, v30
	s_mov_b32 s9, s8
	s_mov_b32 s10, s8
	s_mov_b32 s11, s8
	s_mov_b32 s12, s8
	s_mov_b32 s13, s8
	v_pk_mov_b32 v[16:17], s[14:15], s[14:15] op_sel:[0,1]
	v_add_u32_e32 v2, 4, v45
	s_waitcnt lgkmcnt(0)
	v_cndmask_b32_e32 v4, v3, v34, vcc
	v_cmp_ne_u32_e32 vcc, v37, v30
	v_pk_mov_b32 v[14:15], s[12:13], s[12:13] op_sel:[0,1]
	v_pk_mov_b32 v[12:13], s[10:11], s[10:11] op_sel:[0,1]
	;; [unrolled: 1-line block ×4, first 2 shown]
	v_cndmask_b32_e64 v5, 0, 1, vcc
	v_cmp_gt_u32_e32 vcc, s7, v2
	v_mov_b32_e32 v2, s8
	v_mov_b32_e32 v3, s8
	s_mov_b64 s[26:27], 0
	v_pk_mov_b32 v[22:23], v[14:15], v[14:15] op_sel:[0,1]
	v_pk_mov_b32 v[20:21], v[12:13], v[12:13] op_sel:[0,1]
	;; [unrolled: 1-line block ×3, first 2 shown]
                                        ; implicit-def: $sgpr28_sgpr29
                                        ; implicit-def: $vgpr42
	s_and_saveexec_b64 s[24:25], vcc
	s_cbranch_execz .LBB107_71
; %bb.52:
	v_mov_b32_e32 v2, s39
	v_cmp_eq_u32_e32 vcc, v30, v31
	v_add_u32_e32 v10, 5, v45
	v_cndmask_b32_e32 v2, v2, v35, vcc
	v_cmp_ne_u32_e32 vcc, v30, v31
	v_cndmask_b32_e64 v3, 0, 1, vcc
	v_cmp_gt_u32_e32 vcc, s7, v10
	v_pk_mov_b32 v[16:17], s[14:15], s[14:15] op_sel:[0,1]
	v_pk_mov_b32 v[14:15], s[12:13], s[12:13] op_sel:[0,1]
	;; [unrolled: 1-line block ×5, first 2 shown]
	s_mov_b64 s[30:31], 0
	v_pk_mov_b32 v[22:23], v[14:15], v[14:15] op_sel:[0,1]
	v_pk_mov_b32 v[20:21], v[12:13], v[12:13] op_sel:[0,1]
	;; [unrolled: 1-line block ×3, first 2 shown]
                                        ; implicit-def: $sgpr8_sgpr9
                                        ; implicit-def: $vgpr42
	s_and_saveexec_b64 s[26:27], vcc
	s_cbranch_execz .LBB107_70
; %bb.53:
	ds_read2_b32 v[34:35], v1 offset0:5 offset1:6
	v_mov_b32_e32 v11, s39
	v_cmp_eq_u32_e32 vcc, v31, v32
	s_mov_b32 s8, 0
	v_add_u32_e32 v10, 6, v45
	s_waitcnt lgkmcnt(0)
	v_cndmask_b32_e32 v16, v11, v34, vcc
	v_cmp_ne_u32_e32 vcc, v31, v32
	s_mov_b32 s14, s8
	s_mov_b32 s15, s8
	v_cndmask_b32_e64 v17, 0, 1, vcc
	v_cmp_gt_u32_e32 vcc, s7, v10
	v_mov_b32_e32 v10, 0
	s_mov_b32 s9, s8
	s_mov_b32 s10, s8
	;; [unrolled: 1-line block ×5, first 2 shown]
	v_pk_mov_b32 v[24:25], s[14:15], s[14:15] op_sel:[0,1]
	v_mov_b32_e32 v11, v10
	v_mov_b32_e32 v12, v10
	;; [unrolled: 1-line block ×5, first 2 shown]
	v_pk_mov_b32 v[22:23], s[12:13], s[12:13] op_sel:[0,1]
	v_pk_mov_b32 v[20:21], s[10:11], s[10:11] op_sel:[0,1]
	;; [unrolled: 1-line block ×3, first 2 shown]
                                        ; implicit-def: $sgpr40_sgpr41
                                        ; implicit-def: $vgpr42
	s_and_saveexec_b64 s[28:29], vcc
	s_cbranch_execz .LBB107_69
; %bb.54:
	v_mov_b32_e32 v12, s39
	v_cmp_eq_u32_e32 vcc, v32, v33
	v_add_u32_e32 v11, 7, v45
	v_cndmask_b32_e32 v14, v12, v35, vcc
	v_cmp_ne_u32_e32 vcc, v32, v33
	v_pk_mov_b32 v[24:25], s[14:15], s[14:15] op_sel:[0,1]
	v_cndmask_b32_e64 v15, 0, 1, vcc
	v_cmp_gt_u32_e32 vcc, s7, v11
	v_mov_b32_e32 v11, v10
	v_mov_b32_e32 v12, v10
	;; [unrolled: 1-line block ×3, first 2 shown]
	s_mov_b64 s[34:35], 0
	v_pk_mov_b32 v[22:23], s[12:13], s[12:13] op_sel:[0,1]
	v_pk_mov_b32 v[20:21], s[10:11], s[10:11] op_sel:[0,1]
	;; [unrolled: 1-line block ×3, first 2 shown]
                                        ; implicit-def: $sgpr8_sgpr9
                                        ; implicit-def: $vgpr42
	s_and_saveexec_b64 s[30:31], vcc
	s_cbranch_execz .LBB107_68
; %bb.55:
	ds_read2_b32 v[30:31], v1 offset0:7 offset1:8
	s_mov_b32 s8, 0
	v_mov_b32_e32 v11, s39
	v_cmp_eq_u32_e32 vcc, v33, v26
	s_mov_b32 s14, s8
	s_mov_b32 s15, s8
	v_add_u32_e32 v10, 8, v45
	s_waitcnt lgkmcnt(0)
	v_cndmask_b32_e32 v12, v11, v30, vcc
	v_cmp_ne_u32_e32 vcc, v33, v26
	s_mov_b32 s9, s8
	s_mov_b32 s10, s8
	;; [unrolled: 1-line block ×5, first 2 shown]
	v_pk_mov_b32 v[24:25], s[14:15], s[14:15] op_sel:[0,1]
	v_cndmask_b32_e64 v13, 0, 1, vcc
	v_cmp_gt_u32_e32 vcc, s7, v10
	v_mov_b32_e32 v10, s8
	v_mov_b32_e32 v11, s8
	s_mov_b64 s[40:41], 0
	v_pk_mov_b32 v[22:23], s[12:13], s[12:13] op_sel:[0,1]
	v_pk_mov_b32 v[20:21], s[10:11], s[10:11] op_sel:[0,1]
	;; [unrolled: 1-line block ×3, first 2 shown]
                                        ; implicit-def: $sgpr42_sgpr43
                                        ; implicit-def: $vgpr42
	s_and_saveexec_b64 s[34:35], vcc
	s_cbranch_execz .LBB107_67
; %bb.56:
	v_mov_b32_e32 v10, s39
	v_cmp_eq_u32_e32 vcc, v26, v27
	v_add_u32_e32 v18, 9, v45
	v_cndmask_b32_e32 v10, v10, v31, vcc
	v_cmp_ne_u32_e32 vcc, v26, v27
	v_cndmask_b32_e64 v11, 0, 1, vcc
	v_cmp_gt_u32_e32 vcc, s7, v18
	v_pk_mov_b32 v[24:25], s[14:15], s[14:15] op_sel:[0,1]
	v_pk_mov_b32 v[22:23], s[12:13], s[12:13] op_sel:[0,1]
	;; [unrolled: 1-line block ×4, first 2 shown]
                                        ; implicit-def: $sgpr10_sgpr11
                                        ; implicit-def: $vgpr42
	s_and_saveexec_b64 s[8:9], vcc
	s_cbranch_execz .LBB107_66
; %bb.57:
	ds_read2_b32 v[30:31], v1 offset0:9 offset1:10
	v_mov_b32_e32 v18, s39
	v_cmp_eq_u32_e32 vcc, v27, v28
	v_add_u32_e32 v20, 10, v45
	v_mov_b32_e32 v22, 0
	s_waitcnt lgkmcnt(0)
	v_cndmask_b32_e32 v18, v18, v30, vcc
	v_cmp_ne_u32_e32 vcc, v27, v28
	v_cndmask_b32_e64 v19, 0, 1, vcc
	v_cmp_gt_u32_e32 vcc, s7, v20
	v_mov_b32_e32 v20, v22
	v_mov_b32_e32 v21, v22
	;; [unrolled: 1-line block ×5, first 2 shown]
	s_mov_b64 s[12:13], 0
                                        ; implicit-def: $sgpr40_sgpr41
                                        ; implicit-def: $vgpr42
	s_and_saveexec_b64 s[10:11], vcc
	s_cbranch_execz .LBB107_65
; %bb.58:
	v_mov_b32_e32 v20, s39
	v_cmp_eq_u32_e32 vcc, v28, v29
	v_add_u32_e32 v23, 11, v45
	v_cndmask_b32_e32 v20, v20, v31, vcc
	v_cmp_ne_u32_e32 vcc, v28, v29
	v_cndmask_b32_e64 v21, 0, 1, vcc
	v_cmp_gt_u32_e32 vcc, s7, v23
	s_mov_b32 s40, 0
	v_mov_b32_e32 v23, v22
	v_mov_b32_e32 v24, v22
	;; [unrolled: 1-line block ×3, first 2 shown]
	s_mov_b64 s[14:15], 0
                                        ; implicit-def: $sgpr42_sgpr43
                                        ; implicit-def: $vgpr42
	s_and_saveexec_b64 s[12:13], vcc
	s_cbranch_execz .LBB107_64
; %bb.59:
	ds_read2_b32 v[26:27], v1 offset0:11 offset1:12
	v_mov_b32_e32 v22, s39
	v_cmp_eq_u32_e32 vcc, v29, v40
	v_add_u32_e32 v24, 12, v45
	v_mov_b32_e32 v25, s40
	s_waitcnt lgkmcnt(0)
	v_cndmask_b32_e32 v22, v22, v26, vcc
	v_cmp_ne_u32_e32 vcc, v29, v40
	v_cndmask_b32_e64 v23, 0, 1, vcc
	v_cmp_gt_u32_e32 vcc, s7, v24
	v_mov_b32_e32 v24, s40
	s_mov_b64 s[40:41], 0
                                        ; implicit-def: $sgpr42_sgpr43
                                        ; implicit-def: $vgpr42
	s_and_saveexec_b64 s[14:15], vcc
	s_cbranch_execz .LBB107_63
; %bb.60:
	v_mov_b32_e32 v24, s39
	v_cmp_eq_u32_e32 vcc, v40, v41
	v_add_u32_e32 v26, 13, v45
	v_cndmask_b32_e32 v24, v24, v27, vcc
	v_cmp_ne_u32_e32 vcc, v40, v41
	v_cndmask_b32_e64 v25, 0, 1, vcc
	v_cmp_gt_u32_e32 vcc, s7, v26
                                        ; implicit-def: $sgpr42_sgpr43
                                        ; implicit-def: $vgpr42
	s_and_saveexec_b64 s[52:53], vcc
	s_xor_b64 s[52:53], exec, s[52:53]
	s_cbranch_execz .LBB107_62
; %bb.61:
	ds_read_b32 v1, v1 offset:52
	v_mov_b32_e32 v26, s39
	v_cmp_ne_u32_e32 vcc, v41, v44
	s_mov_b64 s[40:41], exec
	s_and_b64 s[42:43], vcc, exec
	s_waitcnt lgkmcnt(0)
	v_cndmask_b32_e32 v42, v1, v26, vcc
.LBB107_62:
	s_or_b64 exec, exec, s[52:53]
	s_and_b64 s[42:43], s[42:43], exec
	s_and_b64 s[40:41], s[40:41], exec
.LBB107_63:
	s_or_b64 exec, exec, s[14:15]
	s_and_b64 s[42:43], s[42:43], exec
	s_and_b64 s[14:15], s[40:41], exec
.LBB107_64:
	s_or_b64 exec, exec, s[12:13]
	s_and_b64 s[40:41], s[42:43], exec
	s_and_b64 s[12:13], s[14:15], exec
.LBB107_65:
	s_or_b64 exec, exec, s[10:11]
	s_and_b64 s[10:11], s[40:41], exec
	s_and_b64 s[40:41], s[12:13], exec
.LBB107_66:
	s_or_b64 exec, exec, s[8:9]
	s_and_b64 s[42:43], s[10:11], exec
	s_and_b64 s[40:41], s[40:41], exec
.LBB107_67:
	s_or_b64 exec, exec, s[34:35]
	s_and_b64 s[8:9], s[42:43], exec
	s_and_b64 s[34:35], s[40:41], exec
.LBB107_68:
	s_or_b64 exec, exec, s[30:31]
	s_and_b64 s[40:41], s[8:9], exec
	s_and_b64 s[30:31], s[34:35], exec
.LBB107_69:
	s_or_b64 exec, exec, s[28:29]
	s_and_b64 s[8:9], s[40:41], exec
	s_and_b64 s[30:31], s[30:31], exec
.LBB107_70:
	s_or_b64 exec, exec, s[26:27]
	s_and_b64 s[28:29], s[8:9], exec
	s_and_b64 s[26:27], s[30:31], exec
.LBB107_71:
	s_or_b64 exec, exec, s[24:25]
	s_and_b64 s[8:9], s[28:29], exec
	s_and_b64 s[24:25], s[26:27], exec
.LBB107_72:
	s_or_b64 exec, exec, s[22:23]
	s_and_b64 s[26:27], s[8:9], exec
	s_and_b64 s[22:23], s[24:25], exec
.LBB107_73:
	s_or_b64 exec, exec, s[20:21]
	s_and_b64 s[8:9], s[26:27], exec
	s_and_b64 s[20:21], s[22:23], exec
.LBB107_74:
	s_or_b64 exec, exec, s[18:19]
	s_and_b64 s[18:19], s[8:9], exec
	s_and_b64 s[20:21], s[20:21], exec
.LBB107_75:
	s_or_b64 exec, exec, s[16:17]
	s_and_b64 vcc, exec, s[2:3]
	s_cbranch_vccnz .LBB107_77
	s_branch .LBB107_82
.LBB107_76:
	s_mov_b64 s[20:21], 0
                                        ; implicit-def: $sgpr18_sgpr19
                                        ; implicit-def: $vgpr2_vgpr3_vgpr4_vgpr5_vgpr6_vgpr7_vgpr8_vgpr9
                                        ; implicit-def: $vgpr10_vgpr11_vgpr12_vgpr13_vgpr14_vgpr15_vgpr16_vgpr17
                                        ; implicit-def: $vgpr18_vgpr19_vgpr20_vgpr21_vgpr22_vgpr23_vgpr24_vgpr25
                                        ; implicit-def: $vgpr42
                                        ; implicit-def: $vgpr38_vgpr39
	s_and_b64 vcc, exec, s[2:3]
	s_cbranch_vccz .LBB107_82
.LBB107_77:
	v_mov_b32_e32 v1, s51
	v_add_co_u32_e32 v6, vcc, s50, v50
	v_addc_co_u32_e32 v1, vcc, 0, v1, vcc
	v_add_co_u32_e32 v2, vcc, 0x1000, v6
	v_addc_co_u32_e32 v3, vcc, 0, v1, vcc
	;; [unrolled: 2-line block ×3, first 2 shown]
	global_load_dword v7, v50, s[50:51]
	global_load_dword v8, v50, s[50:51] offset:1024
	global_load_dword v9, v50, s[50:51] offset:2048
	;; [unrolled: 1-line block ×3, first 2 shown]
	global_load_dword v11, v[2:3], off
	global_load_dword v12, v[2:3], off offset:1024
	global_load_dword v13, v[2:3], off offset:2048
	;; [unrolled: 1-line block ×3, first 2 shown]
	global_load_dword v15, v[4:5], off
	global_load_dword v16, v[4:5], off offset:1024
	global_load_dword v17, v[4:5], off offset:2048
	;; [unrolled: 1-line block ×3, first 2 shown]
	v_add_co_u32_e32 v2, vcc, 0x3000, v6
	v_addc_co_u32_e32 v3, vcc, 0, v1, vcc
	global_load_dword v1, v[2:3], off
	global_load_dword v4, v[2:3], off offset:1024
	v_mad_u32_u24 v6, v0, 52, v50
	s_movk_i32 s7, 0xffcc
	v_mad_i32_i24 v2, v0, s7, v6
	s_movk_i32 s8, 0xff
	s_movk_i32 s3, 0x1000
	s_mov_b32 s2, 0
	v_cmp_ne_u32_e32 vcc, s8, v0
	s_waitcnt vmcnt(12)
	ds_write2st64_b32 v50, v7, v8 offset1:4
	s_waitcnt vmcnt(10)
	ds_write2st64_b32 v50, v9, v10 offset0:8 offset1:12
	s_waitcnt vmcnt(8)
	ds_write2st64_b32 v50, v11, v12 offset0:16 offset1:20
	;; [unrolled: 2-line block ×6, first 2 shown]
	s_waitcnt lgkmcnt(0)
	s_barrier
	ds_read2_b32 v[26:27], v6 offset1:13
	ds_read2_b32 v[18:19], v6 offset0:7 offset1:8
	ds_read2_b32 v[20:21], v6 offset0:5 offset1:6
	;; [unrolled: 1-line block ×6, first 2 shown]
	s_load_dword s7, s[50:51], 0x3800
	s_waitcnt lgkmcnt(0)
	ds_write_b32 v2, v26 offset:15360
	s_waitcnt lgkmcnt(0)
	s_barrier
	v_mov_b32_e32 v1, s7
	s_and_saveexec_b64 s[8:9], vcc
	s_cbranch_execz .LBB107_79
; %bb.78:
	ds_read_b32 v1, v50 offset:15364
.LBB107_79:
	s_or_b64 exec, exec, s[8:9]
	v_lshlrev_b32_e32 v2, 1, v0
	v_mov_b32_e32 v3, s49
	v_add_co_u32_e32 v4, vcc, s48, v2
	v_addc_co_u32_e32 v3, vcc, 0, v3, vcc
	s_waitcnt lgkmcnt(0)
	s_barrier
	global_load_sshort v5, v2, s[48:49]
	global_load_sshort v7, v2, s[48:49] offset:512
	global_load_sshort v8, v2, s[48:49] offset:1024
	;; [unrolled: 1-line block ×7, first 2 shown]
	v_add_co_u32_e32 v2, vcc, s3, v4
	v_addc_co_u32_e32 v3, vcc, 0, v3, vcc
	global_load_sshort v4, v[2:3], off
	global_load_sshort v22, v[2:3], off offset:512
	global_load_sshort v23, v[2:3], off offset:1024
	;; [unrolled: 1-line block ×5, first 2 shown]
	s_mov_b32 s3, 1
	v_cmp_eq_u32_e32 vcc, v26, v12
	v_pk_mov_b32 v[38:39], s[2:3], s[2:3] op_sel:[0,1]
	s_waitcnt vmcnt(12)
	ds_write2st64_b32 v50, v5, v7 offset1:4
	s_waitcnt vmcnt(10)
	ds_write2st64_b32 v50, v8, v9 offset0:8 offset1:12
	s_waitcnt vmcnt(8)
	ds_write2st64_b32 v50, v14, v15 offset0:16 offset1:20
	;; [unrolled: 2-line block ×6, first 2 shown]
	s_waitcnt lgkmcnt(0)
	s_barrier
	ds_read2_b32 v[24:25], v6 offset0:7 offset1:8
	ds_read2_b32 v[14:15], v6 offset0:5 offset1:6
	;; [unrolled: 1-line block ×4, first 2 shown]
	ds_read_b32 v34, v6 offset:52
	ds_read2_b32 v[22:23], v6 offset0:11 offset1:12
	ds_read2_b32 v[32:33], v6 offset0:9 offset1:10
	v_mov_b32_e32 v7, s39
	s_and_saveexec_b64 s[2:3], vcc
	s_cbranch_execz .LBB107_81
; %bb.80:
	ds_read_b32 v7, v6
	v_pk_mov_b32 v[38:39], 0, 0
.LBB107_81:
	s_or_b64 exec, exec, s[2:3]
	v_mov_b32_e32 v26, s39
	v_cmp_eq_u32_e32 vcc, v12, v13
	s_waitcnt lgkmcnt(3)
	v_cndmask_b32_e32 v8, v26, v4, vcc
	v_cmp_eq_u32_e32 vcc, v13, v10
	v_cndmask_b32_e32 v6, v26, v5, vcc
	v_cmp_eq_u32_e32 vcc, v10, v11
	;; [unrolled: 2-line block ×3, first 2 shown]
	v_cndmask_b32_e32 v2, v26, v3, vcc
	v_cmp_ne_u32_e32 vcc, v12, v13
	v_cndmask_b32_e64 v9, 0, 1, vcc
	v_cmp_ne_u32_e32 vcc, v13, v10
	s_waitcnt lgkmcnt(0)
	v_or_b32_e32 v38, v38, v7
	v_cndmask_b32_e64 v7, 0, 1, vcc
	v_cmp_ne_u32_e32 vcc, v10, v11
	v_cndmask_b32_e64 v5, 0, 1, vcc
	v_cmp_ne_u32_e32 vcc, v11, v20
	v_cndmask_b32_e64 v3, 0, 1, vcc
	v_cmp_eq_u32_e32 vcc, v20, v21
	v_cndmask_b32_e32 v16, v26, v14, vcc
	v_cmp_eq_u32_e32 vcc, v21, v18
	v_cndmask_b32_e32 v14, v26, v15, vcc
	;; [unrolled: 2-line block ×4, first 2 shown]
	v_cmp_ne_u32_e32 vcc, v20, v21
	v_cndmask_b32_e64 v17, 0, 1, vcc
	v_cmp_ne_u32_e32 vcc, v21, v18
	v_cndmask_b32_e64 v15, 0, 1, vcc
	;; [unrolled: 2-line block ×4, first 2 shown]
	v_cmp_eq_u32_e32 vcc, v31, v27
	v_cndmask_b32_e32 v24, v26, v23, vcc
	v_cmp_eq_u32_e32 vcc, v30, v31
	v_cndmask_b32_e32 v22, v26, v22, vcc
	;; [unrolled: 2-line block ×4, first 2 shown]
	v_cmp_ne_u32_e32 vcc, v31, v27
	v_cndmask_b32_e64 v25, 0, 1, vcc
	v_cmp_ne_u32_e32 vcc, v30, v31
	v_cndmask_b32_e64 v23, 0, 1, vcc
	v_cmp_ne_u32_e32 vcc, v29, v30
	v_cndmask_b32_e64 v21, 0, 1, vcc
	v_cmp_ne_u32_e32 vcc, v28, v29
	v_cmp_ne_u32_e64 s[18:19], v27, v1
	v_cndmask_b32_e64 v19, 0, 1, vcc
	v_cndmask_b32_e64 v42, v34, v26, s[18:19]
	s_mov_b64 s[20:21], -1
                                        ; implicit-def: $sgpr2_sgpr3
.LBB107_82:
	v_pk_mov_b32 v[40:41], s[2:3], s[2:3] op_sel:[0,1]
	s_and_saveexec_b64 s[2:3], s[20:21]
; %bb.83:
	v_cndmask_b32_e64 v43, 0, 1, s[18:19]
	v_pk_mov_b32 v[40:41], v[42:43], v[42:43] op_sel:[0,1]
; %bb.84:
	s_or_b64 exec, exec, s[2:3]
	s_mov_b32 s28, 0
	s_cmp_lg_u32 s6, 0
	v_mbcnt_lo_u32_b32 v1, -1, 0
	s_barrier
	s_cbranch_scc0 .LBB107_135
; %bb.85:
	s_mov_b32 s29, 1
	v_cmp_gt_u64_e64 s[2:3], s[28:29], v[8:9]
	v_cndmask_b32_e64 v27, 0, v38, s[2:3]
	v_add_u32_e32 v27, v27, v8
	v_cmp_gt_u64_e64 s[30:31], s[28:29], v[6:7]
	v_cndmask_b32_e64 v27, 0, v27, s[30:31]
	v_add_u32_e32 v27, v27, v6
	;; [unrolled: 3-line block ×12, first 2 shown]
	v_cmp_gt_u64_e32 vcc, s[28:29], v[40:41]
	v_cndmask_b32_e32 v27, 0, v27, vcc
	v_add_u32_e32 v28, v27, v40
	v_or3_b32 v27, v41, v25, v23
	v_or3_b32 v27, v27, v21, v19
	;; [unrolled: 1-line block ×6, first 2 shown]
	v_mov_b32_e32 v26, 0
	v_and_b32_e32 v27, 1, v27
	v_cmp_eq_u64_e32 vcc, 0, v[26:27]
	v_cndmask_b32_e32 v27, 1, v39, vcc
	v_and_b32_e32 v29, 0xff, v27
	v_mbcnt_hi_u32_b32 v44, -1, v1
	v_mov_b32_dpp v26, v28 row_shr:1 row_mask:0xf bank_mask:0xf
	v_mov_b32_dpp v31, v29 row_shr:1 row_mask:0xf bank_mask:0xf
	v_cmp_eq_u16_e32 vcc, 0, v29
	v_and_b32_e32 v32, 1, v27
	v_and_b32_e32 v30, 15, v44
	v_cndmask_b32_e32 v26, 0, v26, vcc
	v_and_b32_e32 v31, 1, v31
	v_cmp_eq_u32_e32 vcc, 1, v32
	v_cndmask_b32_e64 v31, v31, 1, vcc
	v_cmp_eq_u32_e32 vcc, 0, v30
	v_and_b32_e32 v32, 0xffff, v31
	v_cndmask_b32_e64 v26, v26, 0, vcc
	v_add_u32_e32 v26, v26, v28
	v_cndmask_b32_e32 v28, v32, v29, vcc
	v_cndmask_b32_e32 v27, v31, v27, vcc
	v_mov_b32_dpp v32, v26 row_shr:2 row_mask:0xf bank_mask:0xf
	v_mov_b32_dpp v33, v28 row_shr:2 row_mask:0xf bank_mask:0xf
	v_cmp_lt_u32_e32 vcc, 1, v30
	v_mov_b32_e32 v29, v28
	s_and_saveexec_b64 s[28:29], vcc
; %bb.86:
	v_and_b32_e32 v27, 1, v31
	v_and_b32_e32 v28, 1, v33
	v_cmp_eq_u32_e32 vcc, 1, v27
	v_cndmask_b32_e64 v27, v28, 1, vcc
	v_cmp_eq_u16_e32 vcc, 0, v31
	v_cndmask_b32_e32 v28, 0, v32, vcc
	v_and_b32_e32 v29, 0xffff, v27
	v_add_u32_e32 v26, v28, v26
	v_mov_b32_e32 v28, v27
; %bb.87:
	s_or_b64 exec, exec, s[28:29]
	v_mov_b32_dpp v31, v26 row_shr:4 row_mask:0xf bank_mask:0xf
	v_mov_b32_dpp v32, v29 row_shr:4 row_mask:0xf bank_mask:0xf
	v_cmp_lt_u32_e32 vcc, 3, v30
	s_and_saveexec_b64 s[28:29], vcc
; %bb.88:
	v_and_b32_e32 v27, 1, v28
	v_and_b32_e32 v29, 1, v32
	v_cmp_eq_u32_e32 vcc, 1, v27
	v_cndmask_b32_e64 v27, v29, 1, vcc
	v_cmp_eq_u16_e32 vcc, 0, v28
	v_cndmask_b32_e32 v28, 0, v31, vcc
	v_and_b32_e32 v29, 0xffff, v27
	v_add_u32_e32 v26, v28, v26
	v_mov_b32_e32 v28, v27
; %bb.89:
	s_or_b64 exec, exec, s[28:29]
	v_mov_b32_dpp v31, v26 row_shr:8 row_mask:0xf bank_mask:0xf
	v_mov_b32_dpp v32, v29 row_shr:8 row_mask:0xf bank_mask:0xf
	v_cmp_lt_u32_e32 vcc, 7, v30
	s_and_saveexec_b64 s[28:29], vcc
; %bb.90:
	v_and_b32_e32 v27, 1, v28
	v_and_b32_e32 v29, 1, v32
	v_cmp_eq_u32_e32 vcc, 1, v27
	v_cndmask_b32_e64 v27, v29, 1, vcc
	v_cmp_eq_u16_e32 vcc, 0, v28
	v_cndmask_b32_e32 v28, 0, v31, vcc
	v_and_b32_e32 v29, 0xffff, v27
	v_add_u32_e32 v26, v28, v26
	v_mov_b32_e32 v28, v27
; %bb.91:
	s_or_b64 exec, exec, s[28:29]
	v_and_b32_e32 v32, 16, v44
	v_mov_b32_dpp v30, v26 row_bcast:15 row_mask:0xf bank_mask:0xf
	v_mov_b32_dpp v31, v29 row_bcast:15 row_mask:0xf bank_mask:0xf
	v_cmp_ne_u32_e32 vcc, 0, v32
	s_and_saveexec_b64 s[28:29], vcc
; %bb.92:
	v_and_b32_e32 v27, 1, v28
	v_and_b32_e32 v29, 1, v31
	v_cmp_eq_u32_e32 vcc, 1, v27
	v_cndmask_b32_e64 v27, v29, 1, vcc
	v_cmp_eq_u16_e32 vcc, 0, v28
	v_cndmask_b32_e32 v28, 0, v30, vcc
	v_and_b32_e32 v29, 0xffff, v27
	v_add_u32_e32 v26, v28, v26
	v_mov_b32_e32 v28, v27
; %bb.93:
	s_or_b64 exec, exec, s[28:29]
	v_mov_b32_e32 v31, 0
	v_mov_b32_dpp v29, v29 row_bcast:31 row_mask:0xf bank_mask:0xf
	v_cmp_eq_u16_sdwa s[28:29], v28, v31 src0_sel:BYTE_0 src1_sel:DWORD
	v_and_b32_e32 v28, 1, v28
	v_and_b32_e32 v29, 1, v29
	v_cmp_eq_u32_e32 vcc, 1, v28
	v_cndmask_b32_e64 v28, v29, 1, vcc
	v_cmp_lt_u32_e32 vcc, 31, v44
	v_mov_b32_dpp v30, v26 row_bcast:31 row_mask:0xf bank_mask:0xf
	v_cndmask_b32_e32 v29, v27, v28, vcc
	s_and_b64 vcc, vcc, s[28:29]
	v_cndmask_b32_e32 v27, 0, v30, vcc
	v_add_u32_e32 v28, v27, v26
	v_or_b32_e32 v26, 63, v0
	v_lshrrev_b32_e32 v30, 6, v0
	v_cmp_eq_u32_e32 vcc, v26, v0
	s_and_saveexec_b64 s[28:29], vcc
	s_cbranch_execz .LBB107_95
; %bb.94:
	v_lshlrev_b32_e32 v26, 3, v30
	ds_write_b32 v26, v28
	ds_write_b8 v26, v29 offset:4
.LBB107_95:
	s_or_b64 exec, exec, s[28:29]
	v_cmp_gt_u32_e32 vcc, 4, v0
	s_waitcnt lgkmcnt(0)
	s_barrier
	s_and_saveexec_b64 s[28:29], vcc
	s_cbranch_execz .LBB107_101
; %bb.96:
	v_lshlrev_b32_e32 v31, 3, v0
	ds_read_b64 v[26:27], v31
	v_and_b32_e32 v32, 3, v44
	v_cmp_ne_u32_e32 vcc, 0, v32
	s_waitcnt lgkmcnt(0)
	v_mov_b32_dpp v34, v26 row_shr:1 row_mask:0xf bank_mask:0xf
	v_mov_b32_dpp v35, v27 row_shr:1 row_mask:0xf bank_mask:0xf
	v_mov_b32_e32 v33, v27
	s_and_saveexec_b64 s[34:35], vcc
	s_cbranch_execz .LBB107_98
; %bb.97:
	v_and_b32_e32 v33, 1, v27
	v_and_b32_e32 v35, 1, v35
	v_cmp_eq_u32_e32 vcc, 1, v33
	v_mov_b32_e32 v33, 0
	v_cndmask_b32_e64 v35, v35, 1, vcc
	v_cmp_eq_u16_sdwa vcc, v27, v33 src0_sel:BYTE_0 src1_sel:DWORD
	v_cndmask_b32_e32 v33, 0, v34, vcc
	v_add_u32_e32 v26, v33, v26
	v_and_b32_e32 v33, 0xffff, v35
	s_movk_i32 s7, 0xff00
	v_and_or_b32 v33, v27, s7, v33
	v_mov_b32_e32 v27, v35
.LBB107_98:
	s_or_b64 exec, exec, s[34:35]
	v_mov_b32_dpp v34, v26 row_shr:2 row_mask:0xf bank_mask:0xf
	v_mov_b32_dpp v35, v33 row_shr:2 row_mask:0xf bank_mask:0xf
	v_cmp_lt_u32_e32 vcc, 1, v32
	s_and_saveexec_b64 s[34:35], vcc
; %bb.99:
	v_and_b32_e32 v27, 1, v33
	v_and_b32_e32 v32, 1, v35
	v_cmp_eq_u32_e32 vcc, 1, v27
	v_cndmask_b32_e64 v27, v32, 1, vcc
	v_mov_b32_e32 v32, 0
	v_cmp_eq_u32_sdwa vcc, v33, v32 src0_sel:BYTE_0 src1_sel:DWORD
	v_cndmask_b32_e32 v32, 0, v34, vcc
	v_add_u32_e32 v26, v32, v26
; %bb.100:
	s_or_b64 exec, exec, s[34:35]
	ds_write_b32 v31, v26
	ds_write_b8 v31, v27 offset:4
.LBB107_101:
	s_or_b64 exec, exec, s[28:29]
	v_cmp_gt_u32_e32 vcc, 64, v0
	v_cmp_lt_u32_e64 s[28:29], 63, v0
	v_mov_b32_e32 v42, 0
	v_mov_b32_e32 v43, 0
	s_waitcnt lgkmcnt(0)
	s_barrier
	s_and_saveexec_b64 s[34:35], s[28:29]
	s_cbranch_execz .LBB107_103
; %bb.102:
	v_lshl_add_u32 v26, v30, 3, -8
	ds_read_b32 v42, v26
	ds_read_u8 v43, v26 offset:4
	v_mov_b32_e32 v27, 0
	v_and_b32_e32 v30, 1, v29
	v_cmp_eq_u16_sdwa s[28:29], v29, v27 src0_sel:BYTE_0 src1_sel:DWORD
	s_waitcnt lgkmcnt(1)
	v_cndmask_b32_e64 v26, 0, v42, s[28:29]
	v_cmp_eq_u32_e64 s[28:29], 1, v30
	v_add_u32_e32 v28, v26, v28
	s_waitcnt lgkmcnt(0)
	v_cndmask_b32_e64 v29, v43, 1, s[28:29]
.LBB107_103:
	s_or_b64 exec, exec, s[34:35]
	v_and_b32_e32 v26, 0xff, v29
	v_add_u32_e32 v27, -1, v44
	v_and_b32_e32 v29, 64, v44
	v_cmp_lt_i32_e64 s[28:29], v27, v29
	v_cndmask_b32_e64 v27, v27, v44, s[28:29]
	v_lshlrev_b32_e32 v27, 2, v27
	ds_bpermute_b32 v45, v27, v28
	ds_bpermute_b32 v46, v27, v26
	v_cmp_eq_u32_e64 s[28:29], 0, v44
	s_and_saveexec_b64 s[40:41], vcc
	s_cbranch_execz .LBB107_122
; %bb.104:
	v_mov_b32_e32 v29, 0
	ds_read_b64 v[26:27], v29 offset:24
	s_waitcnt lgkmcnt(0)
	v_readfirstlane_b32 s7, v27
	s_and_saveexec_b64 s[34:35], s[28:29]
	s_cbranch_execz .LBB107_106
; %bb.105:
	s_add_i32 s42, s6, 64
	s_mov_b32 s43, 0
	s_lshl_b64 s[48:49], s[42:43], 4
	s_add_u32 s48, s36, s48
	s_addc_u32 s49, s37, s49
	s_and_b32 s51, s7, 0xff000000
	s_mov_b32 s50, s43
	s_and_b32 s53, s7, 0xff0000
	s_mov_b32 s52, s43
	s_or_b64 s[50:51], s[52:53], s[50:51]
	s_and_b32 s53, s7, 0xff00
	s_or_b64 s[50:51], s[50:51], s[52:53]
	s_and_b32 s53, s7, 0xff
	s_or_b64 s[42:43], s[50:51], s[52:53]
	v_mov_b32_e32 v27, s43
	v_mov_b32_e32 v28, 1
	v_pk_mov_b32 v[30:31], s[48:49], s[48:49] op_sel:[0,1]
	;;#ASMSTART
	global_store_dwordx4 v[30:31], v[26:29] off	
s_waitcnt vmcnt(0)
	;;#ASMEND
.LBB107_106:
	s_or_b64 exec, exec, s[34:35]
	v_xad_u32 v34, v44, -1, s6
	v_add_u32_e32 v28, 64, v34
	v_lshlrev_b64 v[30:31], 4, v[28:29]
	v_mov_b32_e32 v27, s37
	v_add_co_u32_e32 v36, vcc, s36, v30
	v_addc_co_u32_e32 v37, vcc, v27, v31, vcc
	;;#ASMSTART
	global_load_dwordx4 v[30:33], v[36:37] off glc	
s_waitcnt vmcnt(0)
	;;#ASMEND
	v_cmp_eq_u16_sdwa s[42:43], v32, v29 src0_sel:BYTE_0 src1_sel:DWORD
	s_and_saveexec_b64 s[34:35], s[42:43]
	s_cbranch_execz .LBB107_110
; %bb.107:
	s_mov_b64 s[42:43], 0
	v_mov_b32_e32 v27, 0
.LBB107_108:                            ; =>This Inner Loop Header: Depth=1
	;;#ASMSTART
	global_load_dwordx4 v[30:33], v[36:37] off glc	
s_waitcnt vmcnt(0)
	;;#ASMEND
	v_cmp_ne_u16_sdwa s[48:49], v32, v27 src0_sel:BYTE_0 src1_sel:DWORD
	s_or_b64 s[42:43], s[48:49], s[42:43]
	s_andn2_b64 exec, exec, s[42:43]
	s_cbranch_execnz .LBB107_108
; %bb.109:
	s_or_b64 exec, exec, s[42:43]
.LBB107_110:
	s_or_b64 exec, exec, s[34:35]
	v_mov_b32_e32 v27, 2
	v_cmp_eq_u16_sdwa s[34:35], v32, v27 src0_sel:BYTE_0 src1_sel:DWORD
	v_lshlrev_b64 v[28:29], v44, -1
	v_and_b32_e32 v33, s35, v29
	v_or_b32_e32 v33, 0x80000000, v33
	v_and_b32_e32 v35, s34, v28
	v_ffbl_b32_e32 v33, v33
	v_and_b32_e32 v58, 63, v44
	v_add_u32_e32 v33, 32, v33
	v_ffbl_b32_e32 v35, v35
	v_cmp_ne_u32_e32 vcc, 63, v58
	v_min_u32_e32 v33, v35, v33
	v_addc_co_u32_e32 v35, vcc, 0, v44, vcc
	v_and_b32_e32 v37, 0xff, v31
	v_lshlrev_b32_e32 v47, 2, v35
	ds_bpermute_b32 v35, v47, v37
	ds_bpermute_b32 v49, v47, v30
	s_mov_b32 s42, 0
	v_and_b32_e32 v31, 1, v31
	v_mov_b32_e32 v36, v30
	s_mov_b32 s43, 1
	s_waitcnt lgkmcnt(1)
	v_and_b32_e32 v35, 1, v35
	v_cmp_eq_u32_e32 vcc, 1, v31
	v_add_u32_e32 v48, 1, v44
	v_cndmask_b32_e64 v31, v35, 1, vcc
	v_cmp_gt_u64_e32 vcc, s[42:43], v[36:37]
	v_and_b32_e32 v35, 0xffff, v31
	s_waitcnt lgkmcnt(0)
	v_cndmask_b32_e32 v36, 0, v49, vcc
	v_cmp_gt_u32_e32 vcc, v48, v33
	v_cndmask_b32_e32 v31, v31, v37, vcc
	v_cndmask_b32_e64 v36, v36, 0, vcc
	v_cndmask_b32_e32 v35, v35, v37, vcc
	v_cmp_gt_u32_e32 vcc, 62, v58
	v_cndmask_b32_e64 v37, 0, 1, vcc
	v_lshlrev_b32_e32 v37, 1, v37
	v_add_lshl_u32 v49, v37, v44, 2
	ds_bpermute_b32 v37, v49, v35
	v_add_u32_e32 v30, v36, v30
	ds_bpermute_b32 v36, v49, v30
	v_and_b32_e32 v52, 1, v31
	v_cmp_eq_u32_e32 vcc, 1, v52
	s_waitcnt lgkmcnt(1)
	v_and_b32_e32 v37, 1, v37
	v_add_u32_e32 v51, 2, v44
	v_cndmask_b32_e64 v37, v37, 1, vcc
	v_cmp_eq_u16_e32 vcc, 0, v31
	v_and_b32_e32 v52, 0xffff, v37
	s_waitcnt lgkmcnt(0)
	v_cndmask_b32_e32 v36, 0, v36, vcc
	v_cmp_gt_u32_e32 vcc, v51, v33
	v_cndmask_b32_e32 v31, v37, v31, vcc
	v_cndmask_b32_e64 v36, v36, 0, vcc
	v_cndmask_b32_e32 v35, v52, v35, vcc
	v_cmp_gt_u32_e32 vcc, 60, v58
	v_cndmask_b32_e64 v37, 0, 1, vcc
	v_lshlrev_b32_e32 v37, 2, v37
	v_add_lshl_u32 v52, v37, v44, 2
	ds_bpermute_b32 v37, v52, v35
	v_add_u32_e32 v30, v36, v30
	ds_bpermute_b32 v36, v52, v30
	v_and_b32_e32 v54, 1, v31
	v_cmp_eq_u32_e32 vcc, 1, v54
	s_waitcnt lgkmcnt(1)
	v_and_b32_e32 v37, 1, v37
	v_add_u32_e32 v53, 4, v44
	v_cndmask_b32_e64 v37, v37, 1, vcc
	v_cmp_eq_u16_e32 vcc, 0, v31
	;; [unrolled: 21-line block ×3, first 2 shown]
	v_and_b32_e32 v56, 0xffff, v37
	s_waitcnt lgkmcnt(0)
	v_cndmask_b32_e32 v36, 0, v36, vcc
	v_cmp_gt_u32_e32 vcc, v55, v33
	v_cndmask_b32_e32 v31, v37, v31, vcc
	v_cndmask_b32_e64 v36, v36, 0, vcc
	v_cndmask_b32_e32 v37, v56, v35, vcc
	v_cmp_gt_u32_e32 vcc, 48, v58
	v_cndmask_b32_e64 v35, 0, 1, vcc
	v_lshlrev_b32_e32 v35, 4, v35
	v_add_lshl_u32 v56, v35, v44, 2
	ds_bpermute_b32 v35, v56, v37
	v_add_u32_e32 v30, v36, v30
	ds_bpermute_b32 v36, v56, v30
	v_and_b32_e32 v59, 1, v31
	v_cmp_eq_u32_e32 vcc, 1, v59
	s_waitcnt lgkmcnt(1)
	v_and_b32_e32 v35, 1, v35
	v_cndmask_b32_e64 v59, v35, 1, vcc
	v_mov_b32_e32 v35, 0
	v_add_u32_e32 v57, 16, v44
	v_cmp_eq_u16_sdwa vcc, v31, v35 src0_sel:BYTE_0 src1_sel:DWORD
	s_waitcnt lgkmcnt(0)
	v_cndmask_b32_e32 v36, 0, v36, vcc
	v_cmp_gt_u32_e32 vcc, v57, v33
	v_cndmask_b32_e64 v36, v36, 0, vcc
	v_cmp_gt_u32_e64 s[34:35], 32, v58
	v_add_u32_e32 v30, v36, v30
	v_cndmask_b32_e64 v36, 0, 1, s[34:35]
	v_and_b32_e32 v60, 0xffff, v59
	v_lshlrev_b32_e32 v36, 5, v36
	v_cndmask_b32_e32 v31, v59, v31, vcc
	v_add_lshl_u32 v59, v36, v44, 2
	v_cndmask_b32_e32 v37, v60, v37, vcc
	ds_bpermute_b32 v36, v59, v30
	ds_bpermute_b32 v37, v59, v37
	v_add_u32_e32 v60, 32, v44
	v_cmp_eq_u16_sdwa vcc, v31, v35 src0_sel:BYTE_0 src1_sel:DWORD
	v_and_b32_e32 v44, 1, v31
	s_waitcnt lgkmcnt(1)
	v_cndmask_b32_e32 v36, 0, v36, vcc
	s_waitcnt lgkmcnt(0)
	v_and_b32_e32 v37, 1, v37
	v_cmp_eq_u32_e32 vcc, 1, v44
	v_cndmask_b32_e64 v37, v37, 1, vcc
	v_cmp_gt_u32_e32 vcc, v60, v33
	v_cndmask_b32_e64 v33, v36, 0, vcc
	v_cndmask_b32_e32 v31, v37, v31, vcc
	v_add_u32_e32 v30, v33, v30
	s_branch .LBB107_112
.LBB107_111:                            ;   in Loop: Header=BB107_112 Depth=1
	s_or_b64 exec, exec, s[34:35]
	v_cmp_eq_u16_sdwa s[34:35], v32, v27 src0_sel:BYTE_0 src1_sel:DWORD
	v_and_b32_e32 v33, s35, v29
	v_and_b32_e32 v37, 0xff, v31
	v_or_b32_e32 v33, 0x80000000, v33
	v_and_b32_e32 v61, s34, v28
	v_ffbl_b32_e32 v33, v33
	ds_bpermute_b32 v62, v47, v37
	v_add_u32_e32 v33, 32, v33
	v_ffbl_b32_e32 v61, v61
	v_min_u32_e32 v33, v61, v33
	ds_bpermute_b32 v61, v47, v30
	v_and_b32_e32 v31, 1, v31
	v_mov_b32_e32 v36, v30
	s_waitcnt lgkmcnt(1)
	v_and_b32_e32 v62, 1, v62
	v_cmp_eq_u32_e32 vcc, 1, v31
	v_cndmask_b32_e64 v31, v62, 1, vcc
	v_cmp_gt_u64_e32 vcc, s[42:43], v[36:37]
	v_and_b32_e32 v62, 0xffff, v31
	s_waitcnt lgkmcnt(0)
	v_cndmask_b32_e32 v36, 0, v61, vcc
	v_cmp_gt_u32_e32 vcc, v48, v33
	v_cndmask_b32_e32 v31, v31, v37, vcc
	v_cndmask_b32_e32 v37, v62, v37, vcc
	ds_bpermute_b32 v61, v49, v37
	v_cndmask_b32_e64 v36, v36, 0, vcc
	v_add_u32_e32 v30, v36, v30
	ds_bpermute_b32 v36, v49, v30
	v_and_b32_e32 v62, 1, v31
	s_waitcnt lgkmcnt(1)
	v_and_b32_e32 v61, 1, v61
	v_cmp_eq_u32_e32 vcc, 1, v62
	v_cndmask_b32_e64 v61, v61, 1, vcc
	v_cmp_eq_u16_e32 vcc, 0, v31
	v_and_b32_e32 v62, 0xffff, v61
	s_waitcnt lgkmcnt(0)
	v_cndmask_b32_e32 v36, 0, v36, vcc
	v_cmp_gt_u32_e32 vcc, v51, v33
	v_cndmask_b32_e32 v37, v62, v37, vcc
	v_cndmask_b32_e32 v31, v61, v31, vcc
	ds_bpermute_b32 v61, v52, v37
	v_cndmask_b32_e64 v36, v36, 0, vcc
	v_add_u32_e32 v30, v36, v30
	ds_bpermute_b32 v36, v52, v30
	v_and_b32_e32 v62, 1, v31
	s_waitcnt lgkmcnt(1)
	v_and_b32_e32 v61, 1, v61
	v_cmp_eq_u32_e32 vcc, 1, v62
	v_cndmask_b32_e64 v61, v61, 1, vcc
	v_cmp_eq_u16_e32 vcc, 0, v31
	v_and_b32_e32 v62, 0xffff, v61
	s_waitcnt lgkmcnt(0)
	v_cndmask_b32_e32 v36, 0, v36, vcc
	v_cmp_gt_u32_e32 vcc, v53, v33
	v_cndmask_b32_e32 v37, v62, v37, vcc
	v_cndmask_b32_e32 v31, v61, v31, vcc
	ds_bpermute_b32 v61, v54, v37
	v_cndmask_b32_e64 v36, v36, 0, vcc
	v_add_u32_e32 v30, v36, v30
	ds_bpermute_b32 v36, v54, v30
	v_and_b32_e32 v62, 1, v31
	s_waitcnt lgkmcnt(1)
	v_and_b32_e32 v61, 1, v61
	v_cmp_eq_u32_e32 vcc, 1, v62
	v_cndmask_b32_e64 v61, v61, 1, vcc
	v_cmp_eq_u16_e32 vcc, 0, v31
	v_and_b32_e32 v62, 0xffff, v61
	s_waitcnt lgkmcnt(0)
	v_cndmask_b32_e32 v36, 0, v36, vcc
	v_cmp_gt_u32_e32 vcc, v55, v33
	v_cndmask_b32_e32 v37, v62, v37, vcc
	v_cndmask_b32_e32 v31, v61, v31, vcc
	ds_bpermute_b32 v61, v56, v37
	v_cndmask_b32_e64 v36, v36, 0, vcc
	v_add_u32_e32 v30, v36, v30
	ds_bpermute_b32 v36, v56, v30
	v_and_b32_e32 v62, 1, v31
	s_waitcnt lgkmcnt(1)
	v_and_b32_e32 v61, 1, v61
	v_cmp_eq_u32_e32 vcc, 1, v62
	v_cndmask_b32_e64 v61, v61, 1, vcc
	v_cmp_eq_u16_sdwa vcc, v31, v35 src0_sel:BYTE_0 src1_sel:DWORD
	s_waitcnt lgkmcnt(0)
	v_cndmask_b32_e32 v36, 0, v36, vcc
	v_cmp_gt_u32_e32 vcc, v57, v33
	v_cndmask_b32_e64 v36, v36, 0, vcc
	v_cndmask_b32_e32 v31, v61, v31, vcc
	v_add_u32_e32 v30, v36, v30
	v_and_b32_e32 v61, 0xffff, v61
	ds_bpermute_b32 v36, v59, v30
	v_cndmask_b32_e32 v37, v61, v37, vcc
	ds_bpermute_b32 v37, v59, v37
	v_cmp_eq_u16_sdwa vcc, v31, v35 src0_sel:BYTE_0 src1_sel:DWORD
	v_and_b32_e32 v61, 1, v31
	s_waitcnt lgkmcnt(1)
	v_cndmask_b32_e32 v36, 0, v36, vcc
	v_cmp_eq_u32_e32 vcc, 1, v61
	s_waitcnt lgkmcnt(0)
	v_cndmask_b32_e64 v37, v37, 1, vcc
	v_cmp_gt_u32_e32 vcc, v60, v33
	v_cndmask_b32_e64 v33, v36, 0, vcc
	v_cndmask_b32_e32 v31, v37, v31, vcc
	v_add_u32_e32 v30, v33, v30
	v_cmp_eq_u16_sdwa vcc, v44, v35 src0_sel:BYTE_0 src1_sel:DWORD
	v_and_b32_e32 v33, 1, v44
	v_cndmask_b32_e32 v30, 0, v30, vcc
	v_and_b32_e32 v31, 1, v31
	v_cmp_eq_u32_e32 vcc, 1, v33
	v_subrev_u32_e32 v34, 64, v34
	v_add_u32_e32 v30, v30, v58
	v_cndmask_b32_e64 v31, v31, 1, vcc
.LBB107_112:                            ; =>This Loop Header: Depth=1
                                        ;     Child Loop BB107_115 Depth 2
	v_cmp_ne_u16_sdwa s[34:35], v32, v27 src0_sel:BYTE_0 src1_sel:DWORD
	v_mov_b32_e32 v44, v31
	v_cndmask_b32_e64 v31, 0, 1, s[34:35]
	;;#ASMSTART
	;;#ASMEND
	v_cmp_ne_u32_e32 vcc, 0, v31
	s_cmp_lg_u64 vcc, exec
	v_mov_b32_e32 v58, v30
	s_cbranch_scc1 .LBB107_117
; %bb.113:                              ;   in Loop: Header=BB107_112 Depth=1
	v_lshlrev_b64 v[30:31], 4, v[34:35]
	v_mov_b32_e32 v32, s37
	v_add_co_u32_e32 v36, vcc, s36, v30
	v_addc_co_u32_e32 v37, vcc, v32, v31, vcc
	;;#ASMSTART
	global_load_dwordx4 v[30:33], v[36:37] off glc	
s_waitcnt vmcnt(0)
	;;#ASMEND
	v_cmp_eq_u16_sdwa s[48:49], v32, v35 src0_sel:BYTE_0 src1_sel:DWORD
	s_and_saveexec_b64 s[34:35], s[48:49]
	s_cbranch_execz .LBB107_111
; %bb.114:                              ;   in Loop: Header=BB107_112 Depth=1
	s_mov_b64 s[48:49], 0
.LBB107_115:                            ;   Parent Loop BB107_112 Depth=1
                                        ; =>  This Inner Loop Header: Depth=2
	;;#ASMSTART
	global_load_dwordx4 v[30:33], v[36:37] off glc	
s_waitcnt vmcnt(0)
	;;#ASMEND
	v_cmp_ne_u16_sdwa s[50:51], v32, v35 src0_sel:BYTE_0 src1_sel:DWORD
	s_or_b64 s[48:49], s[50:51], s[48:49]
	s_andn2_b64 exec, exec, s[48:49]
	s_cbranch_execnz .LBB107_115
; %bb.116:                              ;   in Loop: Header=BB107_112 Depth=1
	s_or_b64 exec, exec, s[48:49]
	s_branch .LBB107_111
.LBB107_117:                            ;   in Loop: Header=BB107_112 Depth=1
                                        ; implicit-def: $vgpr31
                                        ; implicit-def: $vgpr30
                                        ; implicit-def: $vgpr32
	s_cbranch_execz .LBB107_112
; %bb.118:
	s_and_saveexec_b64 s[34:35], s[28:29]
	s_cbranch_execz .LBB107_120
; %bb.119:
	s_and_b32 s42, s7, 0xff
	s_cmp_eq_u32 s42, 0
	s_cselect_b64 vcc, -1, 0
	s_bitcmp1_b32 s7, 0
	s_mov_b32 s43, 0
	s_cselect_b64 s[48:49], -1, 0
	s_add_i32 s42, s6, 64
	s_lshl_b64 s[6:7], s[42:43], 4
	v_cndmask_b32_e32 v27, 0, v58, vcc
	s_add_u32 s6, s36, s6
	v_add_u32_e32 v26, v27, v26
	v_and_b32_e32 v27, 1, v44
	s_addc_u32 s7, s37, s7
	v_mov_b32_e32 v29, 0
	v_cndmask_b32_e64 v27, v27, 1, s[48:49]
	v_mov_b32_e32 v28, 2
	v_pk_mov_b32 v[30:31], s[6:7], s[6:7] op_sel:[0,1]
	;;#ASMSTART
	global_store_dwordx4 v[30:31], v[26:29] off	
s_waitcnt vmcnt(0)
	;;#ASMEND
.LBB107_120:
	s_or_b64 exec, exec, s[34:35]
	v_cmp_eq_u32_e32 vcc, 0, v0
	s_and_b64 exec, exec, vcc
	s_cbranch_execz .LBB107_122
; %bb.121:
	v_mov_b32_e32 v26, 0
	ds_write_b32 v26, v58 offset:24
	ds_write_b8 v26, v44 offset:28
.LBB107_122:
	s_or_b64 exec, exec, s[40:41]
	v_mov_b32_e32 v28, 0
	s_waitcnt lgkmcnt(0)
	s_barrier
	ds_read_b32 v26, v28 offset:24
	v_cndmask_b32_e64 v27, v46, v43, s[28:29]
	v_cmp_eq_u16_sdwa vcc, v27, v28 src0_sel:BYTE_0 src1_sel:DWORD
	v_cndmask_b32_e64 v29, v45, v42, s[28:29]
	s_waitcnt lgkmcnt(0)
	v_cndmask_b32_e32 v27, 0, v26, vcc
	v_add_u32_e32 v27, v27, v29
	v_cmp_eq_u32_e32 vcc, 0, v0
	v_and_b32_e32 v29, 0xff, v39
	v_cndmask_b32_e32 v26, v27, v26, vcc
	v_cmp_eq_u64_e32 vcc, 0, v[28:29]
	v_cndmask_b32_e32 v27, 0, v26, vcc
	v_add_u32_e32 v27, v27, v38
	v_cndmask_b32_e64 v28, 0, v27, s[2:3]
	v_add_u32_e32 v42, v28, v8
	v_cndmask_b32_e64 v28, 0, v42, s[30:31]
	;; [unrolled: 2-line block ×12, first 2 shown]
	v_add_u32_e32 v49, v28, v24
	s_branch .LBB107_159
.LBB107_123:
	s_or_b64 exec, exec, s[40:41]
                                        ; implicit-def: $vgpr5
	s_and_saveexec_b64 s[2:3], s[34:35]
	s_cbranch_execz .LBB107_33
.LBB107_124:
	global_load_sshort v5, v[2:3], off offset:512
	s_or_b64 exec, exec, s[2:3]
                                        ; implicit-def: $vgpr6
	s_and_saveexec_b64 s[2:3], s[8:9]
	s_cbranch_execnz .LBB107_34
.LBB107_125:
	s_or_b64 exec, exec, s[2:3]
                                        ; implicit-def: $vgpr7
	s_and_saveexec_b64 s[2:3], s[10:11]
	s_cbranch_execz .LBB107_35
.LBB107_126:
	global_load_sshort v7, v[2:3], off offset:1536
	s_or_b64 exec, exec, s[2:3]
                                        ; implicit-def: $vgpr8
	s_and_saveexec_b64 s[2:3], s[12:13]
	s_cbranch_execnz .LBB107_36
.LBB107_127:
	s_or_b64 exec, exec, s[2:3]
                                        ; implicit-def: $vgpr9
	s_and_saveexec_b64 s[2:3], s[14:15]
	s_cbranch_execz .LBB107_37
.LBB107_128:
	global_load_sshort v9, v[2:3], off offset:2560
	s_or_b64 exec, exec, s[2:3]
                                        ; implicit-def: $vgpr10
	s_and_saveexec_b64 s[2:3], s[16:17]
	s_cbranch_execnz .LBB107_38
.LBB107_129:
	s_or_b64 exec, exec, s[2:3]
                                        ; implicit-def: $vgpr11
	s_and_saveexec_b64 s[2:3], s[18:19]
	s_cbranch_execz .LBB107_39
.LBB107_130:
	global_load_sshort v11, v[2:3], off offset:3584
	s_or_b64 exec, exec, s[2:3]
                                        ; implicit-def: $vgpr12
	s_and_saveexec_b64 s[2:3], s[20:21]
	s_cbranch_execnz .LBB107_40
.LBB107_131:
	s_or_b64 exec, exec, s[2:3]
                                        ; implicit-def: $vgpr13
	s_and_saveexec_b64 s[2:3], s[22:23]
	s_cbranch_execz .LBB107_41
.LBB107_132:
	v_add_co_u32_e32 v14, vcc, 0x1000, v2
	v_addc_co_u32_e32 v15, vcc, 0, v3, vcc
	global_load_sshort v13, v[14:15], off offset:512
	s_or_b64 exec, exec, s[2:3]
                                        ; implicit-def: $vgpr14
	s_and_saveexec_b64 s[2:3], s[24:25]
	s_cbranch_execnz .LBB107_42
.LBB107_133:
	s_or_b64 exec, exec, s[2:3]
                                        ; implicit-def: $vgpr15
	s_and_saveexec_b64 s[2:3], s[26:27]
	s_cbranch_execz .LBB107_43
.LBB107_134:
	v_add_co_u32_e32 v16, vcc, 0x1000, v2
	v_addc_co_u32_e32 v17, vcc, 0, v3, vcc
	global_load_sshort v15, v[16:17], off offset:1536
	s_or_b64 exec, exec, s[2:3]
                                        ; implicit-def: $vgpr16
	s_and_saveexec_b64 s[2:3], s[28:29]
	s_cbranch_execz .LBB107_45
	s_branch .LBB107_44
.LBB107_135:
                                        ; implicit-def: $vgpr48_vgpr49
                                        ; implicit-def: $vgpr46_vgpr47
                                        ; implicit-def: $vgpr44_vgpr45
                                        ; implicit-def: $vgpr42_vgpr43
                                        ; implicit-def: $vgpr34_vgpr35_vgpr36_vgpr37
                                        ; implicit-def: $vgpr30_vgpr31_vgpr32_vgpr33
                                        ; implicit-def: $vgpr26_vgpr27_vgpr28_vgpr29
	s_cbranch_execz .LBB107_159
; %bb.136:
	s_cmp_eq_u64 s[46:47], 0
	s_cbranch_scc1 .LBB107_138
; %bb.137:
	s_load_dword s39, s[46:47], 0x0
.LBB107_138:
	s_mov_b32 s26, 0
	s_mov_b32 s27, 1
	v_cmp_gt_u64_e32 vcc, s[26:27], v[8:9]
	v_cndmask_b32_e32 v27, 0, v38, vcc
	v_add_u32_e32 v27, v27, v8
	v_cmp_gt_u64_e64 s[2:3], s[26:27], v[6:7]
	v_cndmask_b32_e64 v27, 0, v27, s[2:3]
	v_add_u32_e32 v27, v27, v6
	v_cmp_gt_u64_e64 s[6:7], s[26:27], v[4:5]
	v_cndmask_b32_e64 v27, 0, v27, s[6:7]
	;; [unrolled: 3-line block ×11, first 2 shown]
	v_mov_b32_e32 v26, 0
	v_add_u32_e32 v27, v27, v24
	v_cmp_gt_u64_e64 s[26:27], s[26:27], v[40:41]
	v_or3_b32 v7, v23, v15, v7
	v_cndmask_b32_e64 v27, 0, v27, s[26:27]
	v_or3_b32 v9, v25, v17, v9
	v_and_b32_e32 v33, 1, v7
	v_mov_b32_e32 v32, v26
	v_add_u32_e32 v34, v27, v40
	v_and_b32_e32 v27, 1, v41
	v_or3_b32 v3, v19, v11, v3
	v_and_b32_e32 v31, 1, v9
	v_mov_b32_e32 v30, v26
	v_cmp_ne_u64_e64 s[28:29], 0, v[32:33]
	v_cmp_eq_u32_e64 s[26:27], 1, v27
	v_or3_b32 v5, v21, v13, v5
	v_and_b32_e32 v27, 1, v3
	v_cndmask_b32_e64 v3, 0, 1, s[28:29]
	v_cmp_ne_u64_e64 s[28:29], 0, v[30:31]
	v_and_b32_e32 v29, 1, v5
	v_mov_b32_e32 v28, v26
	v_cndmask_b32_e64 v5, 0, 1, s[28:29]
	v_lshlrev_b16_e32 v3, 2, v3
	v_lshlrev_b16_e32 v5, 3, v5
	v_cmp_ne_u64_e64 s[28:29], 0, v[28:29]
	v_or_b32_e32 v3, v5, v3
	v_cndmask_b32_e64 v5, 0, 1, s[28:29]
	v_cmp_ne_u64_e64 s[28:29], 0, v[26:27]
	v_lshlrev_b16_e32 v5, 1, v5
	v_cndmask_b32_e64 v7, 0, 1, s[28:29]
	v_or_b32_e32 v5, v7, v5
	v_and_b32_e32 v5, 3, v5
	v_or_b32_e32 v3, v5, v3
	v_and_b32_e32 v3, 15, v3
	v_cmp_ne_u16_e64 s[28:29], 0, v3
	s_or_b64 s[26:27], s[26:27], s[28:29]
	v_cndmask_b32_e64 v5, v39, 1, s[26:27]
	v_and_b32_e32 v7, 0xff, v5
	v_mbcnt_hi_u32_b32 v1, -1, v1
	v_mov_b32_dpp v3, v34 row_shr:1 row_mask:0xf bank_mask:0xf
	v_mov_b32_dpp v9, v7 row_shr:1 row_mask:0xf bank_mask:0xf
	v_cmp_eq_u16_e64 s[26:27], 0, v7
	v_and_b32_e32 v13, 1, v5
	v_and_b32_e32 v11, 15, v1
	v_cndmask_b32_e64 v3, 0, v3, s[26:27]
	v_and_b32_e32 v9, 1, v9
	v_cmp_eq_u32_e64 s[26:27], 1, v13
	v_cndmask_b32_e64 v13, v9, 1, s[26:27]
	v_cmp_eq_u32_e64 s[26:27], 0, v11
	v_and_b32_e32 v9, 0xffff, v13
	v_cndmask_b32_e64 v3, v3, 0, s[26:27]
	v_add_u32_e32 v3, v3, v34
	v_cndmask_b32_e64 v7, v9, v7, s[26:27]
	v_cndmask_b32_e64 v5, v13, v5, s[26:27]
	v_mov_b32_dpp v15, v3 row_shr:2 row_mask:0xf bank_mask:0xf
	v_mov_b32_dpp v17, v7 row_shr:2 row_mask:0xf bank_mask:0xf
	v_cmp_lt_u32_e64 s[26:27], 1, v11
	v_mov_b32_e32 v9, v7
	s_and_saveexec_b64 s[28:29], s[26:27]
; %bb.139:
	v_and_b32_e32 v5, 1, v13
	v_and_b32_e32 v7, 1, v17
	v_cmp_eq_u32_e64 s[26:27], 1, v5
	v_cndmask_b32_e64 v5, v7, 1, s[26:27]
	v_cmp_eq_u16_e64 s[26:27], 0, v13
	v_cndmask_b32_e64 v7, 0, v15, s[26:27]
	v_and_b32_e32 v9, 0xffff, v5
	v_add_u32_e32 v3, v7, v3
	v_mov_b32_e32 v7, v5
; %bb.140:
	s_or_b64 exec, exec, s[28:29]
	v_mov_b32_dpp v13, v3 row_shr:4 row_mask:0xf bank_mask:0xf
	v_mov_b32_dpp v15, v9 row_shr:4 row_mask:0xf bank_mask:0xf
	v_cmp_lt_u32_e64 s[26:27], 3, v11
	s_and_saveexec_b64 s[28:29], s[26:27]
; %bb.141:
	v_and_b32_e32 v5, 1, v7
	v_and_b32_e32 v9, 1, v15
	v_cmp_eq_u32_e64 s[26:27], 1, v5
	v_cndmask_b32_e64 v5, v9, 1, s[26:27]
	v_cmp_eq_u16_e64 s[26:27], 0, v7
	v_cndmask_b32_e64 v7, 0, v13, s[26:27]
	v_and_b32_e32 v9, 0xffff, v5
	v_add_u32_e32 v3, v7, v3
	v_mov_b32_e32 v7, v5
; %bb.142:
	s_or_b64 exec, exec, s[28:29]
	v_mov_b32_dpp v13, v3 row_shr:8 row_mask:0xf bank_mask:0xf
	v_mov_b32_dpp v15, v9 row_shr:8 row_mask:0xf bank_mask:0xf
	v_cmp_lt_u32_e64 s[26:27], 7, v11
	s_and_saveexec_b64 s[28:29], s[26:27]
; %bb.143:
	v_and_b32_e32 v5, 1, v7
	v_and_b32_e32 v9, 1, v15
	v_cmp_eq_u32_e64 s[26:27], 1, v5
	v_cndmask_b32_e64 v5, v9, 1, s[26:27]
	v_cmp_eq_u16_e64 s[26:27], 0, v7
	v_cndmask_b32_e64 v7, 0, v13, s[26:27]
	v_and_b32_e32 v9, 0xffff, v5
	v_add_u32_e32 v3, v7, v3
	v_mov_b32_e32 v7, v5
; %bb.144:
	s_or_b64 exec, exec, s[28:29]
	v_and_b32_e32 v15, 16, v1
	v_mov_b32_dpp v11, v3 row_bcast:15 row_mask:0xf bank_mask:0xf
	v_mov_b32_dpp v13, v9 row_bcast:15 row_mask:0xf bank_mask:0xf
	v_cmp_ne_u32_e64 s[26:27], 0, v15
	s_and_saveexec_b64 s[28:29], s[26:27]
; %bb.145:
	v_and_b32_e32 v5, 1, v7
	v_and_b32_e32 v9, 1, v13
	v_cmp_eq_u32_e64 s[26:27], 1, v5
	v_cndmask_b32_e64 v5, v9, 1, s[26:27]
	v_cmp_eq_u16_e64 s[26:27], 0, v7
	v_cndmask_b32_e64 v7, 0, v11, s[26:27]
	v_and_b32_e32 v9, 0xffff, v5
	v_add_u32_e32 v3, v7, v3
	v_mov_b32_e32 v7, v5
; %bb.146:
	s_or_b64 exec, exec, s[28:29]
	v_mov_b32_e32 v13, 0
	v_mov_b32_dpp v9, v9 row_bcast:31 row_mask:0xf bank_mask:0xf
	v_cmp_eq_u16_sdwa s[28:29], v7, v13 src0_sel:BYTE_0 src1_sel:DWORD
	v_and_b32_e32 v7, 1, v7
	v_and_b32_e32 v9, 1, v9
	v_cmp_eq_u32_e64 s[26:27], 1, v7
	v_cndmask_b32_e64 v7, v9, 1, s[26:27]
	v_cmp_lt_u32_e64 s[26:27], 31, v1
	v_mov_b32_dpp v11, v3 row_bcast:31 row_mask:0xf bank_mask:0xf
	v_cndmask_b32_e64 v5, v5, v7, s[26:27]
	s_and_b64 s[26:27], s[26:27], s[28:29]
	v_cndmask_b32_e64 v7, 0, v11, s[26:27]
	v_or_b32_e32 v9, 63, v0
	v_add_u32_e32 v3, v7, v3
	v_lshrrev_b32_e32 v7, 6, v0
	v_cmp_eq_u32_e64 s[26:27], v9, v0
	s_and_saveexec_b64 s[28:29], s[26:27]
	s_cbranch_execz .LBB107_148
; %bb.147:
	v_lshlrev_b32_e32 v9, 3, v7
	ds_write_b32 v9, v3
	ds_write_b8 v9, v5 offset:4
.LBB107_148:
	s_or_b64 exec, exec, s[28:29]
	v_cmp_gt_u32_e64 s[26:27], 4, v0
	s_waitcnt lgkmcnt(0)
	s_barrier
	s_and_saveexec_b64 s[28:29], s[26:27]
	s_cbranch_execz .LBB107_154
; %bb.149:
	v_lshlrev_b32_e32 v9, 3, v0
	ds_read_b64 v[26:27], v9
	v_and_b32_e32 v11, 3, v1
	v_cmp_ne_u32_e64 s[26:27], 0, v11
	s_waitcnt lgkmcnt(0)
	v_mov_b32_dpp v15, v26 row_shr:1 row_mask:0xf bank_mask:0xf
	v_mov_b32_dpp v17, v27 row_shr:1 row_mask:0xf bank_mask:0xf
	v_mov_b32_e32 v13, v27
	s_and_saveexec_b64 s[30:31], s[26:27]
	s_cbranch_execz .LBB107_151
; %bb.150:
	v_and_b32_e32 v13, 1, v27
	v_and_b32_e32 v17, 1, v17
	v_cmp_eq_u32_e64 s[26:27], 1, v13
	v_mov_b32_e32 v13, 0
	v_cndmask_b32_e64 v17, v17, 1, s[26:27]
	v_cmp_eq_u16_sdwa s[26:27], v27, v13 src0_sel:BYTE_0 src1_sel:DWORD
	v_cndmask_b32_e64 v13, 0, v15, s[26:27]
	v_add_u32_e32 v26, v13, v26
	v_and_b32_e32 v13, 0xffff, v17
	s_movk_i32 s26, 0xff00
	v_and_or_b32 v13, v27, s26, v13
	v_mov_b32_e32 v27, v17
.LBB107_151:
	s_or_b64 exec, exec, s[30:31]
	v_mov_b32_dpp v15, v26 row_shr:2 row_mask:0xf bank_mask:0xf
	v_mov_b32_dpp v17, v13 row_shr:2 row_mask:0xf bank_mask:0xf
	v_cmp_lt_u32_e64 s[26:27], 1, v11
	s_and_saveexec_b64 s[30:31], s[26:27]
; %bb.152:
	v_and_b32_e32 v11, 1, v13
	v_and_b32_e32 v17, 1, v17
	v_cmp_eq_u32_e64 s[26:27], 1, v11
	v_mov_b32_e32 v11, 0
	v_cndmask_b32_e64 v27, v17, 1, s[26:27]
	v_cmp_eq_u32_sdwa s[26:27], v13, v11 src0_sel:BYTE_0 src1_sel:DWORD
	v_cndmask_b32_e64 v11, 0, v15, s[26:27]
	v_add_u32_e32 v26, v11, v26
; %bb.153:
	s_or_b64 exec, exec, s[30:31]
	ds_write_b32 v9, v26
	ds_write_b8 v9, v27 offset:4
.LBB107_154:
	s_or_b64 exec, exec, s[28:29]
	v_cmp_lt_u32_e64 s[26:27], 63, v0
	v_mov_b32_e32 v9, s39
	s_waitcnt lgkmcnt(0)
	s_barrier
	s_and_saveexec_b64 s[28:29], s[26:27]
	s_cbranch_execz .LBB107_156
; %bb.155:
	v_lshl_add_u32 v7, v7, 3, -8
	ds_read_u8 v9, v7 offset:4
	ds_read_b32 v7, v7
	v_mov_b32_e32 v11, s39
	s_waitcnt lgkmcnt(1)
	v_cmp_eq_u16_e64 s[26:27], 0, v9
	v_cndmask_b32_e64 v9, 0, v11, s[26:27]
	s_waitcnt lgkmcnt(0)
	v_add_u32_e32 v9, v9, v7
.LBB107_156:
	s_or_b64 exec, exec, s[28:29]
	v_mov_b32_e32 v28, 0
	v_cmp_eq_u16_sdwa s[26:27], v5, v28 src0_sel:BYTE_0 src1_sel:DWORD
	v_cndmask_b32_e64 v5, 0, v9, s[26:27]
	v_add_u32_e32 v3, v5, v3
	v_add_u32_e32 v5, -1, v1
	v_and_b32_e32 v7, 64, v1
	v_cmp_lt_i32_e64 s[26:27], v5, v7
	v_cndmask_b32_e64 v5, v5, v1, s[26:27]
	v_lshlrev_b32_e32 v5, 2, v5
	ds_bpermute_b32 v3, v5, v3
	v_cmp_eq_u32_e64 s[26:27], 0, v1
	v_mov_b32_e32 v1, s39
	v_and_b32_e32 v29, 0xff, v39
	v_cmp_eq_u64_e64 s[28:29], 0, v[28:29]
	s_waitcnt lgkmcnt(0)
	v_cndmask_b32_e64 v26, v3, v9, s[26:27]
	v_cmp_eq_u32_e64 s[26:27], 0, v0
	v_cndmask_b32_e64 v1, v26, v1, s[26:27]
	v_cndmask_b32_e64 v1, 0, v1, s[28:29]
	v_add_u32_e32 v27, v1, v38
	v_cndmask_b32_e32 v1, 0, v27, vcc
	v_add_u32_e32 v42, v1, v8
	v_cndmask_b32_e64 v1, 0, v42, s[2:3]
	v_add_u32_e32 v43, v1, v6
	v_cndmask_b32_e64 v1, 0, v43, s[6:7]
	;; [unrolled: 2-line block ×11, first 2 shown]
	v_add_u32_e32 v49, v1, v24
	s_and_saveexec_b64 s[2:3], s[26:27]
	s_cbranch_execz .LBB107_158
; %bb.157:
	ds_read_u8 v1, v28 offset:28
	ds_read_b32 v2, v28 offset:24
	v_mov_b32_e32 v4, 2
	v_mov_b32_e32 v5, v28
	;; [unrolled: 1-line block ×3, first 2 shown]
	s_waitcnt lgkmcnt(1)
	v_cmp_eq_u16_e32 vcc, 0, v1
	s_and_b64 s[6:7], vcc, exec
	s_cselect_b32 s7, s39, 0
	s_add_u32 s6, s36, 0x400
	s_waitcnt lgkmcnt(0)
	v_add_u32_e32 v2, s7, v2
	s_addc_u32 s7, s37, 0
	v_and_b32_e32 v3, 0xffff, v1
	v_pk_mov_b32 v[6:7], s[6:7], s[6:7] op_sel:[0,1]
	;;#ASMSTART
	global_store_dwordx4 v[6:7], v[2:5] off	
s_waitcnt vmcnt(0)
	;;#ASMEND
.LBB107_158:
	s_or_b64 exec, exec, s[2:3]
.LBB107_159:
	s_load_dwordx2 s[2:3], s[4:5], 0x18
	v_mul_u32_u24_e32 v1, 14, v0
	v_lshlrev_b32_e32 v2, 2, v1
	s_waitcnt lgkmcnt(0)
	s_add_u32 s2, s2, s44
	s_addc_u32 s3, s3, s45
	s_and_b64 vcc, exec, s[0:1]
	s_cbranch_vccz .LBB107_187
; %bb.160:
	s_movk_i32 s0, 0xffcc
	v_mad_i32_i24 v3, v0, s0, v2
	s_barrier
	ds_write2_b64 v2, v[26:27], v[42:43] offset1:1
	ds_write2_b64 v2, v[30:31], v[44:45] offset0:2 offset1:3
	ds_write2_b64 v2, v[34:35], v[46:47] offset0:4 offset1:5
	ds_write_b64 v2, v[48:49] offset:48
	s_waitcnt lgkmcnt(0)
	s_barrier
	ds_read2st64_b32 v[16:17], v3 offset0:4 offset1:8
	ds_read2st64_b32 v[14:15], v3 offset0:12 offset1:16
	;; [unrolled: 1-line block ×6, first 2 shown]
	ds_read_b32 v3, v3 offset:13312
	v_mov_b32_e32 v5, s3
	v_add_co_u32_e32 v4, vcc, s2, v50
	s_add_i32 s33, s33, s38
	v_addc_co_u32_e32 v5, vcc, 0, v5, vcc
	v_mov_b32_e32 v1, 0
	v_cmp_gt_u32_e32 vcc, s33, v0
	s_and_saveexec_b64 s[0:1], vcc
	s_cbranch_execz .LBB107_162
; %bb.161:
	v_mul_i32_i24_e32 v18, 0xffffffcc, v0
	v_add_u32_e32 v18, v2, v18
	ds_read_b32 v18, v18
	s_waitcnt lgkmcnt(0)
	v_cvt_f32_i32_e32 v18, v18
	global_store_dword v[4:5], v18, off
.LBB107_162:
	s_or_b64 exec, exec, s[0:1]
	v_or_b32_e32 v18, 0x100, v0
	v_cmp_gt_u32_e32 vcc, s33, v18
	s_and_saveexec_b64 s[0:1], vcc
	s_cbranch_execz .LBB107_164
; %bb.163:
	s_waitcnt lgkmcnt(6)
	v_cvt_f32_i32_e32 v16, v16
	global_store_dword v[4:5], v16, off offset:1024
.LBB107_164:
	s_or_b64 exec, exec, s[0:1]
	s_waitcnt lgkmcnt(6)
	v_or_b32_e32 v16, 0x200, v0
	v_cmp_gt_u32_e32 vcc, s33, v16
	s_and_saveexec_b64 s[0:1], vcc
	s_cbranch_execz .LBB107_166
; %bb.165:
	v_cvt_f32_i32_e32 v16, v17
	global_store_dword v[4:5], v16, off offset:2048
.LBB107_166:
	s_or_b64 exec, exec, s[0:1]
	v_or_b32_e32 v16, 0x300, v0
	v_cmp_gt_u32_e32 vcc, s33, v16
	s_and_saveexec_b64 s[0:1], vcc
	s_cbranch_execz .LBB107_168
; %bb.167:
	s_waitcnt lgkmcnt(5)
	v_cvt_f32_i32_e32 v14, v14
	global_store_dword v[4:5], v14, off offset:3072
.LBB107_168:
	s_or_b64 exec, exec, s[0:1]
	s_waitcnt lgkmcnt(5)
	v_or_b32_e32 v14, 0x400, v0
	v_cmp_gt_u32_e32 vcc, s33, v14
	s_and_saveexec_b64 s[0:1], vcc
	s_cbranch_execz .LBB107_170
; %bb.169:
	v_cvt_f32_i32_e32 v16, v15
	v_add_co_u32_e32 v14, vcc, 0x1000, v4
	v_addc_co_u32_e32 v15, vcc, 0, v5, vcc
	global_store_dword v[14:15], v16, off
.LBB107_170:
	s_or_b64 exec, exec, s[0:1]
	v_or_b32_e32 v14, 0x500, v0
	v_cmp_gt_u32_e32 vcc, s33, v14
	s_and_saveexec_b64 s[0:1], vcc
	s_cbranch_execz .LBB107_172
; %bb.171:
	s_waitcnt lgkmcnt(4)
	v_cvt_f32_i32_e32 v12, v12
	v_add_co_u32_e32 v14, vcc, 0x1000, v4
	v_addc_co_u32_e32 v15, vcc, 0, v5, vcc
	global_store_dword v[14:15], v12, off offset:1024
.LBB107_172:
	s_or_b64 exec, exec, s[0:1]
	s_waitcnt lgkmcnt(4)
	v_or_b32_e32 v12, 0x600, v0
	v_cmp_gt_u32_e32 vcc, s33, v12
	s_and_saveexec_b64 s[0:1], vcc
	s_cbranch_execz .LBB107_174
; %bb.173:
	v_cvt_f32_i32_e32 v14, v13
	v_add_co_u32_e32 v12, vcc, 0x1000, v4
	v_addc_co_u32_e32 v13, vcc, 0, v5, vcc
	global_store_dword v[12:13], v14, off offset:2048
.LBB107_174:
	s_or_b64 exec, exec, s[0:1]
	v_or_b32_e32 v12, 0x700, v0
	v_cmp_gt_u32_e32 vcc, s33, v12
	s_and_saveexec_b64 s[0:1], vcc
	s_cbranch_execz .LBB107_176
; %bb.175:
	s_waitcnt lgkmcnt(3)
	v_cvt_f32_i32_e32 v10, v10
	v_add_co_u32_e32 v12, vcc, 0x1000, v4
	v_addc_co_u32_e32 v13, vcc, 0, v5, vcc
	global_store_dword v[12:13], v10, off offset:3072
.LBB107_176:
	s_or_b64 exec, exec, s[0:1]
	s_waitcnt lgkmcnt(3)
	v_or_b32_e32 v10, 0x800, v0
	v_cmp_gt_u32_e32 vcc, s33, v10
	s_and_saveexec_b64 s[0:1], vcc
	s_cbranch_execz .LBB107_178
; %bb.177:
	v_cvt_f32_i32_e32 v12, v11
	v_add_co_u32_e32 v10, vcc, 0x2000, v4
	v_addc_co_u32_e32 v11, vcc, 0, v5, vcc
	global_store_dword v[10:11], v12, off
.LBB107_178:
	s_or_b64 exec, exec, s[0:1]
	v_or_b32_e32 v10, 0x900, v0
	v_cmp_gt_u32_e32 vcc, s33, v10
	s_and_saveexec_b64 s[0:1], vcc
	s_cbranch_execz .LBB107_180
; %bb.179:
	s_waitcnt lgkmcnt(2)
	v_cvt_f32_i32_e32 v8, v8
	v_add_co_u32_e32 v10, vcc, 0x2000, v4
	v_addc_co_u32_e32 v11, vcc, 0, v5, vcc
	global_store_dword v[10:11], v8, off offset:1024
.LBB107_180:
	s_or_b64 exec, exec, s[0:1]
	s_waitcnt lgkmcnt(2)
	v_or_b32_e32 v8, 0xa00, v0
	v_cmp_gt_u32_e32 vcc, s33, v8
	s_and_saveexec_b64 s[0:1], vcc
	s_cbranch_execz .LBB107_182
; %bb.181:
	v_cvt_f32_i32_e32 v10, v9
	v_add_co_u32_e32 v8, vcc, 0x2000, v4
	v_addc_co_u32_e32 v9, vcc, 0, v5, vcc
	global_store_dword v[8:9], v10, off offset:2048
.LBB107_182:
	s_or_b64 exec, exec, s[0:1]
	v_or_b32_e32 v8, 0xb00, v0
	v_cmp_gt_u32_e32 vcc, s33, v8
	s_and_saveexec_b64 s[0:1], vcc
	s_cbranch_execz .LBB107_184
; %bb.183:
	s_waitcnt lgkmcnt(1)
	v_cvt_f32_i32_e32 v6, v6
	v_add_co_u32_e32 v8, vcc, 0x2000, v4
	v_addc_co_u32_e32 v9, vcc, 0, v5, vcc
	global_store_dword v[8:9], v6, off offset:3072
.LBB107_184:
	s_or_b64 exec, exec, s[0:1]
	s_waitcnt lgkmcnt(1)
	v_or_b32_e32 v6, 0xc00, v0
	v_cmp_gt_u32_e32 vcc, s33, v6
	s_and_saveexec_b64 s[0:1], vcc
	s_cbranch_execz .LBB107_186
; %bb.185:
	v_cvt_f32_i32_e32 v6, v7
	v_add_co_u32_e32 v4, vcc, 0x3000, v4
	v_addc_co_u32_e32 v5, vcc, 0, v5, vcc
	global_store_dword v[4:5], v6, off
.LBB107_186:
	s_or_b64 exec, exec, s[0:1]
	v_or_b32_e32 v4, 0xd00, v0
	v_cmp_gt_u32_e64 s[0:1], s33, v4
	s_branch .LBB107_189
.LBB107_187:
	s_mov_b64 s[0:1], 0
                                        ; implicit-def: $vgpr3
	s_cbranch_execz .LBB107_189
; %bb.188:
	s_movk_i32 s4, 0xffcc
	s_waitcnt lgkmcnt(0)
	s_barrier
	ds_write2_b64 v2, v[26:27], v[42:43] offset1:1
	ds_write2_b64 v2, v[30:31], v[44:45] offset0:2 offset1:3
	ds_write2_b64 v2, v[34:35], v[46:47] offset0:4 offset1:5
	ds_write_b64 v2, v[48:49] offset:48
	v_mad_i32_i24 v2, v0, s4, v2
	s_waitcnt lgkmcnt(0)
	s_barrier
	ds_read2st64_b32 v[4:5], v2 offset1:4
	ds_read2st64_b32 v[6:7], v2 offset0:8 offset1:12
	ds_read2st64_b32 v[8:9], v2 offset0:16 offset1:20
	;; [unrolled: 1-line block ×6, first 2 shown]
	s_waitcnt lgkmcnt(6)
	v_cvt_f32_i32_e32 v4, v4
	v_cvt_f32_i32_e32 v5, v5
	v_mov_b32_e32 v16, s3
	v_add_co_u32_e32 v17, vcc, s2, v50
	s_waitcnt lgkmcnt(5)
	v_cvt_f32_i32_e32 v6, v6
	v_addc_co_u32_e32 v16, vcc, 0, v16, vcc
	v_cvt_f32_i32_e32 v7, v7
	s_movk_i32 s4, 0x1000
	global_store_dword v50, v4, s[2:3]
	global_store_dword v50, v5, s[2:3] offset:1024
	global_store_dword v50, v6, s[2:3] offset:2048
	;; [unrolled: 1-line block ×3, first 2 shown]
	s_waitcnt lgkmcnt(4)
	v_cvt_f32_i32_e32 v8, v8
	v_add_co_u32_e32 v4, vcc, s4, v17
	v_addc_co_u32_e32 v5, vcc, 0, v16, vcc
	s_movk_i32 s4, 0x2000
	v_cvt_f32_i32_e32 v9, v9
	v_add_co_u32_e32 v6, vcc, s4, v17
	s_waitcnt lgkmcnt(3)
	v_cvt_f32_i32_e32 v10, v10
	v_addc_co_u32_e32 v7, vcc, 0, v16, vcc
	v_cvt_f32_i32_e32 v11, v11
	global_store_dword v[6:7], v8, off offset:-4096
	global_store_dword v[4:5], v9, off offset:1024
	global_store_dword v[4:5], v10, off offset:2048
	global_store_dword v[4:5], v11, off offset:3072
	s_waitcnt lgkmcnt(2)
	v_cvt_f32_i32_e32 v4, v12
	v_cvt_f32_i32_e32 v5, v13
	s_waitcnt lgkmcnt(1)
	v_cvt_f32_i32_e32 v8, v14
	s_waitcnt lgkmcnt(0)
	v_cvt_f32_i32_e32 v2, v2
	v_cvt_f32_i32_e32 v9, v15
	global_store_dword v[6:7], v4, off
	global_store_dword v[6:7], v5, off offset:1024
	global_store_dword v[6:7], v8, off offset:2048
	;; [unrolled: 1-line block ×3, first 2 shown]
	v_add_co_u32_e32 v4, vcc, 0x3000, v17
	v_mov_b32_e32 v1, 0
	v_addc_co_u32_e32 v5, vcc, 0, v16, vcc
	s_or_b64 s[0:1], s[0:1], exec
	global_store_dword v[4:5], v2, off
.LBB107_189:
	s_and_saveexec_b64 s[4:5], s[0:1]
	s_cbranch_execz .LBB107_191
; %bb.190:
	v_lshlrev_b64 v[0:1], 2, v[0:1]
	v_mov_b32_e32 v2, s3
	v_add_co_u32_e32 v0, vcc, s2, v0
	v_addc_co_u32_e32 v1, vcc, v2, v1, vcc
	s_waitcnt lgkmcnt(0)
	v_cvt_f32_i32_e32 v2, v3
	v_add_co_u32_e32 v0, vcc, 0x3000, v0
	v_addc_co_u32_e32 v1, vcc, 0, v1, vcc
	global_store_dword v[0:1], v2, off offset:1024
	s_endpgm
.LBB107_191:
	s_endpgm
	.section	.rodata,"a",@progbits
	.p2align	6, 0x0
	.amdhsa_kernel _ZN7rocprim6detail25device_scan_by_key_kernelILNS0_25lookback_scan_determinismE0ELb1ENS0_26wrapped_scan_by_key_configINS_14default_configEiiEEPiN6hipcub22TransformInputIteratorIsNS7_6CastOpIsEEPslEEPfsNS7_8EqualityENS7_3SumENS0_19lookback_scan_stateINS_5tupleIJibEEELb0ELb1EEEiEEvT2_T3_T4_T5_T6_T7_T8_mmmPKNSH_IJT9_bEEE
		.amdhsa_group_segment_fixed_size 16384
		.amdhsa_private_segment_fixed_size 0
		.amdhsa_kernarg_size 80
		.amdhsa_user_sgpr_count 6
		.amdhsa_user_sgpr_private_segment_buffer 1
		.amdhsa_user_sgpr_dispatch_ptr 0
		.amdhsa_user_sgpr_queue_ptr 0
		.amdhsa_user_sgpr_kernarg_segment_ptr 1
		.amdhsa_user_sgpr_dispatch_id 0
		.amdhsa_user_sgpr_flat_scratch_init 0
		.amdhsa_user_sgpr_kernarg_preload_length 0
		.amdhsa_user_sgpr_kernarg_preload_offset 0
		.amdhsa_user_sgpr_private_segment_size 0
		.amdhsa_uses_dynamic_stack 0
		.amdhsa_system_sgpr_private_segment_wavefront_offset 0
		.amdhsa_system_sgpr_workgroup_id_x 1
		.amdhsa_system_sgpr_workgroup_id_y 0
		.amdhsa_system_sgpr_workgroup_id_z 0
		.amdhsa_system_sgpr_workgroup_info 0
		.amdhsa_system_vgpr_workitem_id 0
		.amdhsa_next_free_vgpr 63
		.amdhsa_next_free_sgpr 54
		.amdhsa_accum_offset 64
		.amdhsa_reserve_vcc 1
		.amdhsa_reserve_flat_scratch 0
		.amdhsa_float_round_mode_32 0
		.amdhsa_float_round_mode_16_64 0
		.amdhsa_float_denorm_mode_32 3
		.amdhsa_float_denorm_mode_16_64 3
		.amdhsa_dx10_clamp 1
		.amdhsa_ieee_mode 1
		.amdhsa_fp16_overflow 0
		.amdhsa_tg_split 0
		.amdhsa_exception_fp_ieee_invalid_op 0
		.amdhsa_exception_fp_denorm_src 0
		.amdhsa_exception_fp_ieee_div_zero 0
		.amdhsa_exception_fp_ieee_overflow 0
		.amdhsa_exception_fp_ieee_underflow 0
		.amdhsa_exception_fp_ieee_inexact 0
		.amdhsa_exception_int_div_zero 0
	.end_amdhsa_kernel
	.section	.text._ZN7rocprim6detail25device_scan_by_key_kernelILNS0_25lookback_scan_determinismE0ELb1ENS0_26wrapped_scan_by_key_configINS_14default_configEiiEEPiN6hipcub22TransformInputIteratorIsNS7_6CastOpIsEEPslEEPfsNS7_8EqualityENS7_3SumENS0_19lookback_scan_stateINS_5tupleIJibEEELb0ELb1EEEiEEvT2_T3_T4_T5_T6_T7_T8_mmmPKNSH_IJT9_bEEE,"axG",@progbits,_ZN7rocprim6detail25device_scan_by_key_kernelILNS0_25lookback_scan_determinismE0ELb1ENS0_26wrapped_scan_by_key_configINS_14default_configEiiEEPiN6hipcub22TransformInputIteratorIsNS7_6CastOpIsEEPslEEPfsNS7_8EqualityENS7_3SumENS0_19lookback_scan_stateINS_5tupleIJibEEELb0ELb1EEEiEEvT2_T3_T4_T5_T6_T7_T8_mmmPKNSH_IJT9_bEEE,comdat
.Lfunc_end107:
	.size	_ZN7rocprim6detail25device_scan_by_key_kernelILNS0_25lookback_scan_determinismE0ELb1ENS0_26wrapped_scan_by_key_configINS_14default_configEiiEEPiN6hipcub22TransformInputIteratorIsNS7_6CastOpIsEEPslEEPfsNS7_8EqualityENS7_3SumENS0_19lookback_scan_stateINS_5tupleIJibEEELb0ELb1EEEiEEvT2_T3_T4_T5_T6_T7_T8_mmmPKNSH_IJT9_bEEE, .Lfunc_end107-_ZN7rocprim6detail25device_scan_by_key_kernelILNS0_25lookback_scan_determinismE0ELb1ENS0_26wrapped_scan_by_key_configINS_14default_configEiiEEPiN6hipcub22TransformInputIteratorIsNS7_6CastOpIsEEPslEEPfsNS7_8EqualityENS7_3SumENS0_19lookback_scan_stateINS_5tupleIJibEEELb0ELb1EEEiEEvT2_T3_T4_T5_T6_T7_T8_mmmPKNSH_IJT9_bEEE
                                        ; -- End function
	.section	.AMDGPU.csdata,"",@progbits
; Kernel info:
; codeLenInByte = 10844
; NumSgprs: 58
; NumVgprs: 63
; NumAgprs: 0
; TotalNumVgprs: 63
; ScratchSize: 0
; MemoryBound: 0
; FloatMode: 240
; IeeeMode: 1
; LDSByteSize: 16384 bytes/workgroup (compile time only)
; SGPRBlocks: 7
; VGPRBlocks: 7
; NumSGPRsForWavesPerEU: 58
; NumVGPRsForWavesPerEU: 63
; AccumOffset: 64
; Occupancy: 4
; WaveLimiterHint : 1
; COMPUTE_PGM_RSRC2:SCRATCH_EN: 0
; COMPUTE_PGM_RSRC2:USER_SGPR: 6
; COMPUTE_PGM_RSRC2:TRAP_HANDLER: 0
; COMPUTE_PGM_RSRC2:TGID_X_EN: 1
; COMPUTE_PGM_RSRC2:TGID_Y_EN: 0
; COMPUTE_PGM_RSRC2:TGID_Z_EN: 0
; COMPUTE_PGM_RSRC2:TIDIG_COMP_CNT: 0
; COMPUTE_PGM_RSRC3_GFX90A:ACCUM_OFFSET: 15
; COMPUTE_PGM_RSRC3_GFX90A:TG_SPLIT: 0
	.section	.text._ZN7rocprim6detail25device_scan_by_key_kernelILNS0_25lookback_scan_determinismE0ELb1ENS0_26wrapped_scan_by_key_configINS_14default_configEisEEPiN6hipcub22TransformInputIteratorIsNS7_6CastOpIsEEPslEEPfsNS7_8EqualityENS7_3MaxENS0_19lookback_scan_stateINS_5tupleIJsbEEELb1ELb1EEEsEEvT2_T3_T4_T5_T6_T7_T8_mmmPKNSH_IJT9_bEEE,"axG",@progbits,_ZN7rocprim6detail25device_scan_by_key_kernelILNS0_25lookback_scan_determinismE0ELb1ENS0_26wrapped_scan_by_key_configINS_14default_configEisEEPiN6hipcub22TransformInputIteratorIsNS7_6CastOpIsEEPslEEPfsNS7_8EqualityENS7_3MaxENS0_19lookback_scan_stateINS_5tupleIJsbEEELb1ELb1EEEsEEvT2_T3_T4_T5_T6_T7_T8_mmmPKNSH_IJT9_bEEE,comdat
	.protected	_ZN7rocprim6detail25device_scan_by_key_kernelILNS0_25lookback_scan_determinismE0ELb1ENS0_26wrapped_scan_by_key_configINS_14default_configEisEEPiN6hipcub22TransformInputIteratorIsNS7_6CastOpIsEEPslEEPfsNS7_8EqualityENS7_3MaxENS0_19lookback_scan_stateINS_5tupleIJsbEEELb1ELb1EEEsEEvT2_T3_T4_T5_T6_T7_T8_mmmPKNSH_IJT9_bEEE ; -- Begin function _ZN7rocprim6detail25device_scan_by_key_kernelILNS0_25lookback_scan_determinismE0ELb1ENS0_26wrapped_scan_by_key_configINS_14default_configEisEEPiN6hipcub22TransformInputIteratorIsNS7_6CastOpIsEEPslEEPfsNS7_8EqualityENS7_3MaxENS0_19lookback_scan_stateINS_5tupleIJsbEEELb1ELb1EEEsEEvT2_T3_T4_T5_T6_T7_T8_mmmPKNSH_IJT9_bEEE
	.globl	_ZN7rocprim6detail25device_scan_by_key_kernelILNS0_25lookback_scan_determinismE0ELb1ENS0_26wrapped_scan_by_key_configINS_14default_configEisEEPiN6hipcub22TransformInputIteratorIsNS7_6CastOpIsEEPslEEPfsNS7_8EqualityENS7_3MaxENS0_19lookback_scan_stateINS_5tupleIJsbEEELb1ELb1EEEsEEvT2_T3_T4_T5_T6_T7_T8_mmmPKNSH_IJT9_bEEE
	.p2align	8
	.type	_ZN7rocprim6detail25device_scan_by_key_kernelILNS0_25lookback_scan_determinismE0ELb1ENS0_26wrapped_scan_by_key_configINS_14default_configEisEEPiN6hipcub22TransformInputIteratorIsNS7_6CastOpIsEEPslEEPfsNS7_8EqualityENS7_3MaxENS0_19lookback_scan_stateINS_5tupleIJsbEEELb1ELb1EEEsEEvT2_T3_T4_T5_T6_T7_T8_mmmPKNSH_IJT9_bEEE,@function
_ZN7rocprim6detail25device_scan_by_key_kernelILNS0_25lookback_scan_determinismE0ELb1ENS0_26wrapped_scan_by_key_configINS_14default_configEisEEPiN6hipcub22TransformInputIteratorIsNS7_6CastOpIsEEPslEEPfsNS7_8EqualityENS7_3MaxENS0_19lookback_scan_stateINS_5tupleIJsbEEELb1ELb1EEEsEEvT2_T3_T4_T5_T6_T7_T8_mmmPKNSH_IJT9_bEEE: ; @_ZN7rocprim6detail25device_scan_by_key_kernelILNS0_25lookback_scan_determinismE0ELb1ENS0_26wrapped_scan_by_key_configINS_14default_configEisEEPiN6hipcub22TransformInputIteratorIsNS7_6CastOpIsEEPslEEPfsNS7_8EqualityENS7_3MaxENS0_19lookback_scan_stateINS_5tupleIJsbEEELb1ELb1EEEsEEvT2_T3_T4_T5_T6_T7_T8_mmmPKNSH_IJT9_bEEE
; %bb.0:
	s_endpgm
	.section	.rodata,"a",@progbits
	.p2align	6, 0x0
	.amdhsa_kernel _ZN7rocprim6detail25device_scan_by_key_kernelILNS0_25lookback_scan_determinismE0ELb1ENS0_26wrapped_scan_by_key_configINS_14default_configEisEEPiN6hipcub22TransformInputIteratorIsNS7_6CastOpIsEEPslEEPfsNS7_8EqualityENS7_3MaxENS0_19lookback_scan_stateINS_5tupleIJsbEEELb1ELb1EEEsEEvT2_T3_T4_T5_T6_T7_T8_mmmPKNSH_IJT9_bEEE
		.amdhsa_group_segment_fixed_size 0
		.amdhsa_private_segment_fixed_size 0
		.amdhsa_kernarg_size 80
		.amdhsa_user_sgpr_count 6
		.amdhsa_user_sgpr_private_segment_buffer 1
		.amdhsa_user_sgpr_dispatch_ptr 0
		.amdhsa_user_sgpr_queue_ptr 0
		.amdhsa_user_sgpr_kernarg_segment_ptr 1
		.amdhsa_user_sgpr_dispatch_id 0
		.amdhsa_user_sgpr_flat_scratch_init 0
		.amdhsa_user_sgpr_kernarg_preload_length 0
		.amdhsa_user_sgpr_kernarg_preload_offset 0
		.amdhsa_user_sgpr_private_segment_size 0
		.amdhsa_uses_dynamic_stack 0
		.amdhsa_system_sgpr_private_segment_wavefront_offset 0
		.amdhsa_system_sgpr_workgroup_id_x 1
		.amdhsa_system_sgpr_workgroup_id_y 0
		.amdhsa_system_sgpr_workgroup_id_z 0
		.amdhsa_system_sgpr_workgroup_info 0
		.amdhsa_system_vgpr_workitem_id 0
		.amdhsa_next_free_vgpr 1
		.amdhsa_next_free_sgpr 0
		.amdhsa_accum_offset 4
		.amdhsa_reserve_vcc 0
		.amdhsa_reserve_flat_scratch 0
		.amdhsa_float_round_mode_32 0
		.amdhsa_float_round_mode_16_64 0
		.amdhsa_float_denorm_mode_32 3
		.amdhsa_float_denorm_mode_16_64 3
		.amdhsa_dx10_clamp 1
		.amdhsa_ieee_mode 1
		.amdhsa_fp16_overflow 0
		.amdhsa_tg_split 0
		.amdhsa_exception_fp_ieee_invalid_op 0
		.amdhsa_exception_fp_denorm_src 0
		.amdhsa_exception_fp_ieee_div_zero 0
		.amdhsa_exception_fp_ieee_overflow 0
		.amdhsa_exception_fp_ieee_underflow 0
		.amdhsa_exception_fp_ieee_inexact 0
		.amdhsa_exception_int_div_zero 0
	.end_amdhsa_kernel
	.section	.text._ZN7rocprim6detail25device_scan_by_key_kernelILNS0_25lookback_scan_determinismE0ELb1ENS0_26wrapped_scan_by_key_configINS_14default_configEisEEPiN6hipcub22TransformInputIteratorIsNS7_6CastOpIsEEPslEEPfsNS7_8EqualityENS7_3MaxENS0_19lookback_scan_stateINS_5tupleIJsbEEELb1ELb1EEEsEEvT2_T3_T4_T5_T6_T7_T8_mmmPKNSH_IJT9_bEEE,"axG",@progbits,_ZN7rocprim6detail25device_scan_by_key_kernelILNS0_25lookback_scan_determinismE0ELb1ENS0_26wrapped_scan_by_key_configINS_14default_configEisEEPiN6hipcub22TransformInputIteratorIsNS7_6CastOpIsEEPslEEPfsNS7_8EqualityENS7_3MaxENS0_19lookback_scan_stateINS_5tupleIJsbEEELb1ELb1EEEsEEvT2_T3_T4_T5_T6_T7_T8_mmmPKNSH_IJT9_bEEE,comdat
.Lfunc_end108:
	.size	_ZN7rocprim6detail25device_scan_by_key_kernelILNS0_25lookback_scan_determinismE0ELb1ENS0_26wrapped_scan_by_key_configINS_14default_configEisEEPiN6hipcub22TransformInputIteratorIsNS7_6CastOpIsEEPslEEPfsNS7_8EqualityENS7_3MaxENS0_19lookback_scan_stateINS_5tupleIJsbEEELb1ELb1EEEsEEvT2_T3_T4_T5_T6_T7_T8_mmmPKNSH_IJT9_bEEE, .Lfunc_end108-_ZN7rocprim6detail25device_scan_by_key_kernelILNS0_25lookback_scan_determinismE0ELb1ENS0_26wrapped_scan_by_key_configINS_14default_configEisEEPiN6hipcub22TransformInputIteratorIsNS7_6CastOpIsEEPslEEPfsNS7_8EqualityENS7_3MaxENS0_19lookback_scan_stateINS_5tupleIJsbEEELb1ELb1EEEsEEvT2_T3_T4_T5_T6_T7_T8_mmmPKNSH_IJT9_bEEE
                                        ; -- End function
	.section	.AMDGPU.csdata,"",@progbits
; Kernel info:
; codeLenInByte = 4
; NumSgprs: 4
; NumVgprs: 0
; NumAgprs: 0
; TotalNumVgprs: 0
; ScratchSize: 0
; MemoryBound: 0
; FloatMode: 240
; IeeeMode: 1
; LDSByteSize: 0 bytes/workgroup (compile time only)
; SGPRBlocks: 0
; VGPRBlocks: 0
; NumSGPRsForWavesPerEU: 4
; NumVGPRsForWavesPerEU: 1
; AccumOffset: 4
; Occupancy: 8
; WaveLimiterHint : 0
; COMPUTE_PGM_RSRC2:SCRATCH_EN: 0
; COMPUTE_PGM_RSRC2:USER_SGPR: 6
; COMPUTE_PGM_RSRC2:TRAP_HANDLER: 0
; COMPUTE_PGM_RSRC2:TGID_X_EN: 1
; COMPUTE_PGM_RSRC2:TGID_Y_EN: 0
; COMPUTE_PGM_RSRC2:TGID_Z_EN: 0
; COMPUTE_PGM_RSRC2:TIDIG_COMP_CNT: 0
; COMPUTE_PGM_RSRC3_GFX90A:ACCUM_OFFSET: 0
; COMPUTE_PGM_RSRC3_GFX90A:TG_SPLIT: 0
	.section	.text._ZN7rocprim6detail25device_scan_by_key_kernelILNS0_25lookback_scan_determinismE0ELb1ENS0_26wrapped_scan_by_key_configINS_14default_configEisEEPiN6hipcub22TransformInputIteratorIsNS7_6CastOpIsEEPslEEPfsNS7_8EqualityENS7_3MaxENS0_19lookback_scan_stateINS_5tupleIJsbEEELb0ELb1EEEsEEvT2_T3_T4_T5_T6_T7_T8_mmmPKNSH_IJT9_bEEE,"axG",@progbits,_ZN7rocprim6detail25device_scan_by_key_kernelILNS0_25lookback_scan_determinismE0ELb1ENS0_26wrapped_scan_by_key_configINS_14default_configEisEEPiN6hipcub22TransformInputIteratorIsNS7_6CastOpIsEEPslEEPfsNS7_8EqualityENS7_3MaxENS0_19lookback_scan_stateINS_5tupleIJsbEEELb0ELb1EEEsEEvT2_T3_T4_T5_T6_T7_T8_mmmPKNSH_IJT9_bEEE,comdat
	.protected	_ZN7rocprim6detail25device_scan_by_key_kernelILNS0_25lookback_scan_determinismE0ELb1ENS0_26wrapped_scan_by_key_configINS_14default_configEisEEPiN6hipcub22TransformInputIteratorIsNS7_6CastOpIsEEPslEEPfsNS7_8EqualityENS7_3MaxENS0_19lookback_scan_stateINS_5tupleIJsbEEELb0ELb1EEEsEEvT2_T3_T4_T5_T6_T7_T8_mmmPKNSH_IJT9_bEEE ; -- Begin function _ZN7rocprim6detail25device_scan_by_key_kernelILNS0_25lookback_scan_determinismE0ELb1ENS0_26wrapped_scan_by_key_configINS_14default_configEisEEPiN6hipcub22TransformInputIteratorIsNS7_6CastOpIsEEPslEEPfsNS7_8EqualityENS7_3MaxENS0_19lookback_scan_stateINS_5tupleIJsbEEELb0ELb1EEEsEEvT2_T3_T4_T5_T6_T7_T8_mmmPKNSH_IJT9_bEEE
	.globl	_ZN7rocprim6detail25device_scan_by_key_kernelILNS0_25lookback_scan_determinismE0ELb1ENS0_26wrapped_scan_by_key_configINS_14default_configEisEEPiN6hipcub22TransformInputIteratorIsNS7_6CastOpIsEEPslEEPfsNS7_8EqualityENS7_3MaxENS0_19lookback_scan_stateINS_5tupleIJsbEEELb0ELb1EEEsEEvT2_T3_T4_T5_T6_T7_T8_mmmPKNSH_IJT9_bEEE
	.p2align	8
	.type	_ZN7rocprim6detail25device_scan_by_key_kernelILNS0_25lookback_scan_determinismE0ELb1ENS0_26wrapped_scan_by_key_configINS_14default_configEisEEPiN6hipcub22TransformInputIteratorIsNS7_6CastOpIsEEPslEEPfsNS7_8EqualityENS7_3MaxENS0_19lookback_scan_stateINS_5tupleIJsbEEELb0ELb1EEEsEEvT2_T3_T4_T5_T6_T7_T8_mmmPKNSH_IJT9_bEEE,@function
_ZN7rocprim6detail25device_scan_by_key_kernelILNS0_25lookback_scan_determinismE0ELb1ENS0_26wrapped_scan_by_key_configINS_14default_configEisEEPiN6hipcub22TransformInputIteratorIsNS7_6CastOpIsEEPslEEPfsNS7_8EqualityENS7_3MaxENS0_19lookback_scan_stateINS_5tupleIJsbEEELb0ELb1EEEsEEvT2_T3_T4_T5_T6_T7_T8_mmmPKNSH_IJT9_bEEE: ; @_ZN7rocprim6detail25device_scan_by_key_kernelILNS0_25lookback_scan_determinismE0ELb1ENS0_26wrapped_scan_by_key_configINS_14default_configEisEEPiN6hipcub22TransformInputIteratorIsNS7_6CastOpIsEEPslEEPfsNS7_8EqualityENS7_3MaxENS0_19lookback_scan_stateINS_5tupleIJsbEEELb0ELb1EEEsEEvT2_T3_T4_T5_T6_T7_T8_mmmPKNSH_IJT9_bEEE
; %bb.0:
	s_load_dwordx4 s[0:3], s[4:5], 0x0
	s_load_dword s7, s[4:5], 0x20
	s_load_dwordx8 s[56:63], s[4:5], 0x28
	s_load_dwordx2 s[66:67], s[4:5], 0x48
	s_mul_i32 s8, s6, 0x600
	s_mov_b32 s9, 0
	s_lshl_b64 s[64:65], s[8:9], 2
	s_waitcnt lgkmcnt(0)
	s_add_u32 s70, s0, s64
	s_addc_u32 s71, s1, s65
	s_lshl_b64 s[0:1], s[8:9], 1
	s_add_u32 s68, s2, s0
	s_addc_u32 s69, s3, s1
	s_add_u32 s0, s6, s60
	s_addc_u32 s1, 0, s61
	s_add_u32 s8, s62, -1
	s_addc_u32 s9, s63, -1
	v_pk_mov_b32 v[2:3], s[8:9], s[8:9] op_sel:[0,1]
	v_cmp_ge_u64_e64 s[0:1], s[0:1], v[2:3]
	s_mov_b64 s[2:3], -1
	s_and_b64 vcc, exec, s[0:1]
	s_mul_i32 s33, s8, 0xfffffa00
	v_lshlrev_b32_e32 v50, 2, v0
	s_cbranch_vccz .LBB109_126
; %bb.1:
	s_load_dword s60, s[70:71], 0x0
	s_add_i32 s59, s33, s58
	v_mov_b32_e32 v1, s71
	v_add_co_u32_e32 v2, vcc, s70, v50
	v_addc_co_u32_e32 v3, vcc, 0, v1, vcc
	v_cmp_gt_u32_e64 s[2:3], s59, v0
	s_waitcnt lgkmcnt(0)
	v_mov_b32_e32 v1, s60
	s_and_saveexec_b64 s[8:9], s[2:3]
	s_cbranch_execz .LBB109_3
; %bb.2:
	global_load_dword v1, v[2:3], off
.LBB109_3:
	s_or_b64 exec, exec, s[8:9]
	v_or_b32_e32 v4, 64, v0
	v_cmp_gt_u32_e64 s[54:55], s59, v4
	v_mov_b32_e32 v4, s60
	s_and_saveexec_b64 s[8:9], s[54:55]
	s_cbranch_execz .LBB109_5
; %bb.4:
	global_load_dword v4, v[2:3], off offset:256
.LBB109_5:
	s_or_b64 exec, exec, s[8:9]
	v_or_b32_e32 v5, 0x80, v0
	v_cmp_gt_u32_e64 s[8:9], s59, v5
	v_mov_b32_e32 v5, s60
	s_and_saveexec_b64 s[10:11], s[8:9]
	s_cbranch_execz .LBB109_7
; %bb.6:
	global_load_dword v5, v[2:3], off offset:512
.LBB109_7:
	;; [unrolled: 9-line block ×15, first 2 shown]
	s_or_b64 exec, exec, s[38:39]
	v_or_b32_e32 v19, 0x400, v0
	v_cmp_gt_u32_e64 s[38:39], s59, v19
	v_mov_b32_e32 v19, s60
	s_and_saveexec_b64 s[40:41], s[38:39]
	s_cbranch_execz .LBB109_35
; %bb.34:
	v_add_co_u32_e32 v20, vcc, 0x1000, v2
	v_addc_co_u32_e32 v21, vcc, 0, v3, vcc
	global_load_dword v19, v[20:21], off
.LBB109_35:
	s_or_b64 exec, exec, s[40:41]
	v_or_b32_e32 v20, 0x440, v0
	v_cmp_gt_u32_e64 s[40:41], s59, v20
	v_mov_b32_e32 v20, s60
	s_and_saveexec_b64 s[42:43], s[40:41]
	s_cbranch_execz .LBB109_37
; %bb.36:
	v_add_co_u32_e32 v20, vcc, 0x1000, v2
	v_addc_co_u32_e32 v21, vcc, 0, v3, vcc
	global_load_dword v20, v[20:21], off offset:256
.LBB109_37:
	s_or_b64 exec, exec, s[42:43]
	v_or_b32_e32 v21, 0x480, v0
	v_cmp_gt_u32_e64 s[42:43], s59, v21
	v_mov_b32_e32 v21, s60
	s_and_saveexec_b64 s[44:45], s[42:43]
	s_cbranch_execz .LBB109_39
; %bb.38:
	v_add_co_u32_e32 v22, vcc, 0x1000, v2
	v_addc_co_u32_e32 v23, vcc, 0, v3, vcc
	global_load_dword v21, v[22:23], off offset:512
.LBB109_39:
	;; [unrolled: 11-line block ×7, first 2 shown]
	s_or_b64 exec, exec, s[60:61]
	s_movk_i32 s60, 0x5c
	s_waitcnt vmcnt(0)
	ds_write2st64_b32 v50, v1, v4 offset1:1
	ds_write2st64_b32 v50, v5, v6 offset0:2 offset1:3
	ds_write2st64_b32 v50, v7, v8 offset0:4 offset1:5
	;; [unrolled: 1-line block ×11, first 2 shown]
	v_mad_u32_u24 v1, v0, s60, v50
	s_waitcnt lgkmcnt(0)
	; wave barrier
	s_waitcnt lgkmcnt(0)
	ds_read_b128 v[42:45], v1
	ds_read_b128 v[38:41], v1 offset:16
	ds_read_b128 v[34:37], v1 offset:32
	;; [unrolled: 1-line block ×5, first 2 shown]
	s_load_dword s60, s[70:71], 0x0
	s_movk_i32 s61, 0xffa4
	v_mad_i32_i24 v1, v0, s61, v1
	v_cmp_ne_u32_e32 vcc, 63, v0
	s_waitcnt lgkmcnt(0)
	ds_write_b32 v1, v42 offset:6400
	v_mov_b32_e32 v53, s60
	s_waitcnt lgkmcnt(0)
	; wave barrier
	s_waitcnt lgkmcnt(0)
	s_and_saveexec_b64 s[60:61], vcc
	s_cbranch_execz .LBB109_51
; %bb.50:
	ds_read_b32 v53, v50 offset:6404
.LBB109_51:
	s_or_b64 exec, exec, s[60:61]
	v_lshlrev_b32_e32 v4, 1, v0
	v_mov_b32_e32 v3, s69
	v_add_co_u32_e32 v2, vcc, s68, v4
	v_addc_co_u32_e32 v3, vcc, 0, v3, vcc
	s_waitcnt lgkmcnt(0)
	; wave barrier
	s_waitcnt lgkmcnt(0)
                                        ; implicit-def: $vgpr5
	s_and_saveexec_b64 s[60:61], s[2:3]
	s_cbranch_execz .LBB109_193
; %bb.52:
	global_load_ushort v5, v[2:3], off
	s_or_b64 exec, exec, s[60:61]
                                        ; implicit-def: $vgpr6
	s_and_saveexec_b64 s[2:3], s[54:55]
	s_cbranch_execnz .LBB109_194
.LBB109_53:
	s_or_b64 exec, exec, s[2:3]
                                        ; implicit-def: $vgpr7
	s_and_saveexec_b64 s[2:3], s[8:9]
	s_cbranch_execz .LBB109_195
.LBB109_54:
	global_load_ushort v7, v[2:3], off offset:256
	s_or_b64 exec, exec, s[2:3]
                                        ; implicit-def: $vgpr8
	s_and_saveexec_b64 s[2:3], s[10:11]
	s_cbranch_execnz .LBB109_196
.LBB109_55:
	s_or_b64 exec, exec, s[2:3]
                                        ; implicit-def: $vgpr9
	s_and_saveexec_b64 s[2:3], s[12:13]
	s_cbranch_execz .LBB109_197
.LBB109_56:
	global_load_ushort v9, v[2:3], off offset:512
	s_or_b64 exec, exec, s[2:3]
                                        ; implicit-def: $vgpr10
	s_and_saveexec_b64 s[2:3], s[14:15]
	s_cbranch_execnz .LBB109_198
.LBB109_57:
	s_or_b64 exec, exec, s[2:3]
                                        ; implicit-def: $vgpr11
	s_and_saveexec_b64 s[2:3], s[16:17]
	s_cbranch_execz .LBB109_199
.LBB109_58:
	global_load_ushort v11, v[2:3], off offset:768
	s_or_b64 exec, exec, s[2:3]
                                        ; implicit-def: $vgpr12
	s_and_saveexec_b64 s[2:3], s[18:19]
	s_cbranch_execnz .LBB109_200
.LBB109_59:
	s_or_b64 exec, exec, s[2:3]
                                        ; implicit-def: $vgpr13
	s_and_saveexec_b64 s[2:3], s[20:21]
	s_cbranch_execz .LBB109_201
.LBB109_60:
	global_load_ushort v13, v[2:3], off offset:1024
	s_or_b64 exec, exec, s[2:3]
                                        ; implicit-def: $vgpr14
	s_and_saveexec_b64 s[2:3], s[22:23]
	s_cbranch_execnz .LBB109_202
.LBB109_61:
	s_or_b64 exec, exec, s[2:3]
                                        ; implicit-def: $vgpr15
	s_and_saveexec_b64 s[2:3], s[24:25]
	s_cbranch_execz .LBB109_203
.LBB109_62:
	global_load_ushort v15, v[2:3], off offset:1280
	s_or_b64 exec, exec, s[2:3]
                                        ; implicit-def: $vgpr16
	s_and_saveexec_b64 s[2:3], s[26:27]
	s_cbranch_execnz .LBB109_204
.LBB109_63:
	s_or_b64 exec, exec, s[2:3]
                                        ; implicit-def: $vgpr17
	s_and_saveexec_b64 s[2:3], s[28:29]
	s_cbranch_execz .LBB109_205
.LBB109_64:
	global_load_ushort v17, v[2:3], off offset:1536
	s_or_b64 exec, exec, s[2:3]
                                        ; implicit-def: $vgpr18
	s_and_saveexec_b64 s[2:3], s[30:31]
	s_cbranch_execnz .LBB109_206
.LBB109_65:
	s_or_b64 exec, exec, s[2:3]
                                        ; implicit-def: $vgpr19
	s_and_saveexec_b64 s[2:3], s[34:35]
	s_cbranch_execz .LBB109_207
.LBB109_66:
	global_load_ushort v19, v[2:3], off offset:1792
	s_or_b64 exec, exec, s[2:3]
                                        ; implicit-def: $vgpr20
	s_and_saveexec_b64 s[2:3], s[36:37]
	s_cbranch_execnz .LBB109_208
.LBB109_67:
	s_or_b64 exec, exec, s[2:3]
                                        ; implicit-def: $vgpr21
	s_and_saveexec_b64 s[2:3], s[38:39]
	s_cbranch_execz .LBB109_209
.LBB109_68:
	global_load_ushort v21, v[2:3], off offset:2048
	s_or_b64 exec, exec, s[2:3]
                                        ; implicit-def: $vgpr47
	s_and_saveexec_b64 s[2:3], s[40:41]
	s_cbranch_execnz .LBB109_210
.LBB109_69:
	s_or_b64 exec, exec, s[2:3]
                                        ; implicit-def: $vgpr48
	s_and_saveexec_b64 s[2:3], s[42:43]
	s_cbranch_execz .LBB109_211
.LBB109_70:
	global_load_ushort v48, v[2:3], off offset:2304
	s_or_b64 exec, exec, s[2:3]
                                        ; implicit-def: $vgpr49
	s_and_saveexec_b64 s[2:3], s[44:45]
	s_cbranch_execnz .LBB109_212
.LBB109_71:
	s_or_b64 exec, exec, s[2:3]
                                        ; implicit-def: $vgpr51
	s_and_saveexec_b64 s[2:3], s[46:47]
	s_cbranch_execz .LBB109_213
.LBB109_72:
	global_load_ushort v51, v[2:3], off offset:2560
	s_or_b64 exec, exec, s[2:3]
                                        ; implicit-def: $vgpr52
	s_and_saveexec_b64 s[2:3], s[48:49]
	s_cbranch_execnz .LBB109_214
.LBB109_73:
	s_or_b64 exec, exec, s[2:3]
                                        ; implicit-def: $vgpr54
	s_and_saveexec_b64 s[2:3], s[50:51]
	s_cbranch_execz .LBB109_75
.LBB109_74:
	global_load_ushort v54, v[2:3], off offset:2816
.LBB109_75:
	s_or_b64 exec, exec, s[2:3]
	v_mul_u32_u24_e32 v55, 24, v0
                                        ; implicit-def: $vgpr56
	s_and_saveexec_b64 s[2:3], s[52:53]
	s_cbranch_execz .LBB109_77
; %bb.76:
	global_load_ushort v56, v[2:3], off offset:2944
.LBB109_77:
	s_or_b64 exec, exec, s[2:3]
	s_mov_b32 s8, 0
	v_sub_u32_e32 v46, v1, v4
	s_mov_b32 s9, s8
	s_waitcnt vmcnt(0)
	ds_write_b16 v46, v5
	ds_write_b16 v46, v6 offset:128
	ds_write_b16 v46, v7 offset:256
	;; [unrolled: 1-line block ×23, first 2 shown]
	s_mov_b32 s10, s8
	s_mov_b32 s11, s8
	;; [unrolled: 1-line block ×6, first 2 shown]
	v_pk_mov_b32 v[2:3], s[8:9], s[8:9] op_sel:[0,1]
	s_mov_b32 s18, s8
	s_mov_b32 s19, s8
	v_pk_mov_b32 v[8:9], s[14:15], s[14:15] op_sel:[0,1]
	s_mov_b32 s16, s8
	s_mov_b32 s17, s8
	v_pk_mov_b32 v[20:21], s[18:19], s[18:19] op_sel:[0,1]
	v_pk_mov_b32 v[4:5], s[10:11], s[10:11] op_sel:[0,1]
	;; [unrolled: 1-line block ×4, first 2 shown]
	v_cmp_gt_u32_e32 vcc, s59, v55
	s_mov_b64 s[2:3], 0
	v_pk_mov_b32 v[18:19], s[16:17], s[16:17] op_sel:[0,1]
	v_mov_b32_e32 v1, 0
	s_mov_b64 s[14:15], 0
	v_pk_mov_b32 v[14:15], v[6:7], v[6:7] op_sel:[0,1]
	v_pk_mov_b32 v[12:13], v[4:5], v[4:5] op_sel:[0,1]
	;; [unrolled: 1-line block ×3, first 2 shown]
	v_mov_b32_e32 v51, 0
	v_mov_b32_e32 v52, 0
	s_waitcnt lgkmcnt(0)
	; wave barrier
	s_waitcnt lgkmcnt(0)
                                        ; implicit-def: $sgpr12_sgpr13
                                        ; implicit-def: $vgpr54
	s_and_saveexec_b64 s[10:11], vcc
	s_cbranch_execz .LBB109_125
; %bb.78:
	v_mad_u32_u24 v1, v0, 46, v46
	ds_read_u16 v1, v1
	v_mov_b32_e32 v3, s7
	v_cmp_eq_u32_e32 vcc, v42, v43
	s_mov_b32 s12, 0
	v_or_b32_e32 v2, 1, v55
	s_waitcnt lgkmcnt(0)
	v_cndmask_b32_e32 v1, v3, v1, vcc
	v_cmp_ne_u32_e32 vcc, v42, v43
	v_and_b32_e32 v1, 0xffff, v1
	v_cndmask_b32_e64 v3, 0, 1, vcc
	s_mov_b32 s13, s12
	v_lshl_or_b32 v1, v3, 16, v1
	v_cmp_gt_u32_e32 vcc, s59, v2
	s_mov_b32 s14, s12
	s_mov_b32 s15, s12
	;; [unrolled: 1-line block ×6, first 2 shown]
	v_pk_mov_b32 v[2:3], s[12:13], s[12:13] op_sel:[0,1]
	s_mov_b32 s20, s12
	s_mov_b32 s21, s12
	v_pk_mov_b32 v[8:9], s[18:19], s[18:19] op_sel:[0,1]
	s_mov_b32 s22, s12
	s_mov_b32 s23, s12
	v_pk_mov_b32 v[18:19], s[20:21], s[20:21] op_sel:[0,1]
	v_pk_mov_b32 v[4:5], s[14:15], s[14:15] op_sel:[0,1]
	;; [unrolled: 1-line block ×4, first 2 shown]
	s_mov_b64 s[26:27], 0
	v_pk_mov_b32 v[20:21], s[22:23], s[22:23] op_sel:[0,1]
	v_mov_b32_e32 v51, 0
	v_pk_mov_b32 v[14:15], v[6:7], v[6:7] op_sel:[0,1]
	v_pk_mov_b32 v[12:13], v[4:5], v[4:5] op_sel:[0,1]
	;; [unrolled: 1-line block ×3, first 2 shown]
	v_mov_b32_e32 v52, 0
                                        ; implicit-def: $sgpr28_sgpr29
                                        ; implicit-def: $vgpr54
	s_and_saveexec_b64 s[24:25], vcc
	s_cbranch_execz .LBB109_124
; %bb.79:
	v_mul_u32_u24_e32 v2, 46, v0
	v_add_u32_e32 v42, v46, v2
	ds_read_b128 v[46:49], v42 offset:2
	v_mov_b32_e32 v3, s7
	v_cmp_eq_u32_e32 vcc, v43, v44
	v_or_b32_e32 v2, 2, v55
	v_pk_mov_b32 v[18:19], s[20:21], s[20:21] op_sel:[0,1]
	s_waitcnt lgkmcnt(0)
	v_cndmask_b32_e32 v3, v3, v46, vcc
	v_cmp_ne_u32_e32 vcc, v43, v44
	v_and_b32_e32 v3, 0xffff, v3
	v_cndmask_b32_e64 v4, 0, 1, vcc
	v_lshl_or_b32 v51, v4, 16, v3
	v_cmp_gt_u32_e32 vcc, s59, v2
	v_pk_mov_b32 v[2:3], s[12:13], s[12:13] op_sel:[0,1]
	v_pk_mov_b32 v[8:9], s[18:19], s[18:19] op_sel:[0,1]
	;; [unrolled: 1-line block ×6, first 2 shown]
	v_mov_b32_e32 v52, 0
	v_pk_mov_b32 v[14:15], v[6:7], v[6:7] op_sel:[0,1]
	v_pk_mov_b32 v[12:13], v[4:5], v[4:5] op_sel:[0,1]
	;; [unrolled: 1-line block ×3, first 2 shown]
                                        ; implicit-def: $sgpr12_sgpr13
                                        ; implicit-def: $vgpr54
	s_and_saveexec_b64 s[20:21], vcc
	s_cbranch_execz .LBB109_123
; %bb.80:
	v_lshrrev_b32_e32 v2, 16, v46
	v_mov_b32_e32 v4, s7
	v_cmp_eq_u32_e32 vcc, v44, v45
	v_cndmask_b32_e32 v2, v4, v2, vcc
	v_cmp_ne_u32_e32 vcc, v44, v45
	s_mov_b32 s12, 0
	v_or_b32_e32 v3, 3, v55
	v_and_b32_e32 v2, 0xffff, v2
	v_cndmask_b32_e64 v4, 0, 1, vcc
	s_mov_b32 s13, s12
	v_lshl_or_b32 v21, v4, 16, v2
	v_cmp_gt_u32_e32 vcc, s59, v3
	s_mov_b32 s14, s12
	s_mov_b32 s15, s12
	s_mov_b32 s16, s12
	s_mov_b32 s17, s12
	s_mov_b32 s18, s12
	s_mov_b32 s19, s12
	v_pk_mov_b32 v[2:3], s[12:13], s[12:13] op_sel:[0,1]
	v_pk_mov_b32 v[8:9], s[18:19], s[18:19] op_sel:[0,1]
	v_mov_b32_e32 v18, 0
	v_pk_mov_b32 v[4:5], s[14:15], s[14:15] op_sel:[0,1]
	v_pk_mov_b32 v[6:7], s[16:17], s[16:17] op_sel:[0,1]
	;; [unrolled: 1-line block ×3, first 2 shown]
	v_mov_b32_e32 v19, v18
	v_mov_b32_e32 v20, v18
	v_pk_mov_b32 v[14:15], v[6:7], v[6:7] op_sel:[0,1]
	v_pk_mov_b32 v[12:13], v[4:5], v[4:5] op_sel:[0,1]
	;; [unrolled: 1-line block ×3, first 2 shown]
	v_mov_b32_e32 v52, v18
                                        ; implicit-def: $sgpr30_sgpr31
                                        ; implicit-def: $vgpr54
	s_and_saveexec_b64 s[22:23], vcc
	s_cbranch_execz .LBB109_122
; %bb.81:
	v_mov_b32_e32 v3, s7
	v_cmp_eq_u32_e32 vcc, v45, v38
	v_cndmask_b32_e32 v3, v3, v47, vcc
	v_cmp_ne_u32_e32 vcc, v45, v38
	v_or_b32_e32 v2, 4, v55
	v_and_b32_e32 v3, 0xffff, v3
	v_cndmask_b32_e64 v4, 0, 1, vcc
	v_lshl_or_b32 v20, v4, 16, v3
	v_cmp_gt_u32_e32 vcc, s59, v2
	v_pk_mov_b32 v[2:3], s[12:13], s[12:13] op_sel:[0,1]
	v_pk_mov_b32 v[8:9], s[18:19], s[18:19] op_sel:[0,1]
	v_mov_b32_e32 v18, 0
	v_pk_mov_b32 v[4:5], s[14:15], s[14:15] op_sel:[0,1]
	v_pk_mov_b32 v[6:7], s[16:17], s[16:17] op_sel:[0,1]
	;; [unrolled: 1-line block ×3, first 2 shown]
	v_mov_b32_e32 v19, v18
	s_mov_b64 s[28:29], 0
	v_pk_mov_b32 v[14:15], v[6:7], v[6:7] op_sel:[0,1]
	v_pk_mov_b32 v[12:13], v[4:5], v[4:5] op_sel:[0,1]
	;; [unrolled: 1-line block ×3, first 2 shown]
	v_mov_b32_e32 v52, v18
                                        ; implicit-def: $sgpr12_sgpr13
                                        ; implicit-def: $vgpr54
	s_and_saveexec_b64 s[26:27], vcc
	s_cbranch_execz .LBB109_121
; %bb.82:
	v_lshrrev_b32_e32 v2, 16, v47
	v_mov_b32_e32 v4, s7
	v_cmp_eq_u32_e32 vcc, v38, v39
	v_cndmask_b32_e32 v2, v4, v2, vcc
	v_cmp_ne_u32_e32 vcc, v38, v39
	s_mov_b32 s12, 0
	v_or_b32_e32 v3, 5, v55
	v_and_b32_e32 v2, 0xffff, v2
	v_cndmask_b32_e64 v4, 0, 1, vcc
	s_mov_b32 s13, s12
	v_lshl_or_b32 v19, v4, 16, v2
	v_cmp_gt_u32_e32 vcc, s59, v3
	s_mov_b32 s14, s12
	s_mov_b32 s15, s12
	;; [unrolled: 1-line block ×6, first 2 shown]
	v_pk_mov_b32 v[2:3], s[12:13], s[12:13] op_sel:[0,1]
	v_pk_mov_b32 v[8:9], s[18:19], s[18:19] op_sel:[0,1]
	;; [unrolled: 1-line block ×5, first 2 shown]
	v_mov_b32_e32 v18, s12
	s_mov_b64 s[30:31], 0
	v_mov_b32_e32 v52, 0
	v_pk_mov_b32 v[14:15], v[6:7], v[6:7] op_sel:[0,1]
	v_pk_mov_b32 v[12:13], v[4:5], v[4:5] op_sel:[0,1]
	;; [unrolled: 1-line block ×3, first 2 shown]
                                        ; implicit-def: $sgpr36_sgpr37
                                        ; implicit-def: $vgpr54
	s_and_saveexec_b64 s[28:29], vcc
	s_cbranch_execz .LBB109_120
; %bb.83:
	v_mov_b32_e32 v3, s7
	v_cmp_eq_u32_e32 vcc, v39, v40
	v_cndmask_b32_e32 v3, v3, v48, vcc
	v_cmp_ne_u32_e32 vcc, v39, v40
	v_or_b32_e32 v2, 6, v55
	v_and_b32_e32 v3, 0xffff, v3
	v_cndmask_b32_e64 v4, 0, 1, vcc
	v_lshl_or_b32 v18, v4, 16, v3
	v_cmp_gt_u32_e32 vcc, s59, v2
	v_pk_mov_b32 v[2:3], s[12:13], s[12:13] op_sel:[0,1]
	v_pk_mov_b32 v[8:9], s[18:19], s[18:19] op_sel:[0,1]
	;; [unrolled: 1-line block ×5, first 2 shown]
	s_mov_b64 s[34:35], 0
	v_mov_b32_e32 v52, 0
	v_pk_mov_b32 v[14:15], v[6:7], v[6:7] op_sel:[0,1]
	v_pk_mov_b32 v[12:13], v[4:5], v[4:5] op_sel:[0,1]
	;; [unrolled: 1-line block ×3, first 2 shown]
                                        ; implicit-def: $sgpr12_sgpr13
                                        ; implicit-def: $vgpr54
	s_and_saveexec_b64 s[30:31], vcc
	s_cbranch_execz .LBB109_119
; %bb.84:
	v_lshrrev_b32_e32 v2, 16, v48
	v_mov_b32_e32 v4, s7
	v_cmp_eq_u32_e32 vcc, v40, v41
	v_cndmask_b32_e32 v2, v4, v2, vcc
	v_cmp_ne_u32_e32 vcc, v40, v41
	s_mov_b32 s12, 0
	v_or_b32_e32 v3, 7, v55
	v_and_b32_e32 v2, 0xffff, v2
	v_cndmask_b32_e64 v4, 0, 1, vcc
	s_mov_b32 s13, s12
	v_lshl_or_b32 v52, v4, 16, v2
	v_cmp_gt_u32_e32 vcc, s59, v3
	s_mov_b32 s14, s12
	s_mov_b32 s15, s12
	s_mov_b32 s16, s12
	s_mov_b32 s17, s12
	s_mov_b32 s18, s12
	s_mov_b32 s19, s12
	v_pk_mov_b32 v[2:3], s[12:13], s[12:13] op_sel:[0,1]
	v_pk_mov_b32 v[8:9], s[18:19], s[18:19] op_sel:[0,1]
	;; [unrolled: 1-line block ×5, first 2 shown]
	s_mov_b64 s[36:37], 0
	v_pk_mov_b32 v[14:15], v[6:7], v[6:7] op_sel:[0,1]
	v_pk_mov_b32 v[12:13], v[4:5], v[4:5] op_sel:[0,1]
	;; [unrolled: 1-line block ×3, first 2 shown]
                                        ; implicit-def: $sgpr40_sgpr41
                                        ; implicit-def: $vgpr54
	s_and_saveexec_b64 s[34:35], vcc
	s_cbranch_execz .LBB109_118
; %bb.85:
	v_mov_b32_e32 v3, s7
	v_cmp_eq_u32_e32 vcc, v41, v34
	v_add_u32_e32 v2, 8, v55
	v_cndmask_b32_e32 v3, v3, v49, vcc
	v_cmp_ne_u32_e32 vcc, v41, v34
	v_and_b32_e32 v3, 0xffff, v3
	v_cndmask_b32_e64 v4, 0, 1, vcc
	v_cmp_gt_u32_e32 vcc, s59, v2
	v_mov_b32_e32 v2, 0
	v_pk_mov_b32 v[10:11], s[12:13], s[12:13] op_sel:[0,1]
	v_lshl_or_b32 v9, v4, 16, v3
	v_mov_b32_e32 v3, v2
	v_mov_b32_e32 v4, v2
	;; [unrolled: 1-line block ×6, first 2 shown]
	s_mov_b64 s[38:39], 0
	v_pk_mov_b32 v[12:13], s[14:15], s[14:15] op_sel:[0,1]
	v_pk_mov_b32 v[14:15], s[16:17], s[16:17] op_sel:[0,1]
	v_pk_mov_b32 v[16:17], s[18:19], s[18:19] op_sel:[0,1]
                                        ; implicit-def: $sgpr12_sgpr13
                                        ; implicit-def: $vgpr54
	s_and_saveexec_b64 s[36:37], vcc
	s_cbranch_execz .LBB109_117
; %bb.86:
	v_lshrrev_b32_e32 v3, 16, v49
	v_mov_b32_e32 v5, s7
	v_cmp_eq_u32_e32 vcc, v34, v35
	s_mov_b32 s12, 0
	v_cndmask_b32_e32 v3, v5, v3, vcc
	v_cmp_ne_u32_e32 vcc, v34, v35
	s_mov_b32 s13, s12
	v_add_u32_e32 v4, 9, v55
	v_and_b32_e32 v3, 0xffff, v3
	v_cndmask_b32_e64 v5, 0, 1, vcc
	s_mov_b32 s14, s12
	s_mov_b32 s15, s12
	;; [unrolled: 1-line block ×6, first 2 shown]
	v_pk_mov_b32 v[10:11], s[12:13], s[12:13] op_sel:[0,1]
	v_lshl_or_b32 v8, v5, 16, v3
	v_cmp_gt_u32_e32 vcc, s59, v4
	v_mov_b32_e32 v3, v2
	v_mov_b32_e32 v4, v2
	;; [unrolled: 1-line block ×5, first 2 shown]
	s_mov_b64 s[40:41], 0
	v_pk_mov_b32 v[12:13], s[14:15], s[14:15] op_sel:[0,1]
	v_pk_mov_b32 v[14:15], s[16:17], s[16:17] op_sel:[0,1]
	;; [unrolled: 1-line block ×3, first 2 shown]
                                        ; implicit-def: $sgpr44_sgpr45
                                        ; implicit-def: $vgpr54
	s_and_saveexec_b64 s[38:39], vcc
	s_cbranch_execz .LBB109_116
; %bb.87:
	ds_read_b128 v[38:41], v42 offset:18
	v_mov_b32_e32 v3, s7
	v_cmp_eq_u32_e32 vcc, v35, v36
	v_add_u32_e32 v2, 10, v55
	v_pk_mov_b32 v[10:11], s[12:13], s[12:13] op_sel:[0,1]
	s_waitcnt lgkmcnt(0)
	v_cndmask_b32_e32 v3, v3, v38, vcc
	v_cmp_ne_u32_e32 vcc, v35, v36
	v_and_b32_e32 v3, 0xffff, v3
	v_cndmask_b32_e64 v4, 0, 1, vcc
	v_cmp_gt_u32_e32 vcc, s59, v2
	v_mov_b32_e32 v2, 0
	v_lshl_or_b32 v7, v4, 16, v3
	v_mov_b32_e32 v3, v2
	v_mov_b32_e32 v4, v2
	;; [unrolled: 1-line block ×4, first 2 shown]
	s_mov_b64 s[42:43], 0
	v_pk_mov_b32 v[12:13], s[14:15], s[14:15] op_sel:[0,1]
	v_pk_mov_b32 v[14:15], s[16:17], s[16:17] op_sel:[0,1]
	;; [unrolled: 1-line block ×3, first 2 shown]
                                        ; implicit-def: $sgpr12_sgpr13
                                        ; implicit-def: $vgpr54
	s_and_saveexec_b64 s[40:41], vcc
	s_cbranch_execz .LBB109_115
; %bb.88:
	v_lshrrev_b32_e32 v3, 16, v38
	v_mov_b32_e32 v5, s7
	v_cmp_eq_u32_e32 vcc, v36, v37
	s_mov_b32 s12, 0
	v_cndmask_b32_e32 v3, v5, v3, vcc
	v_cmp_ne_u32_e32 vcc, v36, v37
	s_mov_b32 s13, s12
	v_add_u32_e32 v4, 11, v55
	v_and_b32_e32 v3, 0xffff, v3
	v_cndmask_b32_e64 v5, 0, 1, vcc
	s_mov_b32 s14, s12
	s_mov_b32 s15, s12
	;; [unrolled: 1-line block ×6, first 2 shown]
	v_pk_mov_b32 v[10:11], s[12:13], s[12:13] op_sel:[0,1]
	v_lshl_or_b32 v6, v5, 16, v3
	v_cmp_gt_u32_e32 vcc, s59, v4
	v_mov_b32_e32 v3, v2
	v_mov_b32_e32 v4, v2
	;; [unrolled: 1-line block ×3, first 2 shown]
	s_mov_b64 s[44:45], 0
	v_pk_mov_b32 v[12:13], s[14:15], s[14:15] op_sel:[0,1]
	v_pk_mov_b32 v[14:15], s[16:17], s[16:17] op_sel:[0,1]
	;; [unrolled: 1-line block ×3, first 2 shown]
                                        ; implicit-def: $sgpr48_sgpr49
                                        ; implicit-def: $vgpr54
	s_and_saveexec_b64 s[42:43], vcc
	s_cbranch_execz .LBB109_114
; %bb.89:
	v_mov_b32_e32 v3, s7
	v_cmp_eq_u32_e32 vcc, v37, v30
	v_add_u32_e32 v2, 12, v55
	v_cndmask_b32_e32 v3, v3, v39, vcc
	v_cmp_ne_u32_e32 vcc, v37, v30
	v_and_b32_e32 v3, 0xffff, v3
	v_cndmask_b32_e64 v4, 0, 1, vcc
	v_cmp_gt_u32_e32 vcc, s59, v2
	v_mov_b32_e32 v2, 0
	v_pk_mov_b32 v[10:11], s[12:13], s[12:13] op_sel:[0,1]
	v_lshl_or_b32 v5, v4, 16, v3
	v_mov_b32_e32 v3, v2
	v_mov_b32_e32 v4, v2
	s_mov_b64 s[46:47], 0
	v_pk_mov_b32 v[12:13], s[14:15], s[14:15] op_sel:[0,1]
	v_pk_mov_b32 v[14:15], s[16:17], s[16:17] op_sel:[0,1]
	;; [unrolled: 1-line block ×3, first 2 shown]
                                        ; implicit-def: $sgpr12_sgpr13
                                        ; implicit-def: $vgpr54
	s_and_saveexec_b64 s[44:45], vcc
	s_cbranch_execz .LBB109_113
; %bb.90:
	v_lshrrev_b32_e32 v3, 16, v39
	v_mov_b32_e32 v4, s7
	v_cmp_eq_u32_e32 vcc, v30, v31
	s_mov_b32 s12, 0
	v_add_u32_e32 v10, 13, v55
	v_cndmask_b32_e32 v3, v4, v3, vcc
	v_cmp_ne_u32_e32 vcc, v30, v31
	s_mov_b32 s13, s12
	v_and_b32_e32 v3, 0xffff, v3
	v_cndmask_b32_e64 v4, 0, 1, vcc
	v_cmp_gt_u32_e32 vcc, s59, v10
	s_mov_b32 s14, s12
	s_mov_b32 s15, s12
	;; [unrolled: 1-line block ×6, first 2 shown]
	v_pk_mov_b32 v[10:11], s[12:13], s[12:13] op_sel:[0,1]
	v_lshl_or_b32 v4, v4, 16, v3
	v_mov_b32_e32 v3, v2
	s_mov_b64 s[48:49], 0
	v_pk_mov_b32 v[12:13], s[14:15], s[14:15] op_sel:[0,1]
	v_pk_mov_b32 v[14:15], s[16:17], s[16:17] op_sel:[0,1]
	v_pk_mov_b32 v[16:17], s[18:19], s[18:19] op_sel:[0,1]
                                        ; implicit-def: $sgpr50_sgpr51
                                        ; implicit-def: $vgpr54
	s_and_saveexec_b64 s[46:47], vcc
	s_cbranch_execz .LBB109_112
; %bb.91:
	v_mov_b32_e32 v3, s7
	v_cmp_eq_u32_e32 vcc, v31, v32
	v_cndmask_b32_e32 v3, v3, v40, vcc
	v_cmp_ne_u32_e32 vcc, v31, v32
	v_and_b32_e32 v3, 0xffff, v3
	v_cndmask_b32_e64 v10, 0, 1, vcc
	v_add_u32_e32 v2, 14, v55
	v_lshl_or_b32 v3, v10, 16, v3
	v_pk_mov_b32 v[10:11], s[12:13], s[12:13] op_sel:[0,1]
	v_cmp_gt_u32_e32 vcc, s59, v2
	v_mov_b32_e32 v2, s12
	v_pk_mov_b32 v[12:13], s[14:15], s[14:15] op_sel:[0,1]
	v_pk_mov_b32 v[14:15], s[16:17], s[16:17] op_sel:[0,1]
	;; [unrolled: 1-line block ×3, first 2 shown]
                                        ; implicit-def: $sgpr14_sgpr15
                                        ; implicit-def: $vgpr54
	s_and_saveexec_b64 s[12:13], vcc
	s_cbranch_execz .LBB109_111
; %bb.92:
	v_lshrrev_b32_e32 v2, 16, v40
	v_mov_b32_e32 v11, s7
	v_cmp_eq_u32_e32 vcc, v32, v33
	v_cndmask_b32_e32 v2, v11, v2, vcc
	v_cmp_ne_u32_e32 vcc, v32, v33
	s_mov_b32 s48, 0
	v_add_u32_e32 v10, 15, v55
	v_and_b32_e32 v2, 0xffff, v2
	v_cndmask_b32_e64 v11, 0, 1, vcc
	s_mov_b32 s49, s48
	v_lshl_or_b32 v2, v11, 16, v2
	v_cmp_gt_u32_e32 vcc, s59, v10
	s_mov_b32 s50, s48
	s_mov_b32 s51, s48
	;; [unrolled: 1-line block ×6, first 2 shown]
	v_pk_mov_b32 v[10:11], s[48:49], s[48:49] op_sel:[0,1]
	s_mov_b64 s[16:17], 0
	v_pk_mov_b32 v[12:13], s[50:51], s[50:51] op_sel:[0,1]
	v_pk_mov_b32 v[14:15], s[52:53], s[52:53] op_sel:[0,1]
	v_pk_mov_b32 v[16:17], s[54:55], s[54:55] op_sel:[0,1]
                                        ; implicit-def: $sgpr48_sgpr49
                                        ; implicit-def: $vgpr54
	s_and_saveexec_b64 s[14:15], vcc
	s_cbranch_execz .LBB109_110
; %bb.93:
	v_mov_b32_e32 v10, s7
	v_cmp_eq_u32_e32 vcc, v33, v26
	v_cndmask_b32_e32 v10, v10, v41, vcc
	v_cmp_ne_u32_e32 vcc, v33, v26
	v_and_b32_e32 v10, 0xffff, v10
	v_cndmask_b32_e64 v12, 0, 1, vcc
	v_add_u32_e32 v11, 16, v55
	v_lshl_or_b32 v10, v12, 16, v10
	v_mov_b32_e32 v12, 0
	v_cmp_gt_u32_e32 vcc, s59, v11
	v_mov_b32_e32 v11, v12
	v_mov_b32_e32 v13, v12
	;; [unrolled: 1-line block ×6, first 2 shown]
	s_mov_b64 s[18:19], 0
                                        ; implicit-def: $sgpr50_sgpr51
                                        ; implicit-def: $vgpr54
	s_and_saveexec_b64 s[16:17], vcc
	s_cbranch_execz .LBB109_109
; %bb.94:
	v_lshrrev_b32_e32 v11, 16, v41
	v_mov_b32_e32 v14, s7
	v_cmp_eq_u32_e32 vcc, v26, v27
	v_cndmask_b32_e32 v11, v14, v11, vcc
	v_cmp_ne_u32_e32 vcc, v26, v27
	v_add_u32_e32 v13, 17, v55
	v_and_b32_e32 v11, 0xffff, v11
	v_cndmask_b32_e64 v14, 0, 1, vcc
	v_lshl_or_b32 v11, v14, 16, v11
	v_cmp_gt_u32_e32 vcc, s59, v13
	v_mov_b32_e32 v13, v12
	v_mov_b32_e32 v14, v12
	;; [unrolled: 1-line block ×5, first 2 shown]
	s_mov_b64 s[48:49], 0
                                        ; implicit-def: $sgpr52_sgpr53
                                        ; implicit-def: $vgpr54
	s_and_saveexec_b64 s[18:19], vcc
	s_cbranch_execz .LBB109_108
; %bb.95:
	ds_read_b96 v[30:32], v42 offset:34
	v_mov_b32_e32 v12, s7
	v_cmp_eq_u32_e32 vcc, v27, v28
	v_add_u32_e32 v13, 18, v55
	s_mov_b64 s[50:51], 0
	s_waitcnt lgkmcnt(0)
	v_cndmask_b32_e32 v12, v12, v30, vcc
	v_cmp_ne_u32_e32 vcc, v27, v28
	v_and_b32_e32 v12, 0xffff, v12
	v_cndmask_b32_e64 v14, 0, 1, vcc
	v_lshl_or_b32 v12, v14, 16, v12
	v_mov_b32_e32 v14, 0
	v_cmp_gt_u32_e32 vcc, s59, v13
	v_mov_b32_e32 v13, v14
	v_mov_b32_e32 v15, v14
	;; [unrolled: 1-line block ×4, first 2 shown]
                                        ; implicit-def: $sgpr54_sgpr55
                                        ; implicit-def: $vgpr54
	s_and_saveexec_b64 s[48:49], vcc
	s_cbranch_execz .LBB109_107
; %bb.96:
	v_lshrrev_b32_e32 v13, 16, v30
	v_mov_b32_e32 v16, s7
	v_cmp_eq_u32_e32 vcc, v28, v29
	v_cndmask_b32_e32 v13, v16, v13, vcc
	v_cmp_ne_u32_e32 vcc, v28, v29
	v_add_u32_e32 v15, 19, v55
	v_and_b32_e32 v13, 0xffff, v13
	v_cndmask_b32_e64 v16, 0, 1, vcc
	v_lshl_or_b32 v13, v16, 16, v13
	v_cmp_gt_u32_e32 vcc, s59, v15
	v_mov_b32_e32 v15, v14
	v_mov_b32_e32 v16, v14
	v_mov_b32_e32 v17, v14
	s_mov_b64 s[52:53], 0
                                        ; implicit-def: $sgpr60_sgpr61
                                        ; implicit-def: $vgpr54
	s_and_saveexec_b64 s[50:51], vcc
	s_cbranch_execz .LBB109_106
; %bb.97:
	v_mov_b32_e32 v14, s7
	v_cmp_eq_u32_e32 vcc, v29, v22
	v_cndmask_b32_e32 v14, v14, v31, vcc
	v_cmp_ne_u32_e32 vcc, v29, v22
	v_and_b32_e32 v14, 0xffff, v14
	v_cndmask_b32_e64 v16, 0, 1, vcc
	v_add_u32_e32 v15, 20, v55
	v_lshl_or_b32 v14, v16, 16, v14
	v_mov_b32_e32 v16, 0
	v_cmp_gt_u32_e32 vcc, s59, v15
	v_mov_b32_e32 v15, v16
	v_mov_b32_e32 v17, v16
	s_mov_b64 s[54:55], 0
                                        ; implicit-def: $sgpr62_sgpr63
                                        ; implicit-def: $vgpr54
	s_and_saveexec_b64 s[52:53], vcc
	s_cbranch_execz .LBB109_105
; %bb.98:
	v_lshrrev_b32_e32 v15, 16, v31
	v_mov_b32_e32 v26, s7
	v_cmp_eq_u32_e32 vcc, v22, v23
	v_cndmask_b32_e32 v15, v26, v15, vcc
	v_cmp_ne_u32_e32 vcc, v22, v23
	v_add_u32_e32 v17, 21, v55
	v_and_b32_e32 v15, 0xffff, v15
	v_cndmask_b32_e64 v22, 0, 1, vcc
	v_lshl_or_b32 v15, v22, 16, v15
	v_cmp_gt_u32_e32 vcc, s59, v17
	s_mov_b32 s9, 0
	v_mov_b32_e32 v17, v16
	s_mov_b64 s[60:61], 0
                                        ; implicit-def: $sgpr72_sgpr73
                                        ; implicit-def: $vgpr54
	s_and_saveexec_b64 s[54:55], vcc
	s_cbranch_execz .LBB109_104
; %bb.99:
	v_mov_b32_e32 v16, s7
	v_cmp_eq_u32_e32 vcc, v23, v24
	v_cndmask_b32_e32 v16, v16, v32, vcc
	v_cmp_ne_u32_e32 vcc, v23, v24
	v_add_u32_e32 v17, 22, v55
	v_and_b32_e32 v16, 0xffff, v16
	v_cndmask_b32_e64 v22, 0, 1, vcc
	v_lshl_or_b32 v16, v22, 16, v16
	v_cmp_gt_u32_e32 vcc, s59, v17
	v_mov_b32_e32 v17, s9
	s_mov_b64 s[62:63], 0
                                        ; implicit-def: $sgpr72_sgpr73
                                        ; implicit-def: $vgpr54
	s_and_saveexec_b64 s[60:61], vcc
	s_cbranch_execz .LBB109_103
; %bb.100:
	v_lshrrev_b32_e32 v17, 16, v32
	v_mov_b32_e32 v23, s7
	v_cmp_eq_u32_e32 vcc, v24, v25
	v_cndmask_b32_e32 v17, v23, v17, vcc
	v_cmp_ne_u32_e32 vcc, v24, v25
	v_add_u32_e32 v22, 23, v55
	v_and_b32_e32 v17, 0xffff, v17
	v_cndmask_b32_e64 v23, 0, 1, vcc
	v_lshl_or_b32 v17, v23, 16, v17
	v_cmp_gt_u32_e32 vcc, s59, v22
                                        ; implicit-def: $sgpr72_sgpr73
                                        ; implicit-def: $vgpr54
	s_and_saveexec_b64 s[74:75], vcc
	s_xor_b64 s[74:75], exec, s[74:75]
	s_cbranch_execz .LBB109_102
; %bb.101:
	ds_read_u16 v22, v42 offset:46
	v_mov_b32_e32 v23, s7
	v_cmp_ne_u32_e32 vcc, v25, v53
	s_mov_b64 s[62:63], exec
	s_and_b64 s[72:73], vcc, exec
	s_waitcnt lgkmcnt(0)
	v_cndmask_b32_e32 v54, v22, v23, vcc
.LBB109_102:
	s_or_b64 exec, exec, s[74:75]
	s_and_b64 s[72:73], s[72:73], exec
	s_and_b64 s[62:63], s[62:63], exec
.LBB109_103:
	s_or_b64 exec, exec, s[60:61]
	s_and_b64 s[72:73], s[72:73], exec
	s_and_b64 s[60:61], s[62:63], exec
.LBB109_104:
	s_or_b64 exec, exec, s[54:55]
	s_and_b64 s[62:63], s[72:73], exec
	s_and_b64 s[54:55], s[60:61], exec
.LBB109_105:
	s_or_b64 exec, exec, s[52:53]
	s_and_b64 s[60:61], s[62:63], exec
	s_and_b64 s[52:53], s[54:55], exec
.LBB109_106:
	s_or_b64 exec, exec, s[50:51]
	s_and_b64 s[54:55], s[60:61], exec
	s_and_b64 s[50:51], s[52:53], exec
.LBB109_107:
	s_or_b64 exec, exec, s[48:49]
	s_and_b64 s[52:53], s[54:55], exec
	s_and_b64 s[48:49], s[50:51], exec
.LBB109_108:
	s_or_b64 exec, exec, s[18:19]
	s_and_b64 s[50:51], s[52:53], exec
	s_and_b64 s[18:19], s[48:49], exec
.LBB109_109:
	s_or_b64 exec, exec, s[16:17]
	s_and_b64 s[48:49], s[50:51], exec
	s_and_b64 s[16:17], s[18:19], exec
.LBB109_110:
	s_or_b64 exec, exec, s[14:15]
	s_and_b64 s[14:15], s[48:49], exec
	s_and_b64 s[48:49], s[16:17], exec
.LBB109_111:
	s_or_b64 exec, exec, s[12:13]
	s_and_b64 s[50:51], s[14:15], exec
	s_and_b64 s[48:49], s[48:49], exec
.LBB109_112:
	s_or_b64 exec, exec, s[46:47]
	s_and_b64 s[12:13], s[50:51], exec
	s_and_b64 s[46:47], s[48:49], exec
.LBB109_113:
	s_or_b64 exec, exec, s[44:45]
	s_and_b64 s[48:49], s[12:13], exec
	s_and_b64 s[44:45], s[46:47], exec
.LBB109_114:
	s_or_b64 exec, exec, s[42:43]
	s_and_b64 s[12:13], s[48:49], exec
	s_and_b64 s[42:43], s[44:45], exec
.LBB109_115:
	s_or_b64 exec, exec, s[40:41]
	s_and_b64 s[44:45], s[12:13], exec
	s_and_b64 s[40:41], s[42:43], exec
.LBB109_116:
	s_or_b64 exec, exec, s[38:39]
	s_and_b64 s[12:13], s[44:45], exec
	s_and_b64 s[38:39], s[40:41], exec
.LBB109_117:
	s_or_b64 exec, exec, s[36:37]
	s_and_b64 s[40:41], s[12:13], exec
	s_and_b64 s[36:37], s[38:39], exec
.LBB109_118:
	s_or_b64 exec, exec, s[34:35]
	s_and_b64 s[12:13], s[40:41], exec
	s_and_b64 s[34:35], s[36:37], exec
.LBB109_119:
	s_or_b64 exec, exec, s[30:31]
	s_and_b64 s[36:37], s[12:13], exec
	s_and_b64 s[30:31], s[34:35], exec
.LBB109_120:
	s_or_b64 exec, exec, s[28:29]
	s_and_b64 s[12:13], s[36:37], exec
	s_and_b64 s[28:29], s[30:31], exec
.LBB109_121:
	s_or_b64 exec, exec, s[26:27]
	s_and_b64 s[30:31], s[12:13], exec
	s_and_b64 s[26:27], s[28:29], exec
.LBB109_122:
	s_or_b64 exec, exec, s[22:23]
	s_and_b64 s[12:13], s[30:31], exec
	s_and_b64 s[26:27], s[26:27], exec
.LBB109_123:
	s_or_b64 exec, exec, s[20:21]
	s_and_b64 s[28:29], s[12:13], exec
	s_and_b64 s[26:27], s[26:27], exec
.LBB109_124:
	s_or_b64 exec, exec, s[24:25]
	s_and_b64 s[12:13], s[28:29], exec
	s_and_b64 s[14:15], s[26:27], exec
.LBB109_125:
	s_or_b64 exec, exec, s[10:11]
	s_and_b64 vcc, exec, s[2:3]
	s_cbranch_vccnz .LBB109_127
	s_branch .LBB109_132
.LBB109_126:
	s_mov_b64 s[14:15], 0
                                        ; implicit-def: $sgpr12_sgpr13
                                        ; implicit-def: $vgpr18_vgpr19_vgpr20_vgpr21
                                        ; implicit-def: $vgpr2_vgpr3_vgpr4_vgpr5_vgpr6_vgpr7_vgpr8_vgpr9
                                        ; implicit-def: $vgpr10_vgpr11_vgpr12_vgpr13_vgpr14_vgpr15_vgpr16_vgpr17
                                        ; implicit-def: $vgpr54
                                        ; implicit-def: $vgpr1
                                        ; implicit-def: $vgpr51
                                        ; implicit-def: $vgpr52
                                        ; implicit-def: $sgpr8
	s_and_b64 vcc, exec, s[2:3]
	s_cbranch_vccz .LBB109_132
.LBB109_127:
	v_mov_b32_e32 v1, s71
	v_add_co_u32_e32 v2, vcc, s70, v50
	v_addc_co_u32_e32 v1, vcc, 0, v1, vcc
	s_movk_i32 s2, 0x1000
	v_add_co_u32_e32 v2, vcc, s2, v2
	v_addc_co_u32_e32 v3, vcc, 0, v1, vcc
	global_load_dword v4, v50, s[70:71]
	global_load_dword v5, v50, s[70:71] offset:256
	global_load_dword v6, v50, s[70:71] offset:512
	;; [unrolled: 1-line block ×15, first 2 shown]
	global_load_dword v20, v[2:3], off
	global_load_dword v21, v[2:3], off offset:256
	global_load_dword v22, v[2:3], off offset:512
	;; [unrolled: 1-line block ×7, first 2 shown]
	s_movk_i32 s2, 0x5c
	v_mad_u32_u24 v40, v0, s2, v50
	s_movk_i32 s3, 0xffa4
	v_cmp_ne_u32_e32 vcc, 63, v0
	v_mad_i32_i24 v1, v0, s3, v40
	s_waitcnt vmcnt(22)
	ds_write2st64_b32 v50, v4, v5 offset1:1
	s_waitcnt vmcnt(20)
	ds_write2st64_b32 v50, v6, v7 offset0:2 offset1:3
	s_waitcnt vmcnt(18)
	ds_write2st64_b32 v50, v8, v9 offset0:4 offset1:5
	s_waitcnt vmcnt(16)
	ds_write2st64_b32 v50, v10, v11 offset0:6 offset1:7
	s_waitcnt vmcnt(14)
	ds_write2st64_b32 v50, v12, v13 offset0:8 offset1:9
	s_waitcnt vmcnt(12)
	ds_write2st64_b32 v50, v14, v15 offset0:10 offset1:11
	s_waitcnt vmcnt(10)
	ds_write2st64_b32 v50, v16, v17 offset0:12 offset1:13
	s_waitcnt vmcnt(8)
	ds_write2st64_b32 v50, v18, v19 offset0:14 offset1:15
	s_waitcnt vmcnt(6)
	ds_write2st64_b32 v50, v20, v21 offset0:16 offset1:17
	s_waitcnt vmcnt(4)
	ds_write2st64_b32 v50, v22, v23 offset0:18 offset1:19
	s_waitcnt vmcnt(2)
	ds_write2st64_b32 v50, v24, v25 offset0:20 offset1:21
	s_waitcnt vmcnt(0)
	ds_write2st64_b32 v50, v26, v27 offset0:22 offset1:23
	s_waitcnt lgkmcnt(0)
	; wave barrier
	s_waitcnt lgkmcnt(0)
	ds_read2_b32 v[22:23], v40 offset0:6 offset1:23
	ds_read_b64 v[18:19], v40
	ds_read2_b64 v[2:5], v40 offset0:1 offset1:2
	ds_read2_b32 v[32:33], v40 offset0:13 offset1:14
	ds_read2_b32 v[34:35], v40 offset0:11 offset1:12
	;; [unrolled: 1-line block ×4, first 2 shown]
	s_load_dword s2, s[70:71], 0x1800
	ds_read2_b32 v[30:31], v40 offset0:21 offset1:22
	ds_read2_b32 v[28:29], v40 offset0:19 offset1:20
	;; [unrolled: 1-line block ×4, first 2 shown]
	s_waitcnt lgkmcnt(0)
	ds_write_b32 v1, v18 offset:6400
	s_waitcnt lgkmcnt(0)
	; wave barrier
	s_waitcnt lgkmcnt(0)
	v_mov_b32_e32 v40, s2
	s_and_saveexec_b64 s[2:3], vcc
	s_cbranch_execz .LBB109_129
; %bb.128:
	ds_read_b32 v40, v50 offset:6404
.LBB109_129:
	s_or_b64 exec, exec, s[2:3]
	v_lshlrev_b32_e32 v6, 1, v0
	s_waitcnt lgkmcnt(0)
	; wave barrier
	s_waitcnt lgkmcnt(0)
	global_load_ushort v7, v6, s[68:69]
	global_load_ushort v8, v6, s[68:69] offset:128
	global_load_ushort v9, v6, s[68:69] offset:256
	;; [unrolled: 1-line block ×23, first 2 shown]
	v_sub_u32_e32 v1, v1, v6
	v_mad_u32_u24 v53, v0, 46, v1
	v_cmp_eq_u32_e32 vcc, v18, v19
	v_mov_b32_e32 v18, s7
	s_waitcnt vmcnt(23)
	ds_write_b16 v1, v7
	s_waitcnt vmcnt(22)
	ds_write_b16 v1, v8 offset:128
	s_waitcnt vmcnt(21)
	ds_write_b16 v1, v9 offset:256
	;; [unrolled: 2-line block ×23, first 2 shown]
	s_waitcnt lgkmcnt(0)
	; wave barrier
	s_waitcnt lgkmcnt(0)
	ds_read_b96 v[14:16], v53 offset:2
	ds_read_b128 v[6:9], v53 offset:14
	ds_read_b128 v[10:13], v53 offset:30
	ds_read_u16 v41, v53 offset:46
	v_mov_b32_e32 v17, 0x10000
	s_and_saveexec_b64 s[2:3], vcc
	s_cbranch_execz .LBB109_131
; %bb.130:
	v_mul_u32_u24_e32 v17, 46, v0
	v_add_u32_e32 v1, v1, v17
	ds_read_u16 v18, v1
	v_mov_b32_e32 v17, 0
.LBB109_131:
	s_or_b64 exec, exec, s[2:3]
	v_mov_b32_e32 v47, s7
	v_cmp_eq_u32_e32 vcc, v19, v2
	s_waitcnt lgkmcnt(3)
	v_lshrrev_b32_e32 v21, 16, v14
	v_cndmask_b32_e32 v14, v47, v14, vcc
	v_cmp_ne_u32_e32 vcc, v19, v2
	s_waitcnt lgkmcnt(0)
	v_or_b32_sdwa v1, v17, v18 dst_sel:DWORD dst_unused:UNUSED_PAD src0_sel:DWORD src1_sel:WORD_0
	v_and_b32_e32 v14, 0xffff, v14
	v_cndmask_b32_e64 v17, 0, 1, vcc
	v_cmp_eq_u32_e32 vcc, v2, v3
	v_lshrrev_b32_e32 v20, 16, v15
	v_lshl_or_b32 v51, v17, 16, v14
	v_cndmask_b32_e32 v14, v47, v21, vcc
	v_cmp_eq_u32_e32 vcc, v4, v5
	v_cndmask_b32_e32 v17, v47, v20, vcc
	v_cmp_eq_u32_e32 vcc, v3, v4
	v_cndmask_b32_e32 v15, v47, v15, vcc
	v_cmp_eq_u32_e32 vcc, v5, v22
	v_lshrrev_b32_e32 v42, 16, v16
	v_cndmask_b32_e32 v16, v47, v16, vcc
	v_cmp_ne_u32_e32 vcc, v3, v4
	v_and_b32_e32 v15, 0xffff, v15
	v_cndmask_b32_e64 v18, 0, 1, vcc
	v_cmp_ne_u32_e32 vcc, v5, v22
	v_lshl_or_b32 v20, v18, 16, v15
	v_cndmask_b32_e64 v15, 0, 1, vcc
	v_cmp_ne_u32_e32 vcc, v2, v3
	v_and_b32_e32 v14, 0xffff, v14
	v_cndmask_b32_e64 v2, 0, 1, vcc
	v_cmp_ne_u32_e32 vcc, v4, v5
	v_and_b32_e32 v17, 0xffff, v17
	v_lshl_or_b32 v21, v2, 16, v14
	v_cndmask_b32_e64 v2, 0, 1, vcc
	v_cmp_eq_u32_e32 vcc, v22, v38
	v_lshl_or_b32 v19, v2, 16, v17
	v_cndmask_b32_e32 v2, v47, v42, vcc
	v_cmp_ne_u32_e32 vcc, v22, v38
	v_lshrrev_b32_e32 v46, 16, v6
	v_and_b32_e32 v2, 0xffff, v2
	v_cndmask_b32_e64 v3, 0, 1, vcc
	v_cmp_eq_u32_e32 vcc, v39, v36
	v_lshrrev_b32_e32 v45, 16, v7
	v_lshl_or_b32 v52, v3, 16, v2
	v_cndmask_b32_e32 v2, v47, v46, vcc
	v_cmp_eq_u32_e32 vcc, v37, v34
	v_lshrrev_b32_e32 v44, 16, v8
	v_cndmask_b32_e32 v3, v47, v45, vcc
	v_cmp_eq_u32_e32 vcc, v35, v32
	v_lshrrev_b32_e32 v43, 16, v9
	v_cndmask_b32_e32 v4, v47, v44, vcc
	v_cmp_eq_u32_e32 vcc, v33, v26
	v_cndmask_b32_e32 v5, v47, v43, vcc
	v_cmp_eq_u32_e32 vcc, v38, v39
	v_cndmask_b32_e32 v6, v47, v6, vcc
	v_cmp_eq_u32_e32 vcc, v36, v37
	v_cndmask_b32_e32 v7, v47, v7, vcc
	v_cmp_eq_u32_e32 vcc, v34, v35
	v_cndmask_b32_e32 v8, v47, v8, vcc
	v_cmp_eq_u32_e32 vcc, v32, v33
	v_cndmask_b32_e32 v9, v47, v9, vcc
	v_cmp_ne_u32_e32 vcc, v38, v39
	v_and_b32_e32 v16, 0xffff, v16
	v_and_b32_e32 v14, 0xffff, v5
	;; [unrolled: 1-line block ×4, first 2 shown]
	v_cndmask_b32_e64 v8, 0, 1, vcc
	v_cmp_ne_u32_e32 vcc, v36, v37
	v_lshl_or_b32 v18, v15, 16, v16
	v_and_b32_e32 v15, 0xffff, v3
	v_and_b32_e32 v3, 0xffff, v9
	;; [unrolled: 1-line block ×3, first 2 shown]
	v_lshl_or_b32 v9, v8, 16, v6
	v_cndmask_b32_e64 v6, 0, 1, vcc
	v_cmp_ne_u32_e32 vcc, v34, v35
	v_lshl_or_b32 v7, v6, 16, v7
	v_cndmask_b32_e64 v6, 0, 1, vcc
	v_cmp_ne_u32_e32 vcc, v32, v33
	;; [unrolled: 3-line block ×3, first 2 shown]
	v_and_b32_e32 v2, 0xffff, v2
	v_lshl_or_b32 v3, v6, 16, v3
	v_cndmask_b32_e64 v6, 0, 1, vcc
	v_cmp_ne_u32_e32 vcc, v37, v34
	v_lshl_or_b32 v8, v6, 16, v2
	v_cndmask_b32_e64 v2, 0, 1, vcc
	v_cmp_ne_u32_e32 vcc, v35, v32
	v_and_b32_e32 v4, 0xffff, v4
	v_lshl_or_b32 v6, v2, 16, v15
	v_cndmask_b32_e64 v2, 0, 1, vcc
	v_cmp_ne_u32_e32 vcc, v33, v26
	v_lshl_or_b32 v4, v2, 16, v4
	v_cndmask_b32_e64 v2, 0, 1, vcc
	v_lshl_or_b32 v2, v2, 16, v14
	v_lshrrev_b32_e32 v14, 16, v13
	v_cmp_eq_u32_e32 vcc, v31, v23
	v_cndmask_b32_e32 v14, v47, v14, vcc
	v_lshrrev_b32_e32 v15, 16, v12
	v_cmp_eq_u32_e32 vcc, v29, v30
	v_cndmask_b32_e32 v15, v47, v15, vcc
	;; [unrolled: 3-line block ×4, first 2 shown]
	v_cmp_eq_u32_e32 vcc, v30, v31
	v_cndmask_b32_e32 v13, v47, v13, vcc
	v_cmp_eq_u32_e32 vcc, v28, v29
	v_cndmask_b32_e32 v12, v47, v12, vcc
	;; [unrolled: 2-line block ×4, first 2 shown]
	v_cmp_ne_u32_e32 vcc, v30, v31
	v_and_b32_e32 v22, 0xffff, v17
	v_and_b32_e32 v17, 0xffff, v14
	;; [unrolled: 1-line block ×3, first 2 shown]
	v_cndmask_b32_e64 v14, 0, 1, vcc
	v_cmp_ne_u32_e32 vcc, v28, v29
	v_and_b32_e32 v32, 0xffff, v16
	v_and_b32_e32 v12, 0xffff, v12
	v_lshl_or_b32 v16, v14, 16, v13
	v_cndmask_b32_e64 v13, 0, 1, vcc
	v_cmp_ne_u32_e32 vcc, v24, v25
	v_and_b32_e32 v11, 0xffff, v11
	v_lshl_or_b32 v14, v13, 16, v12
	v_cndmask_b32_e64 v12, 0, 1, vcc
	v_cmp_ne_u32_e32 vcc, v26, v27
	;; [unrolled: 4-line block ×3, first 2 shown]
	v_lshl_or_b32 v10, v11, 16, v10
	v_cndmask_b32_e64 v11, 0, 1, vcc
	v_cmp_ne_u32_e32 vcc, v29, v30
	v_and_b32_e32 v15, 0xffff, v15
	v_lshl_or_b32 v17, v11, 16, v17
	v_cndmask_b32_e64 v11, 0, 1, vcc
	v_cmp_ne_u32_e32 vcc, v25, v28
	v_lshl_or_b32 v15, v11, 16, v15
	v_cndmask_b32_e64 v11, 0, 1, vcc
	v_cmp_ne_u32_e32 vcc, v27, v24
	v_lshl_or_b32 v13, v11, 16, v32
	v_cndmask_b32_e64 v11, 0, 1, vcc
	v_cmp_ne_u32_e64 s[12:13], v23, v40
	v_lshl_or_b32 v11, v11, 16, v22
	v_cndmask_b32_e64 v54, v41, v47, s[12:13]
	s_mov_b64 s[14:15], -1
                                        ; implicit-def: $sgpr8
.LBB109_132:
	v_mov_b32_e32 v33, s8
	s_and_saveexec_b64 s[2:3], s[14:15]
; %bb.133:
	v_mov_b32_e32 v22, 0x10000
	v_cndmask_b32_e64 v22, 0, v22, s[12:13]
	v_or_b32_sdwa v33, v22, v54 dst_sel:DWORD dst_unused:UNUSED_PAD src0_sel:DWORD src1_sel:WORD_0
; %bb.134:
	s_or_b64 exec, exec, s[2:3]
	s_cmp_lg_u32 s6, 0
	v_max_i16_e32 v34, v1, v51
	v_mbcnt_lo_u32_b32 v32, -1, 0
	s_waitcnt lgkmcnt(0)
	; wave barrier
	s_waitcnt lgkmcnt(0)
	s_cbranch_scc0 .LBB109_215
; %bb.135:
	s_mov_b32 s50, 0x10000
	v_cmp_gt_u32_e64 s[2:3], s50, v51
	v_cndmask_b32_e64 v22, v51, v34, s[2:3]
	v_max_i16_e32 v22, v22, v21
	v_cmp_gt_u32_e64 s[52:53], s50, v21
	v_cndmask_b32_e64 v22, v21, v22, s[52:53]
	v_max_i16_e32 v22, v22, v20
	;; [unrolled: 3-line block ×16, first 2 shown]
	v_cmp_gt_u32_e64 s[38:39], s50, v12
	v_cndmask_b32_e64 v22, v12, v22, s[38:39]
	v_or3_b32 v24, v33, v17, v16
	v_max_i16_e32 v22, v22, v13
	v_cmp_gt_u32_e64 s[40:41], s50, v13
	v_or3_b32 v24, v24, v15, v14
	v_cndmask_b32_e64 v22, v13, v22, s[40:41]
	v_or3_b32 v24, v24, v13, v12
	v_max_i16_e32 v22, v22, v14
	v_cmp_gt_u32_e64 s[42:43], s50, v14
	v_or3_b32 v24, v24, v11, v10
	;; [unrolled: 5-line block ×5, first 2 shown]
	v_cndmask_b32_e64 v22, v17, v22, s[48:49]
	v_or3_b32 v24, v24, v21, v51
	v_max_i16_e32 v22, v22, v33
	v_cmp_gt_u32_e32 vcc, s50, v33
	v_and_b32_e32 v24, 0x10000, v24
	v_and_b32_e32 v23, 0x10000, v1
	v_cndmask_b32_e32 v22, v33, v22, vcc
	v_mov_b32_e32 v25, 0x10000
	v_cmp_ne_u32_e32 vcc, 0, v24
	v_cndmask_b32_e32 v24, v23, v25, vcc
	v_mbcnt_hi_u32_b32 v25, -1, v32
	v_and_b32_e32 v28, 15, v25
	v_or_b32_sdwa v27, v24, v22 dst_sel:DWORD dst_unused:UNUSED_PAD src0_sel:DWORD src1_sel:WORD_0
	v_lshrrev_b32_e32 v23, 16, v24
	v_cmp_ne_u32_e32 vcc, 0, v28
	v_mov_b32_dpp v26, v27 row_shr:1 row_mask:0xf bank_mask:0xf
	s_and_saveexec_b64 s[50:51], vcc
; %bb.136:
	v_and_b32_e32 v23, 0x10000, v24
	v_mov_b32_e32 v27, 1
	v_and_b32_sdwa v27, v26, v27 dst_sel:DWORD dst_unused:UNUSED_PAD src0_sel:WORD_1 src1_sel:DWORD
	v_cmp_ne_u32_e32 vcc, 0, v23
	v_cndmask_b32_e64 v23, v27, 1, vcc
	v_max_i16_e32 v26, v26, v22
	v_cmp_eq_u32_e32 vcc, 0, v24
	v_cndmask_b32_e32 v22, v22, v26, vcc
	v_lshlrev_b32_e32 v24, 16, v23
	v_or_b32_sdwa v27, v24, v22 dst_sel:DWORD dst_unused:UNUSED_PAD src0_sel:DWORD src1_sel:WORD_0
; %bb.137:
	s_or_b64 exec, exec, s[50:51]
	v_lshrrev_b32_e32 v26, 16, v27
	v_mov_b32_dpp v29, v27 row_shr:2 row_mask:0xf bank_mask:0xf
	v_cmp_lt_u32_e32 vcc, 1, v28
	v_mov_b32_e32 v24, v27
	s_and_saveexec_b64 s[50:51], vcc
	s_cbranch_execz .LBB109_139
; %bb.138:
	v_and_b32_e32 v22, 0x10000, v27
	v_mov_b32_e32 v23, 1
	v_and_b32_sdwa v23, v29, v23 dst_sel:DWORD dst_unused:UNUSED_PAD src0_sel:WORD_1 src1_sel:DWORD
	v_cmp_ne_u32_e32 vcc, 0, v22
	s_mov_b32 s54, 0x10000
	v_cndmask_b32_e64 v23, v23, 1, vcc
	v_max_i16_e32 v22, v29, v27
	v_cmp_gt_u32_e32 vcc, s54, v27
	v_cndmask_b32_e32 v22, v27, v22, vcc
	v_lshlrev_b32_e32 v24, 16, v23
	v_or_b32_sdwa v27, v24, v22 dst_sel:DWORD dst_unused:UNUSED_PAD src0_sel:DWORD src1_sel:WORD_0
	v_mov_b32_e32 v24, v22
	v_mov_b32_e32 v26, v23
.LBB109_139:
	s_or_b64 exec, exec, s[50:51]
	v_mov_b32_dpp v29, v27 row_shr:4 row_mask:0xf bank_mask:0xf
	v_cmp_lt_u32_e32 vcc, 3, v28
	s_and_saveexec_b64 s[50:51], vcc
	s_cbranch_execz .LBB109_141
; %bb.140:
	v_and_b32_e32 v22, 1, v26
	v_mov_b32_e32 v23, 1
	v_and_b32_sdwa v23, v29, v23 dst_sel:DWORD dst_unused:UNUSED_PAD src0_sel:WORD_1 src1_sel:DWORD
	v_cmp_eq_u32_e32 vcc, 1, v22
	v_cndmask_b32_e64 v23, v23, 1, vcc
	v_max_i16_e32 v22, v29, v24
	v_cmp_eq_u16_e32 vcc, 0, v26
	v_cndmask_b32_e32 v22, v24, v22, vcc
	v_lshlrev_b32_e32 v24, 16, v23
	v_or_b32_sdwa v27, v24, v22 dst_sel:DWORD dst_unused:UNUSED_PAD src0_sel:DWORD src1_sel:WORD_0
	v_mov_b32_e32 v24, v22
	v_mov_b32_e32 v26, v23
.LBB109_141:
	s_or_b64 exec, exec, s[50:51]
	v_mov_b32_dpp v29, v27 row_shr:8 row_mask:0xf bank_mask:0xf
	v_cmp_lt_u32_e32 vcc, 7, v28
	s_and_saveexec_b64 s[50:51], vcc
	s_cbranch_execz .LBB109_143
; %bb.142:
	v_and_b32_e32 v22, 1, v26
	v_mov_b32_e32 v23, 1
	v_and_b32_sdwa v23, v29, v23 dst_sel:DWORD dst_unused:UNUSED_PAD src0_sel:WORD_1 src1_sel:DWORD
	v_cmp_eq_u32_e32 vcc, 1, v22
	v_cndmask_b32_e64 v23, v23, 1, vcc
	v_max_i16_e32 v22, v29, v24
	v_cmp_eq_u16_e32 vcc, 0, v26
	v_cndmask_b32_e32 v22, v24, v22, vcc
	v_lshlrev_b32_e32 v24, 16, v23
	v_or_b32_sdwa v27, v24, v22 dst_sel:DWORD dst_unused:UNUSED_PAD src0_sel:DWORD src1_sel:WORD_0
	v_mov_b32_e32 v24, v22
	v_mov_b32_e32 v26, v23
.LBB109_143:
	s_or_b64 exec, exec, s[50:51]
	v_and_b32_e32 v29, 16, v25
	v_mov_b32_dpp v28, v27 row_bcast:15 row_mask:0xf bank_mask:0xf
	v_cmp_ne_u32_e32 vcc, 0, v29
	s_and_saveexec_b64 s[50:51], vcc
	s_cbranch_execz .LBB109_145
; %bb.144:
	v_and_b32_e32 v22, 1, v26
	v_mov_b32_e32 v23, 1
	v_and_b32_sdwa v23, v28, v23 dst_sel:DWORD dst_unused:UNUSED_PAD src0_sel:WORD_1 src1_sel:DWORD
	v_cmp_eq_u32_e32 vcc, 1, v22
	v_cndmask_b32_e64 v23, v23, 1, vcc
	v_max_i16_e32 v22, v28, v24
	v_cmp_eq_u16_e32 vcc, 0, v26
	v_cndmask_b32_e32 v22, v24, v22, vcc
	v_lshlrev_b32_e32 v24, 16, v23
	v_or_b32_sdwa v27, v24, v22 dst_sel:DWORD dst_unused:UNUSED_PAD src0_sel:DWORD src1_sel:WORD_0
	v_mov_b32_e32 v24, v22
	v_mov_b32_e32 v26, v23
.LBB109_145:
	s_or_b64 exec, exec, s[50:51]
	v_mov_b32_dpp v27, v27 row_bcast:31 row_mask:0xf bank_mask:0xf
	v_cmp_lt_u32_e32 vcc, 31, v25
	s_and_saveexec_b64 s[50:51], vcc
; %bb.146:
	v_and_b32_e32 v22, 1, v26
	v_mov_b32_e32 v23, 1
	v_and_b32_sdwa v23, v27, v23 dst_sel:DWORD dst_unused:UNUSED_PAD src0_sel:WORD_1 src1_sel:DWORD
	v_cmp_eq_u32_e32 vcc, 1, v22
	v_cndmask_b32_e64 v23, v23, 1, vcc
	v_max_i16_e32 v22, v27, v24
	v_cmp_eq_u16_e32 vcc, 0, v26
	v_cndmask_b32_e32 v22, v24, v22, vcc
	v_mov_b32_e32 v26, v23
	v_mov_b32_e32 v24, v22
; %bb.147:
	s_or_b64 exec, exec, s[50:51]
	v_cmp_eq_u32_e32 vcc, 63, v0
	s_and_saveexec_b64 s[50:51], vcc
	s_cbranch_execz .LBB109_149
; %bb.148:
	v_mov_b32_e32 v27, 0
	ds_write_b16 v27, v24
	ds_write_b8 v27, v26 offset:2
.LBB109_149:
	s_or_b64 exec, exec, s[50:51]
	v_lshlrev_b32_e32 v23, 16, v23
	v_or_b32_sdwa v22, v23, v22 dst_sel:DWORD dst_unused:UNUSED_PAD src0_sel:DWORD src1_sel:WORD_0
	v_add_u32_e32 v23, -1, v25
	v_and_b32_e32 v24, 64, v25
	v_cmp_lt_i32_e32 vcc, v23, v24
	v_cndmask_b32_e32 v23, v23, v25, vcc
	v_lshlrev_b32_e32 v23, 2, v23
	ds_bpermute_b32 v35, v23, v22
	v_cmp_gt_u32_e32 vcc, 64, v0
	s_waitcnt lgkmcnt(0)
	; wave barrier
	s_waitcnt lgkmcnt(0)
	s_and_saveexec_b64 s[54:55], vcc
	s_cbranch_execz .LBB109_192
; %bb.150:
	v_mov_b32_e32 v29, 0
	ds_read_b32 v22, v29
	s_mov_b32 s63, 0
	v_cmp_eq_u32_e64 s[50:51], 0, v25
	s_and_saveexec_b64 s[60:61], s[50:51]
	s_cbranch_execz .LBB109_152
; %bb.151:
	s_add_i32 s62, s6, 64
	s_lshl_b64 s[62:63], s[62:63], 3
	s_add_u32 s62, s56, s62
	s_addc_u32 s63, s57, s63
	v_mov_b32_e32 v23, 1
	s_waitcnt lgkmcnt(0)
	global_store_dwordx2 v29, v[22:23], s[62:63]
.LBB109_152:
	s_or_b64 exec, exec, s[60:61]
	v_xad_u32 v24, v25, -1, s6
	v_add_u32_e32 v28, 64, v24
	v_lshlrev_b64 v[26:27], 3, v[28:29]
	v_mov_b32_e32 v23, s57
	v_add_co_u32_e32 v30, vcc, s56, v26
	v_addc_co_u32_e32 v31, vcc, v23, v27, vcc
	global_load_dwordx2 v[26:27], v[30:31], off glc
	s_waitcnt vmcnt(0)
	v_cmp_eq_u16_sdwa s[62:63], v27, v29 src0_sel:BYTE_0 src1_sel:DWORD
	s_and_saveexec_b64 s[60:61], s[62:63]
	s_cbranch_execz .LBB109_156
; %bb.153:
	s_mov_b64 s[62:63], 0
	v_mov_b32_e32 v23, 0
.LBB109_154:                            ; =>This Inner Loop Header: Depth=1
	global_load_dwordx2 v[26:27], v[30:31], off glc
	s_waitcnt vmcnt(0)
	v_cmp_ne_u16_sdwa s[68:69], v27, v23 src0_sel:BYTE_0 src1_sel:DWORD
	s_or_b64 s[62:63], s[68:69], s[62:63]
	s_andn2_b64 exec, exec, s[62:63]
	s_cbranch_execnz .LBB109_154
; %bb.155:
	s_or_b64 exec, exec, s[62:63]
.LBB109_156:
	s_or_b64 exec, exec, s[60:61]
	v_mov_b32_e32 v23, 2
	v_cmp_eq_u16_sdwa s[60:61], v27, v23 src0_sel:BYTE_0 src1_sel:DWORD
	v_lshlrev_b64 v[28:29], v25, -1
	v_and_b32_e32 v23, s61, v29
	v_or_b32_e32 v23, 0x80000000, v23
	v_and_b32_e32 v30, s60, v28
	v_ffbl_b32_e32 v23, v23
	v_and_b32_e32 v31, 63, v25
	v_add_u32_e32 v23, 32, v23
	v_ffbl_b32_e32 v30, v30
	v_cmp_ne_u32_e32 vcc, 63, v31
	v_min_u32_e32 v30, v30, v23
	v_addc_co_u32_e32 v23, vcc, 0, v25, vcc
	v_and_b32_e32 v47, 0xffffff, v26
	v_lshlrev_b32_e32 v23, 2, v23
	ds_bpermute_b32 v37, v23, v47
	v_add_u32_e32 v36, 1, v25
	v_lshrrev_b32_e32 v54, 16, v26
	v_cmp_le_u32_e32 vcc, v36, v30
	v_bfe_u32 v45, v26, 16, 8
	s_and_saveexec_b64 s[60:61], vcc
	s_cbranch_execz .LBB109_158
; %bb.157:
	v_and_b32_e32 v38, 0xff0000, v26
	s_waitcnt lgkmcnt(0)
	v_max_i16_e32 v39, v37, v26
	v_cmp_eq_u32_e32 vcc, 0, v38
	v_cndmask_b32_e32 v26, v26, v39, vcc
	v_and_b32_e32 v38, 0x10000, v38
	v_mov_b32_e32 v39, 1
	v_and_b32_sdwa v37, v37, v39 dst_sel:DWORD dst_unused:UNUSED_PAD src0_sel:WORD_1 src1_sel:DWORD
	v_cmp_ne_u32_e32 vcc, 0, v38
	v_cndmask_b32_e64 v54, v37, 1, vcc
	v_lshlrev_b32_e32 v37, 16, v54
	v_or_b32_sdwa v47, v37, v26 dst_sel:DWORD dst_unused:UNUSED_PAD src0_sel:DWORD src1_sel:WORD_0
	v_mov_b32_e32 v45, v54
.LBB109_158:
	s_or_b64 exec, exec, s[60:61]
	v_cmp_gt_u32_e32 vcc, 62, v31
	s_waitcnt lgkmcnt(0)
	v_cndmask_b32_e64 v37, 0, 1, vcc
	v_lshlrev_b32_e32 v37, 1, v37
	v_add_lshl_u32 v37, v37, v25, 2
	ds_bpermute_b32 v39, v37, v47
	v_add_u32_e32 v38, 2, v25
	v_cmp_le_u32_e32 vcc, v38, v30
	s_and_saveexec_b64 s[60:61], vcc
	s_cbranch_execz .LBB109_160
; %bb.159:
	s_waitcnt lgkmcnt(0)
	v_max_i16_e32 v40, v39, v26
	v_cmp_eq_u16_e32 vcc, 0, v45
	v_cndmask_b32_e32 v26, v26, v40, vcc
	v_and_b32_e32 v40, 1, v45
	v_mov_b32_e32 v41, 1
	v_and_b32_sdwa v39, v39, v41 dst_sel:DWORD dst_unused:UNUSED_PAD src0_sel:WORD_1 src1_sel:DWORD
	v_cmp_eq_u32_e32 vcc, 1, v40
	v_cndmask_b32_e64 v54, v39, 1, vcc
	v_lshlrev_b32_e32 v39, 16, v54
	v_or_b32_sdwa v47, v39, v26 dst_sel:DWORD dst_unused:UNUSED_PAD src0_sel:DWORD src1_sel:WORD_0
	v_mov_b32_e32 v45, v54
.LBB109_160:
	s_or_b64 exec, exec, s[60:61]
	v_cmp_gt_u32_e32 vcc, 60, v31
	s_waitcnt lgkmcnt(0)
	v_cndmask_b32_e64 v39, 0, 1, vcc
	v_lshlrev_b32_e32 v39, 2, v39
	v_add_lshl_u32 v39, v39, v25, 2
	ds_bpermute_b32 v41, v39, v47
	v_add_u32_e32 v40, 4, v25
	v_cmp_le_u32_e32 vcc, v40, v30
	s_and_saveexec_b64 s[60:61], vcc
	s_cbranch_execz .LBB109_162
; %bb.161:
	s_waitcnt lgkmcnt(0)
	v_max_i16_e32 v42, v41, v26
	v_cmp_eq_u16_e32 vcc, 0, v45
	v_cndmask_b32_e32 v26, v26, v42, vcc
	v_and_b32_e32 v42, 1, v45
	v_mov_b32_e32 v43, 1
	v_and_b32_sdwa v41, v41, v43 dst_sel:DWORD dst_unused:UNUSED_PAD src0_sel:WORD_1 src1_sel:DWORD
	v_cmp_eq_u32_e32 vcc, 1, v42
	v_cndmask_b32_e64 v54, v41, 1, vcc
	v_lshlrev_b32_e32 v41, 16, v54
	v_or_b32_sdwa v47, v41, v26 dst_sel:DWORD dst_unused:UNUSED_PAD src0_sel:DWORD src1_sel:WORD_0
	v_mov_b32_e32 v45, v54
.LBB109_162:
	;; [unrolled: 25-line block ×4, first 2 shown]
	s_or_b64 exec, exec, s[60:61]
	v_cmp_gt_u32_e32 vcc, 32, v31
	v_cndmask_b32_e64 v31, 0, 1, vcc
	v_lshlrev_b32_e32 v31, 5, v31
	s_waitcnt lgkmcnt(0)
	v_add_lshl_u32 v46, v31, v25, 2
	ds_bpermute_b32 v31, v46, v47
	v_add_u32_e32 v47, 32, v25
	v_cmp_le_u32_e32 vcc, v47, v30
	s_and_saveexec_b64 s[60:61], vcc
	s_cbranch_execz .LBB109_168
; %bb.167:
	s_waitcnt lgkmcnt(0)
	v_max_i16_e32 v25, v31, v26
	v_cmp_eq_u16_e32 vcc, 0, v45
	v_cndmask_b32_e32 v26, v26, v25, vcc
	v_and_b32_e32 v25, 1, v45
	v_mov_b32_e32 v30, 1
	v_and_b32_sdwa v30, v31, v30 dst_sel:DWORD dst_unused:UNUSED_PAD src0_sel:WORD_1 src1_sel:DWORD
	v_cmp_eq_u32_e32 vcc, 1, v25
	v_cndmask_b32_e64 v54, v30, 1, vcc
.LBB109_168:
	s_or_b64 exec, exec, s[60:61]
	v_mov_b32_e32 v25, 0
	v_mov_b32_e32 v49, 2
	;; [unrolled: 1-line block ×3, first 2 shown]
	s_branch .LBB109_170
.LBB109_169:                            ;   in Loop: Header=BB109_170 Depth=1
	s_or_b64 exec, exec, s[60:61]
	v_max_i16_e32 v26, v26, v48
	v_cmp_eq_u16_sdwa vcc, v45, v25 src0_sel:BYTE_0 src1_sel:DWORD
	v_and_b32_e32 v30, 1, v45
	v_cndmask_b32_e32 v26, v48, v26, vcc
	v_and_b32_e32 v31, 1, v31
	v_cmp_eq_u32_e32 vcc, 1, v30
	v_subrev_u32_e32 v24, 64, v24
	v_cndmask_b32_e64 v54, v31, 1, vcc
.LBB109_170:                            ; =>This Loop Header: Depth=1
                                        ;     Child Loop BB109_173 Depth 2
	v_cmp_ne_u16_sdwa s[60:61], v27, v49 src0_sel:BYTE_0 src1_sel:DWORD
	v_cndmask_b32_e64 v27, 0, 1, s[60:61]
	;;#ASMSTART
	;;#ASMEND
	v_cmp_ne_u32_e32 vcc, 0, v27
	v_mov_b32_e32 v45, v54
	s_cmp_lg_u64 vcc, exec
	v_mov_b32_e32 v48, v26
	s_cbranch_scc1 .LBB109_187
; %bb.171:                              ;   in Loop: Header=BB109_170 Depth=1
	v_lshlrev_b64 v[26:27], 3, v[24:25]
	s_waitcnt lgkmcnt(0)
	v_mov_b32_e32 v31, s57
	v_add_co_u32_e32 v30, vcc, s56, v26
	v_addc_co_u32_e32 v31, vcc, v31, v27, vcc
	global_load_dwordx2 v[26:27], v[30:31], off glc
	s_waitcnt vmcnt(0)
	v_cmp_eq_u16_sdwa s[62:63], v27, v25 src0_sel:BYTE_0 src1_sel:DWORD
	s_and_saveexec_b64 s[60:61], s[62:63]
	s_cbranch_execz .LBB109_175
; %bb.172:                              ;   in Loop: Header=BB109_170 Depth=1
	s_mov_b64 s[62:63], 0
.LBB109_173:                            ;   Parent Loop BB109_170 Depth=1
                                        ; =>  This Inner Loop Header: Depth=2
	global_load_dwordx2 v[26:27], v[30:31], off glc
	s_waitcnt vmcnt(0)
	v_cmp_ne_u16_sdwa s[68:69], v27, v25 src0_sel:BYTE_0 src1_sel:DWORD
	s_or_b64 s[62:63], s[68:69], s[62:63]
	s_andn2_b64 exec, exec, s[62:63]
	s_cbranch_execnz .LBB109_173
; %bb.174:                              ;   in Loop: Header=BB109_170 Depth=1
	s_or_b64 exec, exec, s[62:63]
.LBB109_175:                            ;   in Loop: Header=BB109_170 Depth=1
	s_or_b64 exec, exec, s[60:61]
	v_cmp_eq_u16_sdwa s[60:61], v27, v49 src0_sel:BYTE_0 src1_sel:DWORD
	v_and_b32_e32 v30, s61, v29
	v_and_b32_e32 v55, 0xffffff, v26
	v_or_b32_e32 v30, 0x80000000, v30
	ds_bpermute_b32 v56, v23, v55
	v_and_b32_e32 v31, s60, v28
	v_ffbl_b32_e32 v30, v30
	v_add_u32_e32 v30, 32, v30
	v_ffbl_b32_e32 v31, v31
	v_min_u32_e32 v30, v31, v30
	v_lshrrev_b32_e32 v31, 16, v26
	v_cmp_le_u32_e32 vcc, v36, v30
	v_bfe_u32 v54, v26, 16, 8
	s_and_saveexec_b64 s[60:61], vcc
	s_cbranch_execz .LBB109_177
; %bb.176:                              ;   in Loop: Header=BB109_170 Depth=1
	v_and_b32_e32 v31, 0xff0000, v26
	s_waitcnt lgkmcnt(0)
	v_max_i16_e32 v54, v56, v26
	v_cmp_eq_u32_e32 vcc, 0, v31
	v_and_b32_e32 v31, 0x10000, v31
	v_cndmask_b32_e32 v26, v26, v54, vcc
	v_and_b32_sdwa v54, v56, v53 dst_sel:DWORD dst_unused:UNUSED_PAD src0_sel:WORD_1 src1_sel:DWORD
	v_cmp_ne_u32_e32 vcc, 0, v31
	v_cndmask_b32_e64 v31, v54, 1, vcc
	v_lshlrev_b32_e32 v54, 16, v31
	v_or_b32_sdwa v55, v54, v26 dst_sel:DWORD dst_unused:UNUSED_PAD src0_sel:DWORD src1_sel:WORD_0
	v_mov_b32_e32 v54, v31
.LBB109_177:                            ;   in Loop: Header=BB109_170 Depth=1
	s_or_b64 exec, exec, s[60:61]
	s_waitcnt lgkmcnt(0)
	ds_bpermute_b32 v56, v37, v55
	v_cmp_le_u32_e32 vcc, v38, v30
	s_and_saveexec_b64 s[60:61], vcc
	s_cbranch_execz .LBB109_179
; %bb.178:                              ;   in Loop: Header=BB109_170 Depth=1
	s_waitcnt lgkmcnt(0)
	v_max_i16_e32 v31, v56, v26
	v_cmp_eq_u16_e32 vcc, 0, v54
	v_cndmask_b32_e32 v26, v26, v31, vcc
	v_and_b32_e32 v31, 1, v54
	v_and_b32_sdwa v54, v56, v53 dst_sel:DWORD dst_unused:UNUSED_PAD src0_sel:WORD_1 src1_sel:DWORD
	v_cmp_eq_u32_e32 vcc, 1, v31
	v_cndmask_b32_e64 v31, v54, 1, vcc
	v_lshlrev_b32_e32 v54, 16, v31
	v_or_b32_sdwa v55, v54, v26 dst_sel:DWORD dst_unused:UNUSED_PAD src0_sel:DWORD src1_sel:WORD_0
	v_mov_b32_e32 v54, v31
.LBB109_179:                            ;   in Loop: Header=BB109_170 Depth=1
	s_or_b64 exec, exec, s[60:61]
	s_waitcnt lgkmcnt(0)
	ds_bpermute_b32 v56, v39, v55
	v_cmp_le_u32_e32 vcc, v40, v30
	s_and_saveexec_b64 s[60:61], vcc
	s_cbranch_execz .LBB109_181
; %bb.180:                              ;   in Loop: Header=BB109_170 Depth=1
	s_waitcnt lgkmcnt(0)
	v_max_i16_e32 v31, v56, v26
	v_cmp_eq_u16_e32 vcc, 0, v54
	v_cndmask_b32_e32 v26, v26, v31, vcc
	v_and_b32_e32 v31, 1, v54
	v_and_b32_sdwa v54, v56, v53 dst_sel:DWORD dst_unused:UNUSED_PAD src0_sel:WORD_1 src1_sel:DWORD
	v_cmp_eq_u32_e32 vcc, 1, v31
	v_cndmask_b32_e64 v31, v54, 1, vcc
	v_lshlrev_b32_e32 v54, 16, v31
	v_or_b32_sdwa v55, v54, v26 dst_sel:DWORD dst_unused:UNUSED_PAD src0_sel:DWORD src1_sel:WORD_0
	v_mov_b32_e32 v54, v31
.LBB109_181:                            ;   in Loop: Header=BB109_170 Depth=1
	;; [unrolled: 19-line block ×4, first 2 shown]
	s_or_b64 exec, exec, s[60:61]
	ds_bpermute_b32 v55, v46, v55
	v_cmp_le_u32_e32 vcc, v47, v30
	s_and_saveexec_b64 s[60:61], vcc
	s_cbranch_execz .LBB109_169
; %bb.186:                              ;   in Loop: Header=BB109_170 Depth=1
	s_waitcnt lgkmcnt(0)
	v_max_i16_e32 v30, v55, v26
	v_cmp_eq_u16_e32 vcc, 0, v54
	v_cndmask_b32_e32 v26, v26, v30, vcc
	v_and_b32_e32 v30, 1, v54
	v_lshrrev_b32_e32 v31, 16, v55
	v_cmp_eq_u32_e32 vcc, 1, v30
	v_cndmask_b32_e64 v31, v31, 1, vcc
	s_branch .LBB109_169
.LBB109_187:                            ;   in Loop: Header=BB109_170 Depth=1
                                        ; implicit-def: $vgpr54
                                        ; implicit-def: $vgpr26
	s_cbranch_execz .LBB109_170
; %bb.188:
	s_and_saveexec_b64 s[60:61], s[50:51]
	s_cbranch_execz .LBB109_190
; %bb.189:
	v_and_b32_e32 v23, 0xff0000, v22
	v_max_i16_e32 v24, v48, v22
	v_cmp_eq_u32_e32 vcc, 0, v23
	s_mov_b32 s51, 0
	v_cndmask_b32_e32 v23, v22, v24, vcc
	v_and_b32_e32 v22, 0x10000, v22
	v_mov_b32_e32 v24, 1
	s_add_i32 s50, s6, 64
	v_and_b32_sdwa v24, v45, v24 dst_sel:WORD_1 dst_unused:UNUSED_PAD src0_sel:DWORD src1_sel:DWORD
	v_mov_b32_e32 v25, 0x10000
	v_cmp_eq_u32_e32 vcc, 0, v22
	s_lshl_b64 s[50:51], s[50:51], 3
	v_cndmask_b32_e32 v22, v25, v24, vcc
	s_add_u32 s50, s56, s50
	s_addc_u32 s51, s57, s51
	v_mov_b32_e32 v24, 0
	v_or_b32_sdwa v22, v22, v23 dst_sel:DWORD dst_unused:UNUSED_PAD src0_sel:DWORD src1_sel:WORD_0
	v_mov_b32_e32 v23, 2
	global_store_dwordx2 v24, v[22:23], s[50:51]
.LBB109_190:
	s_or_b64 exec, exec, s[60:61]
	v_cmp_eq_u32_e32 vcc, 0, v0
	s_and_b64 exec, exec, vcc
	s_cbranch_execz .LBB109_192
; %bb.191:
	v_mov_b32_e32 v22, 0
	ds_write_b16 v22, v48
	ds_write_b8 v22, v45 offset:2
.LBB109_192:
	s_or_b64 exec, exec, s[54:55]
	v_mov_b32_e32 v22, 0
	s_waitcnt lgkmcnt(0)
	; wave barrier
	s_waitcnt lgkmcnt(0)
	ds_read_b32 v22, v22
	v_and_b32_e32 v23, 0xff0000, v35
	v_cmp_eq_u32_e32 vcc, 0, v23
	s_waitcnt lgkmcnt(0)
	v_max_i16_e32 v24, v22, v35
	v_cndmask_b32_e32 v23, v35, v24, vcc
	v_cmp_eq_u32_e32 vcc, 0, v0
	v_cndmask_b32_e32 v24, v23, v22, vcc
	v_and_b32_e32 v22, 0xff0000, v1
	v_max_i16_e32 v23, v24, v1
	v_cmp_eq_u32_e32 vcc, 0, v22
	v_cndmask_b32_e32 v22, v1, v23, vcc
	v_max_i16_e32 v23, v22, v51
	v_cndmask_b32_e64 v23, v51, v23, s[2:3]
	v_max_i16_e32 v25, v23, v21
	v_cndmask_b32_e64 v25, v21, v25, s[52:53]
	;; [unrolled: 2-line block ×22, first 2 shown]
	s_branch .LBB109_235
.LBB109_193:
	s_or_b64 exec, exec, s[60:61]
                                        ; implicit-def: $vgpr6
	s_and_saveexec_b64 s[2:3], s[54:55]
	s_cbranch_execz .LBB109_53
.LBB109_194:
	global_load_ushort v6, v[2:3], off offset:128
	s_or_b64 exec, exec, s[2:3]
                                        ; implicit-def: $vgpr7
	s_and_saveexec_b64 s[2:3], s[8:9]
	s_cbranch_execnz .LBB109_54
.LBB109_195:
	s_or_b64 exec, exec, s[2:3]
                                        ; implicit-def: $vgpr8
	s_and_saveexec_b64 s[2:3], s[10:11]
	s_cbranch_execz .LBB109_55
.LBB109_196:
	global_load_ushort v8, v[2:3], off offset:384
	s_or_b64 exec, exec, s[2:3]
                                        ; implicit-def: $vgpr9
	s_and_saveexec_b64 s[2:3], s[12:13]
	s_cbranch_execnz .LBB109_56
.LBB109_197:
	s_or_b64 exec, exec, s[2:3]
                                        ; implicit-def: $vgpr10
	s_and_saveexec_b64 s[2:3], s[14:15]
	s_cbranch_execz .LBB109_57
.LBB109_198:
	global_load_ushort v10, v[2:3], off offset:640
	s_or_b64 exec, exec, s[2:3]
                                        ; implicit-def: $vgpr11
	s_and_saveexec_b64 s[2:3], s[16:17]
	s_cbranch_execnz .LBB109_58
.LBB109_199:
	s_or_b64 exec, exec, s[2:3]
                                        ; implicit-def: $vgpr12
	s_and_saveexec_b64 s[2:3], s[18:19]
	s_cbranch_execz .LBB109_59
.LBB109_200:
	global_load_ushort v12, v[2:3], off offset:896
	s_or_b64 exec, exec, s[2:3]
                                        ; implicit-def: $vgpr13
	s_and_saveexec_b64 s[2:3], s[20:21]
	s_cbranch_execnz .LBB109_60
.LBB109_201:
	s_or_b64 exec, exec, s[2:3]
                                        ; implicit-def: $vgpr14
	s_and_saveexec_b64 s[2:3], s[22:23]
	s_cbranch_execz .LBB109_61
.LBB109_202:
	global_load_ushort v14, v[2:3], off offset:1152
	s_or_b64 exec, exec, s[2:3]
                                        ; implicit-def: $vgpr15
	s_and_saveexec_b64 s[2:3], s[24:25]
	s_cbranch_execnz .LBB109_62
.LBB109_203:
	s_or_b64 exec, exec, s[2:3]
                                        ; implicit-def: $vgpr16
	s_and_saveexec_b64 s[2:3], s[26:27]
	s_cbranch_execz .LBB109_63
.LBB109_204:
	global_load_ushort v16, v[2:3], off offset:1408
	s_or_b64 exec, exec, s[2:3]
                                        ; implicit-def: $vgpr17
	s_and_saveexec_b64 s[2:3], s[28:29]
	s_cbranch_execnz .LBB109_64
.LBB109_205:
	s_or_b64 exec, exec, s[2:3]
                                        ; implicit-def: $vgpr18
	s_and_saveexec_b64 s[2:3], s[30:31]
	s_cbranch_execz .LBB109_65
.LBB109_206:
	global_load_ushort v18, v[2:3], off offset:1664
	s_or_b64 exec, exec, s[2:3]
                                        ; implicit-def: $vgpr19
	s_and_saveexec_b64 s[2:3], s[34:35]
	s_cbranch_execnz .LBB109_66
.LBB109_207:
	s_or_b64 exec, exec, s[2:3]
                                        ; implicit-def: $vgpr20
	s_and_saveexec_b64 s[2:3], s[36:37]
	s_cbranch_execz .LBB109_67
.LBB109_208:
	global_load_ushort v20, v[2:3], off offset:1920
	s_or_b64 exec, exec, s[2:3]
                                        ; implicit-def: $vgpr21
	s_and_saveexec_b64 s[2:3], s[38:39]
	s_cbranch_execnz .LBB109_68
.LBB109_209:
	s_or_b64 exec, exec, s[2:3]
                                        ; implicit-def: $vgpr47
	s_and_saveexec_b64 s[2:3], s[40:41]
	s_cbranch_execz .LBB109_69
.LBB109_210:
	global_load_ushort v47, v[2:3], off offset:2176
	s_or_b64 exec, exec, s[2:3]
                                        ; implicit-def: $vgpr48
	s_and_saveexec_b64 s[2:3], s[42:43]
	s_cbranch_execnz .LBB109_70
.LBB109_211:
	s_or_b64 exec, exec, s[2:3]
                                        ; implicit-def: $vgpr49
	s_and_saveexec_b64 s[2:3], s[44:45]
	s_cbranch_execz .LBB109_71
.LBB109_212:
	global_load_ushort v49, v[2:3], off offset:2432
	s_or_b64 exec, exec, s[2:3]
                                        ; implicit-def: $vgpr51
	s_and_saveexec_b64 s[2:3], s[46:47]
	s_cbranch_execnz .LBB109_72
.LBB109_213:
	s_or_b64 exec, exec, s[2:3]
                                        ; implicit-def: $vgpr52
	s_and_saveexec_b64 s[2:3], s[48:49]
	s_cbranch_execz .LBB109_73
.LBB109_214:
	global_load_ushort v52, v[2:3], off offset:2688
	s_or_b64 exec, exec, s[2:3]
                                        ; implicit-def: $vgpr54
	s_and_saveexec_b64 s[2:3], s[50:51]
	s_cbranch_execz .LBB109_75
	s_branch .LBB109_74
.LBB109_215:
                                        ; implicit-def: $vgpr24
                                        ; implicit-def: $vgpr22
                                        ; implicit-def: $vgpr23
                                        ; implicit-def: $vgpr25
                                        ; implicit-def: $vgpr26
                                        ; implicit-def: $vgpr27
                                        ; implicit-def: $vgpr29
                                        ; implicit-def: $vgpr31
                                        ; implicit-def: $vgpr28
                                        ; implicit-def: $vgpr30
                                        ; implicit-def: $vgpr35
                                        ; implicit-def: $vgpr36
                                        ; implicit-def: $vgpr37
                                        ; implicit-def: $vgpr38
                                        ; implicit-def: $vgpr40
                                        ; implicit-def: $vgpr42
                                        ; implicit-def: $vgpr39
                                        ; implicit-def: $vgpr41
                                        ; implicit-def: $vgpr43
                                        ; implicit-def: $vgpr44
                                        ; implicit-def: $vgpr45
                                        ; implicit-def: $vgpr46
                                        ; implicit-def: $vgpr47
                                        ; implicit-def: $vgpr48
	s_cbranch_execz .LBB109_235
; %bb.216:
	s_cmp_eq_u64 s[66:67], 0
	v_mov_b32_e32 v48, s7
	s_cbranch_scc1 .LBB109_218
; %bb.217:
	v_mov_b32_e32 v22, 0
	global_load_ushort v48, v22, s[66:67]
.LBB109_218:
	s_mov_b32 s52, 0x10000
	v_cmp_gt_u32_e32 vcc, s52, v51
	v_cndmask_b32_e32 v22, v51, v34, vcc
	v_max_i16_e32 v22, v22, v21
	v_cmp_gt_u32_e64 s[2:3], s52, v21
	v_cndmask_b32_e64 v22, v21, v22, s[2:3]
	v_max_i16_e32 v22, v22, v20
	v_cmp_gt_u32_e64 s[6:7], s52, v20
	v_cndmask_b32_e64 v22, v20, v22, s[6:7]
	;; [unrolled: 3-line block ×18, first 2 shown]
	v_and_b32_e32 v23, 0x10000, v51
	v_max_i16_e32 v22, v22, v15
	v_cmp_gt_u32_e64 s[44:45], s52, v15
	v_cmp_ne_u32_e64 s[48:49], 0, v23
	v_bfe_u32 v23, v19, 16, 1
	v_mov_b32_e32 v25, 1
	v_cndmask_b32_e64 v22, v15, v22, s[44:45]
	v_lshlrev_b16_e32 v23, 1, v23
	v_and_b32_sdwa v27, v18, v25 dst_sel:DWORD dst_unused:UNUSED_PAD src0_sel:WORD_1 src1_sel:DWORD
	v_max_i16_e32 v22, v22, v16
	v_cmp_gt_u32_e64 s[46:47], s52, v16
	v_or_b32_e32 v23, v27, v23
	v_bfe_u32 v27, v21, 16, 1
	v_and_b32_sdwa v28, v20, v25 dst_sel:DWORD dst_unused:UNUSED_PAD src0_sel:WORD_1 src1_sel:DWORD
	v_cndmask_b32_e64 v22, v16, v22, s[46:47]
	v_lshlrev_b16_e32 v27, 3, v27
	v_lshlrev_b16_e32 v28, 2, v28
	v_max_i16_e32 v22, v22, v17
	v_cmp_gt_u32_e64 s[16:17], s52, v17
	v_or_b32_e32 v27, v27, v28
	v_cndmask_b32_e64 v22, v17, v22, s[16:17]
	v_or_b32_e32 v27, v23, v27
	v_and_b32_e32 v23, 0x10000, v52
	v_max_i16_e32 v22, v22, v33
	v_cmp_gt_u32_e64 s[52:53], s52, v33
	v_cmp_ne_u32_e64 s[50:51], 0, v23
	v_cndmask_b32_e64 v23, v33, v22, s[52:53]
	v_and_b32_e32 v22, 0x10000, v33
	v_cmp_ne_u32_e64 s[52:53], 0, v22
	v_or_b32_e32 v22, v16, v8
	v_or_b32_e32 v28, v17, v9
	;; [unrolled: 1-line block ×7, first 2 shown]
	v_bfe_u32 v30, v30, 16, 1
	v_bfe_u32 v28, v28, 16, 1
	v_and_b32_sdwa v22, v22, v25 dst_sel:DWORD dst_unused:UNUSED_PAD src0_sel:WORD_1 src1_sel:DWORD
	v_or_b32_e32 v34, v10, v2
	v_bfe_u32 v35, v35, 16, 1
	v_bfe_u32 v33, v33, 16, 1
	v_and_b32_sdwa v31, v31, v25 dst_sel:DWORD dst_unused:UNUSED_PAD src0_sel:WORD_1 src1_sel:DWORD
	v_lshlrev_b16_e32 v30, 1, v30
	v_and_b32_sdwa v29, v29, v25 dst_sel:DWORD dst_unused:UNUSED_PAD src0_sel:WORD_1 src1_sel:DWORD
	v_lshlrev_b16_e32 v28, 3, v28
	v_lshlrev_b16_e32 v22, 2, v22
	v_lshlrev_b16_e32 v35, 1, v35
	v_and_b32_sdwa v34, v34, v25 dst_sel:DWORD dst_unused:UNUSED_PAD src0_sel:WORD_1 src1_sel:DWORD
	v_lshlrev_b16_e32 v33, 3, v33
	v_lshlrev_b16_e32 v31, 2, v31
	v_or_b32_e32 v29, v29, v30
	v_or_b32_e32 v22, v28, v22
	;; [unrolled: 1-line block ×6, first 2 shown]
	v_lshlrev_b16_e32 v22, 4, v22
	v_or_b32_e32 v22, v31, v22
	v_or_b32_e32 v22, v22, v27
	v_mov_b32_e32 v27, 0
	v_cmp_ne_u16_sdwa s[54:55], v22, v27 src0_sel:BYTE_0 src1_sel:DWORD
	s_or_b64 s[52:53], s[52:53], s[54:55]
	s_or_b64 s[50:51], s[52:53], s[50:51]
	v_mov_b32_e32 v24, 0x10000
	v_and_b32_e32 v26, 0x10000, v1
	s_or_b64 s[48:49], s[50:51], s[48:49]
	v_cndmask_b32_e64 v26, v26, v24, s[48:49]
	v_mbcnt_hi_u32_b32 v22, -1, v32
	v_and_b32_e32 v28, 15, v22
	v_or_b32_sdwa v27, v26, v23 dst_sel:DWORD dst_unused:UNUSED_PAD src0_sel:DWORD src1_sel:WORD_0
	v_lshrrev_b32_e32 v24, 16, v26
	v_cmp_ne_u32_e64 s[48:49], 0, v28
	v_mov_b32_dpp v29, v27 row_shr:1 row_mask:0xf bank_mask:0xf
	s_and_saveexec_b64 s[50:51], s[48:49]
; %bb.219:
	v_and_b32_e32 v24, 0x10000, v26
	v_and_b32_sdwa v25, v29, v25 dst_sel:DWORD dst_unused:UNUSED_PAD src0_sel:WORD_1 src1_sel:DWORD
	v_cmp_ne_u32_e64 s[48:49], 0, v24
	v_cndmask_b32_e64 v24, v25, 1, s[48:49]
	v_max_i16_e32 v25, v29, v23
	v_cmp_eq_u32_e64 s[48:49], 0, v26
	v_cndmask_b32_e64 v23, v23, v25, s[48:49]
	v_lshlrev_b32_e32 v25, 16, v24
	v_or_b32_sdwa v27, v25, v23 dst_sel:DWORD dst_unused:UNUSED_PAD src0_sel:DWORD src1_sel:WORD_0
; %bb.220:
	s_or_b64 exec, exec, s[50:51]
	v_lshrrev_b32_e32 v26, 16, v27
	v_mov_b32_dpp v29, v27 row_shr:2 row_mask:0xf bank_mask:0xf
	v_cmp_lt_u32_e64 s[48:49], 1, v28
	v_mov_b32_e32 v25, v27
	s_and_saveexec_b64 s[50:51], s[48:49]
	s_cbranch_execz .LBB109_222
; %bb.221:
	v_and_b32_e32 v23, 0x10000, v27
	v_mov_b32_e32 v24, 1
	v_and_b32_sdwa v24, v29, v24 dst_sel:DWORD dst_unused:UNUSED_PAD src0_sel:WORD_1 src1_sel:DWORD
	v_cmp_ne_u32_e64 s[48:49], 0, v23
	v_cndmask_b32_e64 v24, v24, 1, s[48:49]
	s_mov_b32 s48, 0x10000
	v_max_i16_e32 v23, v29, v27
	v_cmp_gt_u32_e64 s[48:49], s48, v27
	v_cndmask_b32_e64 v23, v27, v23, s[48:49]
	v_lshlrev_b32_e32 v25, 16, v24
	v_or_b32_sdwa v27, v25, v23 dst_sel:DWORD dst_unused:UNUSED_PAD src0_sel:DWORD src1_sel:WORD_0
	v_mov_b32_e32 v25, v23
	v_mov_b32_e32 v26, v24
.LBB109_222:
	s_or_b64 exec, exec, s[50:51]
	v_mov_b32_dpp v29, v27 row_shr:4 row_mask:0xf bank_mask:0xf
	v_cmp_lt_u32_e64 s[48:49], 3, v28
	s_and_saveexec_b64 s[50:51], s[48:49]
	s_cbranch_execz .LBB109_224
; %bb.223:
	v_and_b32_e32 v23, 1, v26
	v_mov_b32_e32 v24, 1
	v_and_b32_sdwa v24, v29, v24 dst_sel:DWORD dst_unused:UNUSED_PAD src0_sel:WORD_1 src1_sel:DWORD
	v_cmp_eq_u32_e64 s[48:49], 1, v23
	v_cndmask_b32_e64 v24, v24, 1, s[48:49]
	v_max_i16_e32 v23, v29, v25
	v_cmp_eq_u16_e64 s[48:49], 0, v26
	v_cndmask_b32_e64 v23, v25, v23, s[48:49]
	v_lshlrev_b32_e32 v25, 16, v24
	v_or_b32_sdwa v27, v25, v23 dst_sel:DWORD dst_unused:UNUSED_PAD src0_sel:DWORD src1_sel:WORD_0
	v_mov_b32_e32 v25, v23
	v_mov_b32_e32 v26, v24
.LBB109_224:
	s_or_b64 exec, exec, s[50:51]
	v_mov_b32_dpp v29, v27 row_shr:8 row_mask:0xf bank_mask:0xf
	v_cmp_lt_u32_e64 s[48:49], 7, v28
	s_and_saveexec_b64 s[50:51], s[48:49]
	s_cbranch_execz .LBB109_226
; %bb.225:
	v_and_b32_e32 v23, 1, v26
	v_mov_b32_e32 v24, 1
	v_and_b32_sdwa v24, v29, v24 dst_sel:DWORD dst_unused:UNUSED_PAD src0_sel:WORD_1 src1_sel:DWORD
	v_cmp_eq_u32_e64 s[48:49], 1, v23
	v_cndmask_b32_e64 v24, v24, 1, s[48:49]
	v_max_i16_e32 v23, v29, v25
	v_cmp_eq_u16_e64 s[48:49], 0, v26
	v_cndmask_b32_e64 v23, v25, v23, s[48:49]
	v_lshlrev_b32_e32 v25, 16, v24
	v_or_b32_sdwa v27, v25, v23 dst_sel:DWORD dst_unused:UNUSED_PAD src0_sel:DWORD src1_sel:WORD_0
	v_mov_b32_e32 v25, v23
	v_mov_b32_e32 v26, v24
.LBB109_226:
	s_or_b64 exec, exec, s[50:51]
	v_and_b32_e32 v29, 16, v22
	v_mov_b32_dpp v28, v27 row_bcast:15 row_mask:0xf bank_mask:0xf
	v_cmp_ne_u32_e64 s[48:49], 0, v29
	s_and_saveexec_b64 s[50:51], s[48:49]
	s_cbranch_execz .LBB109_228
; %bb.227:
	v_and_b32_e32 v23, 1, v26
	v_mov_b32_e32 v24, 1
	v_and_b32_sdwa v24, v28, v24 dst_sel:DWORD dst_unused:UNUSED_PAD src0_sel:WORD_1 src1_sel:DWORD
	v_cmp_eq_u32_e64 s[48:49], 1, v23
	v_cndmask_b32_e64 v24, v24, 1, s[48:49]
	v_max_i16_e32 v23, v28, v25
	v_cmp_eq_u16_e64 s[48:49], 0, v26
	v_cndmask_b32_e64 v23, v25, v23, s[48:49]
	v_lshlrev_b32_e32 v25, 16, v24
	v_or_b32_sdwa v27, v25, v23 dst_sel:DWORD dst_unused:UNUSED_PAD src0_sel:DWORD src1_sel:WORD_0
	v_mov_b32_e32 v25, v23
	v_mov_b32_e32 v26, v24
.LBB109_228:
	s_or_b64 exec, exec, s[50:51]
	v_mov_b32_dpp v27, v27 row_bcast:31 row_mask:0xf bank_mask:0xf
	v_cmp_lt_u32_e64 s[48:49], 31, v22
	s_and_saveexec_b64 s[50:51], s[48:49]
; %bb.229:
	v_and_b32_e32 v23, 1, v26
	v_mov_b32_e32 v24, 1
	v_and_b32_sdwa v24, v27, v24 dst_sel:DWORD dst_unused:UNUSED_PAD src0_sel:WORD_1 src1_sel:DWORD
	v_cmp_eq_u32_e64 s[48:49], 1, v23
	v_cndmask_b32_e64 v24, v24, 1, s[48:49]
	v_max_i16_e32 v23, v27, v25
	v_cmp_eq_u16_e64 s[48:49], 0, v26
	v_cndmask_b32_e64 v23, v25, v23, s[48:49]
	v_mov_b32_e32 v26, v24
	v_mov_b32_e32 v25, v23
; %bb.230:
	s_or_b64 exec, exec, s[50:51]
	v_cmp_eq_u32_e64 s[48:49], 63, v0
	s_and_saveexec_b64 s[50:51], s[48:49]
	s_cbranch_execz .LBB109_232
; %bb.231:
	v_mov_b32_e32 v27, 0
	ds_write_b16 v27, v25
	ds_write_b8 v27, v26 offset:2
.LBB109_232:
	s_or_b64 exec, exec, s[50:51]
	s_waitcnt vmcnt(0)
	v_max_i16_e32 v25, v48, v23
	v_cmp_eq_u16_e64 s[48:49], 0, v24
	v_and_b32_e32 v24, 1, v24
	v_cndmask_b32_e64 v23, v23, v25, s[48:49]
	v_mov_b32_e32 v25, 0x10000
	v_cmp_eq_u32_e64 s[48:49], 1, v24
	v_cndmask_b32_e64 v24, 0, v25, s[48:49]
	v_or_b32_sdwa v23, v24, v23 dst_sel:DWORD dst_unused:UNUSED_PAD src0_sel:DWORD src1_sel:WORD_0
	v_add_u32_e32 v24, -1, v22
	v_and_b32_e32 v25, 64, v22
	v_cmp_lt_i32_e64 s[48:49], v24, v25
	v_cndmask_b32_e64 v24, v24, v22, s[48:49]
	v_lshlrev_b32_e32 v24, 2, v24
	ds_bpermute_b32 v23, v24, v23
	v_cmp_eq_u32_e64 s[48:49], 0, v22
	v_cmp_eq_u32_e64 s[50:51], 0, v0
	s_or_b64 s[48:49], s[50:51], s[48:49]
	v_and_b32_e32 v22, 0xff0000, v1
	s_waitcnt lgkmcnt(0)
	v_cndmask_b32_e64 v24, v23, v48, s[48:49]
	v_max_i16_e32 v23, v24, v1
	v_cmp_eq_u32_e64 s[48:49], 0, v22
	v_cndmask_b32_e64 v22, v1, v23, s[48:49]
	v_max_i16_e32 v1, v22, v51
	v_cndmask_b32_e32 v23, v51, v1, vcc
	v_max_i16_e32 v1, v23, v21
	v_cndmask_b32_e64 v25, v21, v1, s[2:3]
	v_max_i16_e32 v1, v25, v20
	v_cndmask_b32_e64 v26, v20, v1, s[6:7]
	;; [unrolled: 2-line block ×20, first 2 shown]
	v_max_i16_e32 v1, v47, v17
	s_waitcnt lgkmcnt(0)
	; wave barrier
	s_and_saveexec_b64 s[2:3], s[50:51]
	s_cbranch_execz .LBB109_234
; %bb.233:
	v_mov_b32_e32 v4, 0
	ds_read_u8 v2, v4 offset:2
	ds_read_u16 v5, v4
	v_mov_b32_e32 v3, 2
	v_mov_b32_e32 v24, v48
	s_waitcnt lgkmcnt(1)
	v_cmp_eq_u32_e32 vcc, 0, v2
	s_waitcnt lgkmcnt(0)
	v_max_i16_e32 v7, v48, v5
	v_lshlrev_b32_e32 v6, 16, v2
	v_cndmask_b32_e32 v2, v5, v7, vcc
	v_or_b32_sdwa v2, v6, v2 dst_sel:DWORD dst_unused:UNUSED_PAD src0_sel:DWORD src1_sel:WORD_0
	global_store_dwordx2 v4, v[2:3], s[56:57] offset:512
.LBB109_234:
	s_or_b64 exec, exec, s[2:3]
	v_cndmask_b32_e64 v48, v17, v1, s[16:17]
.LBB109_235:
	s_load_dwordx2 s[2:3], s[4:5], 0x18
	v_mul_u32_u24_e32 v1, 24, v0
	v_lshlrev_b32_e32 v4, 1, v1
	s_waitcnt lgkmcnt(0)
	s_add_u32 s2, s2, s64
	s_addc_u32 s3, s3, s65
	s_and_b64 vcc, exec, s[0:1]
	s_cbranch_vccz .LBB109_283
; %bb.236:
	s_mov_b32 s0, 0x5040100
	v_perm_b32 v9, v31, v29, s0
	v_perm_b32 v8, v27, v26, s0
	;; [unrolled: 1-line block ×4, first 2 shown]
	s_waitcnt lgkmcnt(0)
	; wave barrier
	ds_write_b128 v4, v[6:9]
	v_perm_b32 v9, v42, v40, s0
	v_perm_b32 v8, v38, v37, s0
	;; [unrolled: 1-line block ×4, first 2 shown]
	ds_write_b128 v4, v[6:9] offset:16
	v_perm_b32 v9, v48, v47, s0
	v_perm_b32 v8, v46, v45, s0
	;; [unrolled: 1-line block ×4, first 2 shown]
	s_movk_i32 s0, 0xffd2
	v_mad_i32_i24 v2, v0, s0, v4
	ds_write_b128 v4, v[6:9] offset:32
	s_waitcnt lgkmcnt(0)
	; wave barrier
	s_waitcnt lgkmcnt(0)
	ds_read_u16 v52, v2 offset:128
	ds_read_u16 v51, v2 offset:256
	;; [unrolled: 1-line block ×23, first 2 shown]
	v_mov_b32_e32 v3, s3
	v_add_co_u32_e32 v2, vcc, s2, v50
	s_add_i32 s33, s33, s58
	v_addc_co_u32_e32 v3, vcc, 0, v3, vcc
	v_mov_b32_e32 v1, 0
	v_cmp_gt_u32_e32 vcc, s33, v0
	s_and_saveexec_b64 s[0:1], vcc
	s_cbranch_execz .LBB109_238
; %bb.237:
	v_mul_i32_i24_e32 v53, 0xffffffd2, v0
	v_add_u32_e32 v53, v4, v53
	ds_read_i16 v53, v53
	s_waitcnt lgkmcnt(0)
	v_cvt_f32_i32_e32 v53, v53
	global_store_dword v[2:3], v53, off
.LBB109_238:
	s_or_b64 exec, exec, s[0:1]
	v_or_b32_e32 v53, 64, v0
	v_cmp_gt_u32_e32 vcc, s33, v53
	s_and_saveexec_b64 s[0:1], vcc
	s_cbranch_execz .LBB109_240
; %bb.239:
	s_waitcnt lgkmcnt(14)
	v_cvt_f32_i32_sdwa v52, sext(v52) dst_sel:DWORD dst_unused:UNUSED_PAD src0_sel:WORD_0
	global_store_dword v[2:3], v52, off offset:256
.LBB109_240:
	s_or_b64 exec, exec, s[0:1]
	s_waitcnt lgkmcnt(14)
	v_or_b32_e32 v52, 0x80, v0
	v_cmp_gt_u32_e32 vcc, s33, v52
	s_and_saveexec_b64 s[0:1], vcc
	s_cbranch_execz .LBB109_242
; %bb.241:
	v_cvt_f32_i32_sdwa v51, sext(v51) dst_sel:DWORD dst_unused:UNUSED_PAD src0_sel:WORD_0
	global_store_dword v[2:3], v51, off offset:512
.LBB109_242:
	s_or_b64 exec, exec, s[0:1]
	v_or_b32_e32 v51, 0xc0, v0
	v_cmp_gt_u32_e32 vcc, s33, v51
	s_and_saveexec_b64 s[0:1], vcc
	s_cbranch_execz .LBB109_244
; %bb.243:
	v_cvt_f32_i32_sdwa v49, sext(v49) dst_sel:DWORD dst_unused:UNUSED_PAD src0_sel:WORD_0
	global_store_dword v[2:3], v49, off offset:768
.LBB109_244:
	s_or_b64 exec, exec, s[0:1]
	v_or_b32_e32 v49, 0x100, v0
	v_cmp_gt_u32_e32 vcc, s33, v49
	s_and_saveexec_b64 s[0:1], vcc
	s_cbranch_execz .LBB109_246
; %bb.245:
	v_cvt_f32_i32_sdwa v34, sext(v34) dst_sel:DWORD dst_unused:UNUSED_PAD src0_sel:WORD_0
	global_store_dword v[2:3], v34, off offset:1024
.LBB109_246:
	s_or_b64 exec, exec, s[0:1]
	v_or_b32_e32 v34, 0x140, v0
	v_cmp_gt_u32_e32 vcc, s33, v34
	s_and_saveexec_b64 s[0:1], vcc
	s_cbranch_execz .LBB109_248
; %bb.247:
	v_cvt_f32_i32_sdwa v33, sext(v33) dst_sel:DWORD dst_unused:UNUSED_PAD src0_sel:WORD_0
	global_store_dword v[2:3], v33, off offset:1280
.LBB109_248:
	s_or_b64 exec, exec, s[0:1]
	v_or_b32_e32 v33, 0x180, v0
	v_cmp_gt_u32_e32 vcc, s33, v33
	s_and_saveexec_b64 s[0:1], vcc
	s_cbranch_execz .LBB109_250
; %bb.249:
	v_cvt_f32_i32_sdwa v32, sext(v32) dst_sel:DWORD dst_unused:UNUSED_PAD src0_sel:WORD_0
	global_store_dword v[2:3], v32, off offset:1536
.LBB109_250:
	s_or_b64 exec, exec, s[0:1]
	v_or_b32_e32 v32, 0x1c0, v0
	v_cmp_gt_u32_e32 vcc, s33, v32
	s_and_saveexec_b64 s[0:1], vcc
	s_cbranch_execz .LBB109_252
; %bb.251:
	v_cvt_f32_i32_sdwa v21, sext(v21) dst_sel:DWORD dst_unused:UNUSED_PAD src0_sel:WORD_0
	global_store_dword v[2:3], v21, off offset:1792
.LBB109_252:
	s_or_b64 exec, exec, s[0:1]
	v_or_b32_e32 v21, 0x200, v0
	v_cmp_gt_u32_e32 vcc, s33, v21
	s_and_saveexec_b64 s[0:1], vcc
	s_cbranch_execz .LBB109_254
; %bb.253:
	v_cvt_f32_i32_sdwa v20, sext(v20) dst_sel:DWORD dst_unused:UNUSED_PAD src0_sel:WORD_0
	global_store_dword v[2:3], v20, off offset:2048
.LBB109_254:
	s_or_b64 exec, exec, s[0:1]
	v_or_b32_e32 v20, 0x240, v0
	v_cmp_gt_u32_e32 vcc, s33, v20
	s_and_saveexec_b64 s[0:1], vcc
	s_cbranch_execz .LBB109_256
; %bb.255:
	v_cvt_f32_i32_sdwa v19, sext(v19) dst_sel:DWORD dst_unused:UNUSED_PAD src0_sel:WORD_0
	global_store_dword v[2:3], v19, off offset:2304
.LBB109_256:
	s_or_b64 exec, exec, s[0:1]
	v_or_b32_e32 v19, 0x280, v0
	v_cmp_gt_u32_e32 vcc, s33, v19
	s_and_saveexec_b64 s[0:1], vcc
	s_cbranch_execz .LBB109_258
; %bb.257:
	s_waitcnt lgkmcnt(13)
	v_cvt_f32_i32_sdwa v18, sext(v18) dst_sel:DWORD dst_unused:UNUSED_PAD src0_sel:WORD_0
	global_store_dword v[2:3], v18, off offset:2560
.LBB109_258:
	s_or_b64 exec, exec, s[0:1]
	s_waitcnt lgkmcnt(13)
	v_or_b32_e32 v18, 0x2c0, v0
	v_cmp_gt_u32_e32 vcc, s33, v18
	s_and_saveexec_b64 s[0:1], vcc
	s_cbranch_execz .LBB109_260
; %bb.259:
	s_waitcnt lgkmcnt(12)
	v_cvt_f32_i32_sdwa v17, sext(v17) dst_sel:DWORD dst_unused:UNUSED_PAD src0_sel:WORD_0
	global_store_dword v[2:3], v17, off offset:2816
.LBB109_260:
	s_or_b64 exec, exec, s[0:1]
	s_waitcnt lgkmcnt(12)
	;; [unrolled: 11-line block ×6, first 2 shown]
	v_or_b32_e32 v13, 0x400, v0
	v_cmp_gt_u32_e32 vcc, s33, v13
	s_and_saveexec_b64 s[0:1], vcc
	s_cbranch_execz .LBB109_270
; %bb.269:
	s_waitcnt lgkmcnt(7)
	v_cvt_f32_i32_sdwa v14, sext(v12) dst_sel:DWORD dst_unused:UNUSED_PAD src0_sel:WORD_0
	v_add_co_u32_e32 v12, vcc, 0x1000, v2
	v_addc_co_u32_e32 v13, vcc, 0, v3, vcc
	global_store_dword v[12:13], v14, off
.LBB109_270:
	s_or_b64 exec, exec, s[0:1]
	s_waitcnt lgkmcnt(7)
	v_or_b32_e32 v12, 0x440, v0
	v_cmp_gt_u32_e32 vcc, s33, v12
	s_and_saveexec_b64 s[0:1], vcc
	s_cbranch_execz .LBB109_272
; %bb.271:
	s_waitcnt lgkmcnt(6)
	v_cvt_f32_i32_sdwa v11, sext(v11) dst_sel:DWORD dst_unused:UNUSED_PAD src0_sel:WORD_0
	v_add_co_u32_e32 v12, vcc, 0x1000, v2
	v_addc_co_u32_e32 v13, vcc, 0, v3, vcc
	global_store_dword v[12:13], v11, off offset:256
.LBB109_272:
	s_or_b64 exec, exec, s[0:1]
	s_waitcnt lgkmcnt(6)
	v_or_b32_e32 v11, 0x480, v0
	v_cmp_gt_u32_e32 vcc, s33, v11
	s_and_saveexec_b64 s[0:1], vcc
	s_cbranch_execz .LBB109_274
; %bb.273:
	s_waitcnt lgkmcnt(5)
	v_cvt_f32_i32_sdwa v12, sext(v10) dst_sel:DWORD dst_unused:UNUSED_PAD src0_sel:WORD_0
	v_add_co_u32_e32 v10, vcc, 0x1000, v2
	v_addc_co_u32_e32 v11, vcc, 0, v3, vcc
	global_store_dword v[10:11], v12, off offset:512
.LBB109_274:
	;; [unrolled: 13-line block ×6, first 2 shown]
	s_or_b64 exec, exec, s[0:1]
	v_or_b32_e32 v2, 0x5c0, v0
	v_cmp_gt_u32_e64 s[0:1], s33, v2
	s_branch .LBB109_285
.LBB109_283:
	s_mov_b64 s[0:1], 0
                                        ; implicit-def: $vgpr5
	s_cbranch_execz .LBB109_285
; %bb.284:
	s_mov_b32 s4, 0x5040100
	v_perm_b32 v9, v31, v29, s4
	v_perm_b32 v8, v27, v26, s4
	;; [unrolled: 1-line block ×3, first 2 shown]
	s_waitcnt lgkmcnt(1)
	v_perm_b32 v6, v22, v24, s4
	s_waitcnt lgkmcnt(0)
	; wave barrier
	s_waitcnt lgkmcnt(0)
	ds_write_b128 v4, v[6:9]
	v_perm_b32 v9, v42, v40, s4
	v_perm_b32 v8, v38, v37, s4
	;; [unrolled: 1-line block ×4, first 2 shown]
	ds_write_b128 v4, v[6:9] offset:16
	v_perm_b32 v9, v48, v47, s4
	v_perm_b32 v8, v46, v45, s4
	;; [unrolled: 1-line block ×4, first 2 shown]
	s_movk_i32 s4, 0xffd2
	v_mad_i32_i24 v2, v0, s4, v4
	ds_write_b128 v4, v[6:9] offset:32
	s_waitcnt lgkmcnt(0)
	; wave barrier
	s_waitcnt lgkmcnt(0)
	ds_read_i16 v3, v2
	ds_read_i16 v4, v2 offset:128
	ds_read_i16 v6, v2 offset:256
	;; [unrolled: 1-line block ×22, first 2 shown]
	ds_read_u16 v5, v2 offset:2944
	v_mov_b32_e32 v2, s3
	v_add_co_u32_e32 v27, vcc, s2, v50
	v_addc_co_u32_e32 v28, vcc, 0, v2, vcc
	s_waitcnt lgkmcnt(14)
	v_cvt_f32_i32_e32 v2, v3
	v_cvt_f32_i32_e32 v3, v4
	;; [unrolled: 1-line block ×4, first 2 shown]
	global_store_dword v50, v2, s[2:3]
	global_store_dword v50, v3, s[2:3] offset:256
	global_store_dword v50, v4, s[2:3] offset:512
	;; [unrolled: 1-line block ×3, first 2 shown]
	v_cvt_f32_i32_e32 v2, v8
	v_cvt_f32_i32_e32 v3, v9
	;; [unrolled: 1-line block ×4, first 2 shown]
	global_store_dword v50, v2, s[2:3] offset:1024
	global_store_dword v50, v3, s[2:3] offset:1280
	;; [unrolled: 1-line block ×4, first 2 shown]
	v_cvt_f32_i32_e32 v2, v12
	v_cvt_f32_i32_e32 v3, v13
	s_waitcnt lgkmcnt(13)
	v_cvt_f32_i32_e32 v4, v14
	s_waitcnt lgkmcnt(12)
	v_cvt_f32_i32_e32 v6, v15
	global_store_dword v50, v2, s[2:3] offset:2048
	global_store_dword v50, v3, s[2:3] offset:2304
	;; [unrolled: 1-line block ×4, first 2 shown]
	s_waitcnt lgkmcnt(11)
	v_cvt_f32_i32_e32 v2, v16
	s_waitcnt lgkmcnt(10)
	v_cvt_f32_i32_e32 v3, v17
	;; [unrolled: 2-line block ×4, first 2 shown]
	global_store_dword v50, v2, s[2:3] offset:3072
	global_store_dword v50, v3, s[2:3] offset:3328
	;; [unrolled: 1-line block ×4, first 2 shown]
	s_waitcnt lgkmcnt(7)
	v_cvt_f32_i32_e32 v4, v20
	s_movk_i32 s4, 0x1000
	s_waitcnt lgkmcnt(6)
	v_cvt_f32_i32_e32 v6, v21
	s_waitcnt lgkmcnt(5)
	v_cvt_f32_i32_e32 v7, v22
	v_add_co_u32_e32 v2, vcc, s4, v27
	v_addc_co_u32_e32 v3, vcc, 0, v28, vcc
	global_store_dword v[2:3], v4, off
	global_store_dword v[2:3], v6, off offset:256
	global_store_dword v[2:3], v7, off offset:512
	s_waitcnt lgkmcnt(4)
	v_cvt_f32_i32_e32 v4, v23
	s_waitcnt lgkmcnt(3)
	v_cvt_f32_i32_e32 v6, v24
	;; [unrolled: 2-line block ×3, first 2 shown]
	v_mov_b32_e32 v1, 0
	s_waitcnt lgkmcnt(1)
	v_cvt_f32_i32_e32 v8, v26
	s_or_b64 s[0:1], s[0:1], exec
	global_store_dword v[2:3], v4, off offset:768
	global_store_dword v[2:3], v6, off offset:1024
	;; [unrolled: 1-line block ×4, first 2 shown]
.LBB109_285:
	s_and_saveexec_b64 s[4:5], s[0:1]
	s_cbranch_execz .LBB109_287
; %bb.286:
	v_lshlrev_b64 v[0:1], 2, v[0:1]
	v_mov_b32_e32 v2, s3
	v_add_co_u32_e32 v0, vcc, s2, v0
	v_addc_co_u32_e32 v1, vcc, v2, v1, vcc
	s_waitcnt lgkmcnt(0)
	v_cvt_f32_i32_sdwa v2, sext(v5) dst_sel:DWORD dst_unused:UNUSED_PAD src0_sel:WORD_0
	v_add_co_u32_e32 v0, vcc, 0x1000, v0
	v_addc_co_u32_e32 v1, vcc, 0, v1, vcc
	global_store_dword v[0:1], v2, off offset:1792
	s_endpgm
.LBB109_287:
	s_endpgm
	.section	.rodata,"a",@progbits
	.p2align	6, 0x0
	.amdhsa_kernel _ZN7rocprim6detail25device_scan_by_key_kernelILNS0_25lookback_scan_determinismE0ELb1ENS0_26wrapped_scan_by_key_configINS_14default_configEisEEPiN6hipcub22TransformInputIteratorIsNS7_6CastOpIsEEPslEEPfsNS7_8EqualityENS7_3MaxENS0_19lookback_scan_stateINS_5tupleIJsbEEELb0ELb1EEEsEEvT2_T3_T4_T5_T6_T7_T8_mmmPKNSH_IJT9_bEEE
		.amdhsa_group_segment_fixed_size 6656
		.amdhsa_private_segment_fixed_size 0
		.amdhsa_kernarg_size 80
		.amdhsa_user_sgpr_count 6
		.amdhsa_user_sgpr_private_segment_buffer 1
		.amdhsa_user_sgpr_dispatch_ptr 0
		.amdhsa_user_sgpr_queue_ptr 0
		.amdhsa_user_sgpr_kernarg_segment_ptr 1
		.amdhsa_user_sgpr_dispatch_id 0
		.amdhsa_user_sgpr_flat_scratch_init 0
		.amdhsa_user_sgpr_kernarg_preload_length 0
		.amdhsa_user_sgpr_kernarg_preload_offset 0
		.amdhsa_user_sgpr_private_segment_size 0
		.amdhsa_uses_dynamic_stack 0
		.amdhsa_system_sgpr_private_segment_wavefront_offset 0
		.amdhsa_system_sgpr_workgroup_id_x 1
		.amdhsa_system_sgpr_workgroup_id_y 0
		.amdhsa_system_sgpr_workgroup_id_z 0
		.amdhsa_system_sgpr_workgroup_info 0
		.amdhsa_system_vgpr_workitem_id 0
		.amdhsa_next_free_vgpr 57
		.amdhsa_next_free_sgpr 76
		.amdhsa_accum_offset 60
		.amdhsa_reserve_vcc 1
		.amdhsa_reserve_flat_scratch 0
		.amdhsa_float_round_mode_32 0
		.amdhsa_float_round_mode_16_64 0
		.amdhsa_float_denorm_mode_32 3
		.amdhsa_float_denorm_mode_16_64 3
		.amdhsa_dx10_clamp 1
		.amdhsa_ieee_mode 1
		.amdhsa_fp16_overflow 0
		.amdhsa_tg_split 0
		.amdhsa_exception_fp_ieee_invalid_op 0
		.amdhsa_exception_fp_denorm_src 0
		.amdhsa_exception_fp_ieee_div_zero 0
		.amdhsa_exception_fp_ieee_overflow 0
		.amdhsa_exception_fp_ieee_underflow 0
		.amdhsa_exception_fp_ieee_inexact 0
		.amdhsa_exception_int_div_zero 0
	.end_amdhsa_kernel
	.section	.text._ZN7rocprim6detail25device_scan_by_key_kernelILNS0_25lookback_scan_determinismE0ELb1ENS0_26wrapped_scan_by_key_configINS_14default_configEisEEPiN6hipcub22TransformInputIteratorIsNS7_6CastOpIsEEPslEEPfsNS7_8EqualityENS7_3MaxENS0_19lookback_scan_stateINS_5tupleIJsbEEELb0ELb1EEEsEEvT2_T3_T4_T5_T6_T7_T8_mmmPKNSH_IJT9_bEEE,"axG",@progbits,_ZN7rocprim6detail25device_scan_by_key_kernelILNS0_25lookback_scan_determinismE0ELb1ENS0_26wrapped_scan_by_key_configINS_14default_configEisEEPiN6hipcub22TransformInputIteratorIsNS7_6CastOpIsEEPslEEPfsNS7_8EqualityENS7_3MaxENS0_19lookback_scan_stateINS_5tupleIJsbEEELb0ELb1EEEsEEvT2_T3_T4_T5_T6_T7_T8_mmmPKNSH_IJT9_bEEE,comdat
.Lfunc_end109:
	.size	_ZN7rocprim6detail25device_scan_by_key_kernelILNS0_25lookback_scan_determinismE0ELb1ENS0_26wrapped_scan_by_key_configINS_14default_configEisEEPiN6hipcub22TransformInputIteratorIsNS7_6CastOpIsEEPslEEPfsNS7_8EqualityENS7_3MaxENS0_19lookback_scan_stateINS_5tupleIJsbEEELb0ELb1EEEsEEvT2_T3_T4_T5_T6_T7_T8_mmmPKNSH_IJT9_bEEE, .Lfunc_end109-_ZN7rocprim6detail25device_scan_by_key_kernelILNS0_25lookback_scan_determinismE0ELb1ENS0_26wrapped_scan_by_key_configINS_14default_configEisEEPiN6hipcub22TransformInputIteratorIsNS7_6CastOpIsEEPslEEPfsNS7_8EqualityENS7_3MaxENS0_19lookback_scan_stateINS_5tupleIJsbEEELb0ELb1EEEsEEvT2_T3_T4_T5_T6_T7_T8_mmmPKNSH_IJT9_bEEE
                                        ; -- End function
	.section	.AMDGPU.csdata,"",@progbits
; Kernel info:
; codeLenInByte = 15364
; NumSgprs: 80
; NumVgprs: 57
; NumAgprs: 0
; TotalNumVgprs: 57
; ScratchSize: 0
; MemoryBound: 0
; FloatMode: 240
; IeeeMode: 1
; LDSByteSize: 6656 bytes/workgroup (compile time only)
; SGPRBlocks: 9
; VGPRBlocks: 7
; NumSGPRsForWavesPerEU: 80
; NumVGPRsForWavesPerEU: 57
; AccumOffset: 60
; Occupancy: 3
; WaveLimiterHint : 1
; COMPUTE_PGM_RSRC2:SCRATCH_EN: 0
; COMPUTE_PGM_RSRC2:USER_SGPR: 6
; COMPUTE_PGM_RSRC2:TRAP_HANDLER: 0
; COMPUTE_PGM_RSRC2:TGID_X_EN: 1
; COMPUTE_PGM_RSRC2:TGID_Y_EN: 0
; COMPUTE_PGM_RSRC2:TGID_Z_EN: 0
; COMPUTE_PGM_RSRC2:TIDIG_COMP_CNT: 0
; COMPUTE_PGM_RSRC3_GFX90A:ACCUM_OFFSET: 14
; COMPUTE_PGM_RSRC3_GFX90A:TG_SPLIT: 0
	.section	.text._ZN7rocprim6detail25device_scan_by_key_kernelILNS0_25lookback_scan_determinismE0ELb1ENS0_26wrapped_scan_by_key_configINS_14default_configEimEEPiN6hipcub22TransformInputIteratorImNS7_6CastOpImEEPmlEESB_mNS7_8EqualityENS7_3SumENS0_19lookback_scan_stateINS_5tupleIJmbEEELb1ELb0EEEmEEvT2_T3_T4_T5_T6_T7_T8_mmmPKNSG_IJT9_bEEE,"axG",@progbits,_ZN7rocprim6detail25device_scan_by_key_kernelILNS0_25lookback_scan_determinismE0ELb1ENS0_26wrapped_scan_by_key_configINS_14default_configEimEEPiN6hipcub22TransformInputIteratorImNS7_6CastOpImEEPmlEESB_mNS7_8EqualityENS7_3SumENS0_19lookback_scan_stateINS_5tupleIJmbEEELb1ELb0EEEmEEvT2_T3_T4_T5_T6_T7_T8_mmmPKNSG_IJT9_bEEE,comdat
	.protected	_ZN7rocprim6detail25device_scan_by_key_kernelILNS0_25lookback_scan_determinismE0ELb1ENS0_26wrapped_scan_by_key_configINS_14default_configEimEEPiN6hipcub22TransformInputIteratorImNS7_6CastOpImEEPmlEESB_mNS7_8EqualityENS7_3SumENS0_19lookback_scan_stateINS_5tupleIJmbEEELb1ELb0EEEmEEvT2_T3_T4_T5_T6_T7_T8_mmmPKNSG_IJT9_bEEE ; -- Begin function _ZN7rocprim6detail25device_scan_by_key_kernelILNS0_25lookback_scan_determinismE0ELb1ENS0_26wrapped_scan_by_key_configINS_14default_configEimEEPiN6hipcub22TransformInputIteratorImNS7_6CastOpImEEPmlEESB_mNS7_8EqualityENS7_3SumENS0_19lookback_scan_stateINS_5tupleIJmbEEELb1ELb0EEEmEEvT2_T3_T4_T5_T6_T7_T8_mmmPKNSG_IJT9_bEEE
	.globl	_ZN7rocprim6detail25device_scan_by_key_kernelILNS0_25lookback_scan_determinismE0ELb1ENS0_26wrapped_scan_by_key_configINS_14default_configEimEEPiN6hipcub22TransformInputIteratorImNS7_6CastOpImEEPmlEESB_mNS7_8EqualityENS7_3SumENS0_19lookback_scan_stateINS_5tupleIJmbEEELb1ELb0EEEmEEvT2_T3_T4_T5_T6_T7_T8_mmmPKNSG_IJT9_bEEE
	.p2align	8
	.type	_ZN7rocprim6detail25device_scan_by_key_kernelILNS0_25lookback_scan_determinismE0ELb1ENS0_26wrapped_scan_by_key_configINS_14default_configEimEEPiN6hipcub22TransformInputIteratorImNS7_6CastOpImEEPmlEESB_mNS7_8EqualityENS7_3SumENS0_19lookback_scan_stateINS_5tupleIJmbEEELb1ELb0EEEmEEvT2_T3_T4_T5_T6_T7_T8_mmmPKNSG_IJT9_bEEE,@function
_ZN7rocprim6detail25device_scan_by_key_kernelILNS0_25lookback_scan_determinismE0ELb1ENS0_26wrapped_scan_by_key_configINS_14default_configEimEEPiN6hipcub22TransformInputIteratorImNS7_6CastOpImEEPmlEESB_mNS7_8EqualityENS7_3SumENS0_19lookback_scan_stateINS_5tupleIJmbEEELb1ELb0EEEmEEvT2_T3_T4_T5_T6_T7_T8_mmmPKNSG_IJT9_bEEE: ; @_ZN7rocprim6detail25device_scan_by_key_kernelILNS0_25lookback_scan_determinismE0ELb1ENS0_26wrapped_scan_by_key_configINS_14default_configEimEEPiN6hipcub22TransformInputIteratorImNS7_6CastOpImEEPmlEESB_mNS7_8EqualityENS7_3SumENS0_19lookback_scan_stateINS_5tupleIJmbEEELb1ELb0EEEmEEvT2_T3_T4_T5_T6_T7_T8_mmmPKNSG_IJT9_bEEE
; %bb.0:
	s_endpgm
	.section	.rodata,"a",@progbits
	.p2align	6, 0x0
	.amdhsa_kernel _ZN7rocprim6detail25device_scan_by_key_kernelILNS0_25lookback_scan_determinismE0ELb1ENS0_26wrapped_scan_by_key_configINS_14default_configEimEEPiN6hipcub22TransformInputIteratorImNS7_6CastOpImEEPmlEESB_mNS7_8EqualityENS7_3SumENS0_19lookback_scan_stateINS_5tupleIJmbEEELb1ELb0EEEmEEvT2_T3_T4_T5_T6_T7_T8_mmmPKNSG_IJT9_bEEE
		.amdhsa_group_segment_fixed_size 0
		.amdhsa_private_segment_fixed_size 0
		.amdhsa_kernarg_size 104
		.amdhsa_user_sgpr_count 6
		.amdhsa_user_sgpr_private_segment_buffer 1
		.amdhsa_user_sgpr_dispatch_ptr 0
		.amdhsa_user_sgpr_queue_ptr 0
		.amdhsa_user_sgpr_kernarg_segment_ptr 1
		.amdhsa_user_sgpr_dispatch_id 0
		.amdhsa_user_sgpr_flat_scratch_init 0
		.amdhsa_user_sgpr_kernarg_preload_length 0
		.amdhsa_user_sgpr_kernarg_preload_offset 0
		.amdhsa_user_sgpr_private_segment_size 0
		.amdhsa_uses_dynamic_stack 0
		.amdhsa_system_sgpr_private_segment_wavefront_offset 0
		.amdhsa_system_sgpr_workgroup_id_x 1
		.amdhsa_system_sgpr_workgroup_id_y 0
		.amdhsa_system_sgpr_workgroup_id_z 0
		.amdhsa_system_sgpr_workgroup_info 0
		.amdhsa_system_vgpr_workitem_id 0
		.amdhsa_next_free_vgpr 1
		.amdhsa_next_free_sgpr 0
		.amdhsa_accum_offset 4
		.amdhsa_reserve_vcc 0
		.amdhsa_reserve_flat_scratch 0
		.amdhsa_float_round_mode_32 0
		.amdhsa_float_round_mode_16_64 0
		.amdhsa_float_denorm_mode_32 3
		.amdhsa_float_denorm_mode_16_64 3
		.amdhsa_dx10_clamp 1
		.amdhsa_ieee_mode 1
		.amdhsa_fp16_overflow 0
		.amdhsa_tg_split 0
		.amdhsa_exception_fp_ieee_invalid_op 0
		.amdhsa_exception_fp_denorm_src 0
		.amdhsa_exception_fp_ieee_div_zero 0
		.amdhsa_exception_fp_ieee_overflow 0
		.amdhsa_exception_fp_ieee_underflow 0
		.amdhsa_exception_fp_ieee_inexact 0
		.amdhsa_exception_int_div_zero 0
	.end_amdhsa_kernel
	.section	.text._ZN7rocprim6detail25device_scan_by_key_kernelILNS0_25lookback_scan_determinismE0ELb1ENS0_26wrapped_scan_by_key_configINS_14default_configEimEEPiN6hipcub22TransformInputIteratorImNS7_6CastOpImEEPmlEESB_mNS7_8EqualityENS7_3SumENS0_19lookback_scan_stateINS_5tupleIJmbEEELb1ELb0EEEmEEvT2_T3_T4_T5_T6_T7_T8_mmmPKNSG_IJT9_bEEE,"axG",@progbits,_ZN7rocprim6detail25device_scan_by_key_kernelILNS0_25lookback_scan_determinismE0ELb1ENS0_26wrapped_scan_by_key_configINS_14default_configEimEEPiN6hipcub22TransformInputIteratorImNS7_6CastOpImEEPmlEESB_mNS7_8EqualityENS7_3SumENS0_19lookback_scan_stateINS_5tupleIJmbEEELb1ELb0EEEmEEvT2_T3_T4_T5_T6_T7_T8_mmmPKNSG_IJT9_bEEE,comdat
.Lfunc_end110:
	.size	_ZN7rocprim6detail25device_scan_by_key_kernelILNS0_25lookback_scan_determinismE0ELb1ENS0_26wrapped_scan_by_key_configINS_14default_configEimEEPiN6hipcub22TransformInputIteratorImNS7_6CastOpImEEPmlEESB_mNS7_8EqualityENS7_3SumENS0_19lookback_scan_stateINS_5tupleIJmbEEELb1ELb0EEEmEEvT2_T3_T4_T5_T6_T7_T8_mmmPKNSG_IJT9_bEEE, .Lfunc_end110-_ZN7rocprim6detail25device_scan_by_key_kernelILNS0_25lookback_scan_determinismE0ELb1ENS0_26wrapped_scan_by_key_configINS_14default_configEimEEPiN6hipcub22TransformInputIteratorImNS7_6CastOpImEEPmlEESB_mNS7_8EqualityENS7_3SumENS0_19lookback_scan_stateINS_5tupleIJmbEEELb1ELb0EEEmEEvT2_T3_T4_T5_T6_T7_T8_mmmPKNSG_IJT9_bEEE
                                        ; -- End function
	.section	.AMDGPU.csdata,"",@progbits
; Kernel info:
; codeLenInByte = 4
; NumSgprs: 4
; NumVgprs: 0
; NumAgprs: 0
; TotalNumVgprs: 0
; ScratchSize: 0
; MemoryBound: 0
; FloatMode: 240
; IeeeMode: 1
; LDSByteSize: 0 bytes/workgroup (compile time only)
; SGPRBlocks: 0
; VGPRBlocks: 0
; NumSGPRsForWavesPerEU: 4
; NumVGPRsForWavesPerEU: 1
; AccumOffset: 4
; Occupancy: 8
; WaveLimiterHint : 0
; COMPUTE_PGM_RSRC2:SCRATCH_EN: 0
; COMPUTE_PGM_RSRC2:USER_SGPR: 6
; COMPUTE_PGM_RSRC2:TRAP_HANDLER: 0
; COMPUTE_PGM_RSRC2:TGID_X_EN: 1
; COMPUTE_PGM_RSRC2:TGID_Y_EN: 0
; COMPUTE_PGM_RSRC2:TGID_Z_EN: 0
; COMPUTE_PGM_RSRC2:TIDIG_COMP_CNT: 0
; COMPUTE_PGM_RSRC3_GFX90A:ACCUM_OFFSET: 0
; COMPUTE_PGM_RSRC3_GFX90A:TG_SPLIT: 0
	.section	.text._ZN7rocprim6detail25device_scan_by_key_kernelILNS0_25lookback_scan_determinismE0ELb1ENS0_26wrapped_scan_by_key_configINS_14default_configEimEEPiN6hipcub22TransformInputIteratorImNS7_6CastOpImEEPmlEESB_mNS7_8EqualityENS7_3SumENS0_19lookback_scan_stateINS_5tupleIJmbEEELb0ELb0EEEmEEvT2_T3_T4_T5_T6_T7_T8_mmmPKNSG_IJT9_bEEE,"axG",@progbits,_ZN7rocprim6detail25device_scan_by_key_kernelILNS0_25lookback_scan_determinismE0ELb1ENS0_26wrapped_scan_by_key_configINS_14default_configEimEEPiN6hipcub22TransformInputIteratorImNS7_6CastOpImEEPmlEESB_mNS7_8EqualityENS7_3SumENS0_19lookback_scan_stateINS_5tupleIJmbEEELb0ELb0EEEmEEvT2_T3_T4_T5_T6_T7_T8_mmmPKNSG_IJT9_bEEE,comdat
	.protected	_ZN7rocprim6detail25device_scan_by_key_kernelILNS0_25lookback_scan_determinismE0ELb1ENS0_26wrapped_scan_by_key_configINS_14default_configEimEEPiN6hipcub22TransformInputIteratorImNS7_6CastOpImEEPmlEESB_mNS7_8EqualityENS7_3SumENS0_19lookback_scan_stateINS_5tupleIJmbEEELb0ELb0EEEmEEvT2_T3_T4_T5_T6_T7_T8_mmmPKNSG_IJT9_bEEE ; -- Begin function _ZN7rocprim6detail25device_scan_by_key_kernelILNS0_25lookback_scan_determinismE0ELb1ENS0_26wrapped_scan_by_key_configINS_14default_configEimEEPiN6hipcub22TransformInputIteratorImNS7_6CastOpImEEPmlEESB_mNS7_8EqualityENS7_3SumENS0_19lookback_scan_stateINS_5tupleIJmbEEELb0ELb0EEEmEEvT2_T3_T4_T5_T6_T7_T8_mmmPKNSG_IJT9_bEEE
	.globl	_ZN7rocprim6detail25device_scan_by_key_kernelILNS0_25lookback_scan_determinismE0ELb1ENS0_26wrapped_scan_by_key_configINS_14default_configEimEEPiN6hipcub22TransformInputIteratorImNS7_6CastOpImEEPmlEESB_mNS7_8EqualityENS7_3SumENS0_19lookback_scan_stateINS_5tupleIJmbEEELb0ELb0EEEmEEvT2_T3_T4_T5_T6_T7_T8_mmmPKNSG_IJT9_bEEE
	.p2align	8
	.type	_ZN7rocprim6detail25device_scan_by_key_kernelILNS0_25lookback_scan_determinismE0ELb1ENS0_26wrapped_scan_by_key_configINS_14default_configEimEEPiN6hipcub22TransformInputIteratorImNS7_6CastOpImEEPmlEESB_mNS7_8EqualityENS7_3SumENS0_19lookback_scan_stateINS_5tupleIJmbEEELb0ELb0EEEmEEvT2_T3_T4_T5_T6_T7_T8_mmmPKNSG_IJT9_bEEE,@function
_ZN7rocprim6detail25device_scan_by_key_kernelILNS0_25lookback_scan_determinismE0ELb1ENS0_26wrapped_scan_by_key_configINS_14default_configEimEEPiN6hipcub22TransformInputIteratorImNS7_6CastOpImEEPmlEESB_mNS7_8EqualityENS7_3SumENS0_19lookback_scan_stateINS_5tupleIJmbEEELb0ELb0EEEmEEvT2_T3_T4_T5_T6_T7_T8_mmmPKNSG_IJT9_bEEE: ; @_ZN7rocprim6detail25device_scan_by_key_kernelILNS0_25lookback_scan_determinismE0ELb1ENS0_26wrapped_scan_by_key_configINS_14default_configEimEEPiN6hipcub22TransformInputIteratorImNS7_6CastOpImEEPmlEESB_mNS7_8EqualityENS7_3SumENS0_19lookback_scan_stateINS_5tupleIJmbEEELb0ELb0EEEmEEvT2_T3_T4_T5_T6_T7_T8_mmmPKNSG_IJT9_bEEE
; %bb.0:
	s_load_dwordx4 s[0:3], s[4:5], 0x0
	s_load_dwordx4 s[56:59], s[4:5], 0x18
	s_load_dwordx8 s[48:55], s[4:5], 0x30
	s_load_dwordx2 s[62:63], s[4:5], 0x60
	s_load_dwordx4 s[8:11], s[4:5], 0x50
	s_mul_i32 s4, s6, 0x540
	s_mov_b32 s5, 0
	s_lshl_b64 s[12:13], s[4:5], 2
	s_waitcnt lgkmcnt(0)
	s_add_u32 s66, s0, s12
	s_addc_u32 s67, s1, s13
	s_lshl_b64 s[60:61], s[4:5], 3
	s_add_u32 s64, s2, s60
	s_addc_u32 s65, s3, s61
	s_add_u32 s0, s6, s8
	s_addc_u32 s1, 0, s9
	s_add_u32 s4, s10, -1
	s_addc_u32 s5, s11, -1
	v_pk_mov_b32 v[2:3], s[4:5], s[4:5] op_sel:[0,1]
	v_cmp_ge_u64_e64 s[0:1], s[0:1], v[2:3]
	s_mov_b64 s[2:3], -1
	s_and_b64 vcc, exec, s[0:1]
	s_mul_i32 s33, s4, 0xfffffac0
	v_lshlrev_b32_e32 v84, 2, v0
	s_cbranch_vccz .LBB111_65
; %bb.1:
	s_load_dword s7, s[66:67], 0x0
	s_add_i32 s55, s33, s54
	v_mov_b32_e32 v1, s67
	v_add_co_u32_e32 v2, vcc, s66, v84
	v_addc_co_u32_e32 v3, vcc, 0, v1, vcc
	v_cmp_gt_u32_e64 s[2:3], s55, v0
	s_waitcnt lgkmcnt(0)
	v_mov_b32_e32 v1, s7
	s_and_saveexec_b64 s[4:5], s[2:3]
	s_cbranch_execz .LBB111_3
; %bb.2:
	global_load_dword v1, v[2:3], off
.LBB111_3:
	s_or_b64 exec, exec, s[4:5]
	v_or_b32_e32 v4, 64, v0
	v_cmp_gt_u32_e64 s[46:47], s55, v4
	v_mov_b32_e32 v4, s7
	s_and_saveexec_b64 s[4:5], s[46:47]
	s_cbranch_execz .LBB111_5
; %bb.4:
	global_load_dword v4, v[2:3], off offset:256
.LBB111_5:
	s_or_b64 exec, exec, s[4:5]
	v_or_b32_e32 v5, 0x80, v0
	v_cmp_gt_u32_e64 s[12:13], s55, v5
	v_mov_b32_e32 v5, s7
	s_and_saveexec_b64 s[4:5], s[12:13]
	s_cbranch_execz .LBB111_7
; %bb.6:
	global_load_dword v5, v[2:3], off offset:512
.LBB111_7:
	;; [unrolled: 9-line block ×15, first 2 shown]
	s_or_b64 exec, exec, s[4:5]
	v_or_b32_e32 v19, 0x400, v0
	v_cmp_gt_u32_e64 s[4:5], s55, v19
	v_mov_b32_e32 v19, s7
	s_and_saveexec_b64 s[10:11], s[4:5]
	s_cbranch_execz .LBB111_35
; %bb.34:
	v_add_co_u32_e32 v20, vcc, 0x1000, v2
	v_addc_co_u32_e32 v21, vcc, 0, v3, vcc
	global_load_dword v19, v[20:21], off
.LBB111_35:
	s_or_b64 exec, exec, s[10:11]
	v_or_b32_e32 v20, 0x440, v0
	v_cmp_gt_u32_e64 s[10:11], s55, v20
	v_mov_b32_e32 v20, s7
	s_and_saveexec_b64 s[16:17], s[10:11]
	s_cbranch_execz .LBB111_37
; %bb.36:
	v_add_co_u32_e32 v20, vcc, 0x1000, v2
	v_addc_co_u32_e32 v21, vcc, 0, v3, vcc
	global_load_dword v20, v[20:21], off offset:256
.LBB111_37:
	s_or_b64 exec, exec, s[16:17]
	v_or_b32_e32 v21, 0x480, v0
	v_cmp_gt_u32_e64 s[16:17], s55, v21
	v_mov_b32_e32 v21, s7
	s_and_saveexec_b64 s[22:23], s[16:17]
	s_cbranch_execz .LBB111_39
; %bb.38:
	v_add_co_u32_e32 v22, vcc, 0x1000, v2
	v_addc_co_u32_e32 v23, vcc, 0, v3, vcc
	global_load_dword v21, v[22:23], off offset:512
.LBB111_39:
	;; [unrolled: 11-line block ×4, first 2 shown]
	s_or_b64 exec, exec, s[68:69]
	s_movk_i32 s7, 0x50
	s_waitcnt vmcnt(0)
	ds_write2st64_b32 v84, v1, v4 offset1:1
	ds_write2st64_b32 v84, v5, v6 offset0:2 offset1:3
	ds_write2st64_b32 v84, v7, v8 offset0:4 offset1:5
	;; [unrolled: 1-line block ×9, first 2 shown]
	ds_write_b32 v84, v23 offset:5120
	v_mad_u32_u24 v1, v0, s7, v84
	s_waitcnt lgkmcnt(0)
	; wave barrier
	s_waitcnt lgkmcnt(0)
	ds_read_b32 v85, v1
	ds_read2_b32 v[24:25], v1 offset0:1 offset1:2
	ds_read2_b32 v[22:23], v1 offset0:3 offset1:4
	;; [unrolled: 1-line block ×10, first 2 shown]
	s_load_dword s7, s[66:67], 0x0
	s_movk_i32 s68, 0xffb0
	v_mad_i32_i24 v1, v0, s68, v1
	v_cmp_ne_u32_e32 vcc, 63, v0
	s_waitcnt lgkmcnt(0)
	ds_write_b32 v1, v85 offset:5632
	v_mov_b32_e32 v82, s7
	s_waitcnt lgkmcnt(0)
	; wave barrier
	s_waitcnt lgkmcnt(0)
	s_and_saveexec_b64 s[68:69], vcc
	s_cbranch_execz .LBB111_45
; %bb.44:
	ds_read_b32 v82, v84 offset:5636
.LBB111_45:
	s_or_b64 exec, exec, s[68:69]
	v_lshlrev_b32_e32 v2, 3, v0
	v_mov_b32_e32 v3, s65
	v_add_co_u32_e32 v4, vcc, s64, v2
	v_addc_co_u32_e32 v5, vcc, 0, v3, vcc
	s_waitcnt lgkmcnt(0)
	; wave barrier
	s_waitcnt lgkmcnt(0)
                                        ; implicit-def: $vgpr2_vgpr3
	s_and_saveexec_b64 s[68:69], s[2:3]
	s_cbranch_execz .LBB111_66
; %bb.46:
	global_load_dwordx2 v[2:3], v[4:5], off
	s_or_b64 exec, exec, s[68:69]
                                        ; implicit-def: $vgpr26_vgpr27
	s_and_saveexec_b64 s[2:3], s[46:47]
	s_cbranch_execnz .LBB111_67
.LBB111_47:
	s_or_b64 exec, exec, s[2:3]
                                        ; implicit-def: $vgpr28_vgpr29
	s_and_saveexec_b64 s[2:3], s[12:13]
	s_cbranch_execz .LBB111_68
.LBB111_48:
	global_load_dwordx2 v[28:29], v[4:5], off offset:1024
	s_or_b64 exec, exec, s[2:3]
                                        ; implicit-def: $vgpr30_vgpr31
	s_and_saveexec_b64 s[2:3], s[18:19]
	s_cbranch_execnz .LBB111_69
.LBB111_49:
	s_or_b64 exec, exec, s[2:3]
                                        ; implicit-def: $vgpr32_vgpr33
	s_and_saveexec_b64 s[2:3], s[26:27]
	s_cbranch_execz .LBB111_70
.LBB111_50:
	global_load_dwordx2 v[32:33], v[4:5], off offset:2048
	s_or_b64 exec, exec, s[2:3]
                                        ; implicit-def: $vgpr34_vgpr35
	s_and_saveexec_b64 s[2:3], s[30:31]
	s_cbranch_execnz .LBB111_71
.LBB111_51:
	s_or_b64 exec, exec, s[2:3]
                                        ; implicit-def: $vgpr36_vgpr37
	s_and_saveexec_b64 s[2:3], s[36:37]
	s_cbranch_execz .LBB111_72
.LBB111_52:
	global_load_dwordx2 v[36:37], v[4:5], off offset:3072
	s_or_b64 exec, exec, s[2:3]
                                        ; implicit-def: $vgpr38_vgpr39
	s_and_saveexec_b64 s[2:3], s[40:41]
	s_cbranch_execnz .LBB111_73
.LBB111_53:
	s_or_b64 exec, exec, s[2:3]
                                        ; implicit-def: $vgpr40_vgpr41
	s_and_saveexec_b64 s[2:3], s[44:45]
	s_cbranch_execz .LBB111_74
.LBB111_54:
	v_add_co_u32_e32 v40, vcc, 0x1000, v4
	v_addc_co_u32_e32 v41, vcc, 0, v5, vcc
	global_load_dwordx2 v[40:41], v[40:41], off
	s_or_b64 exec, exec, s[2:3]
                                        ; implicit-def: $vgpr42_vgpr43
	s_and_saveexec_b64 s[2:3], s[42:43]
	s_cbranch_execnz .LBB111_75
.LBB111_55:
	s_or_b64 exec, exec, s[2:3]
                                        ; implicit-def: $vgpr44_vgpr45
	s_and_saveexec_b64 s[2:3], s[38:39]
	s_cbranch_execz .LBB111_76
.LBB111_56:
	v_add_co_u32_e32 v44, vcc, 0x1000, v4
	v_addc_co_u32_e32 v45, vcc, 0, v5, vcc
	global_load_dwordx2 v[44:45], v[44:45], off offset:1024
	s_or_b64 exec, exec, s[2:3]
                                        ; implicit-def: $vgpr46_vgpr47
	s_and_saveexec_b64 s[2:3], s[34:35]
	s_cbranch_execnz .LBB111_77
.LBB111_57:
	s_or_b64 exec, exec, s[2:3]
                                        ; implicit-def: $vgpr48_vgpr49
	s_and_saveexec_b64 s[2:3], s[28:29]
	s_cbranch_execz .LBB111_78
.LBB111_58:
	v_add_co_u32_e32 v48, vcc, 0x1000, v4
	v_addc_co_u32_e32 v49, vcc, 0, v5, vcc
	global_load_dwordx2 v[48:49], v[48:49], off offset:2048
	s_or_b64 exec, exec, s[2:3]
                                        ; implicit-def: $vgpr50_vgpr51
	s_and_saveexec_b64 s[2:3], s[20:21]
	s_cbranch_execnz .LBB111_79
.LBB111_59:
	s_or_b64 exec, exec, s[2:3]
                                        ; implicit-def: $vgpr52_vgpr53
	s_and_saveexec_b64 s[2:3], s[14:15]
	s_cbranch_execz .LBB111_80
.LBB111_60:
	v_add_co_u32_e32 v52, vcc, 0x1000, v4
	v_addc_co_u32_e32 v53, vcc, 0, v5, vcc
	global_load_dwordx2 v[52:53], v[52:53], off offset:3072
	s_or_b64 exec, exec, s[2:3]
                                        ; implicit-def: $vgpr54_vgpr55
	s_and_saveexec_b64 s[2:3], s[8:9]
	s_cbranch_execnz .LBB111_81
.LBB111_61:
	s_or_b64 exec, exec, s[2:3]
                                        ; implicit-def: $vgpr56_vgpr57
	s_and_saveexec_b64 s[2:3], s[4:5]
	s_cbranch_execz .LBB111_82
.LBB111_62:
	v_add_co_u32_e32 v56, vcc, 0x2000, v4
	v_addc_co_u32_e32 v57, vcc, 0, v5, vcc
	global_load_dwordx2 v[56:57], v[56:57], off
	s_or_b64 exec, exec, s[2:3]
                                        ; implicit-def: $vgpr58_vgpr59
	s_and_saveexec_b64 s[2:3], s[10:11]
	s_cbranch_execnz .LBB111_83
.LBB111_63:
	s_or_b64 exec, exec, s[2:3]
                                        ; implicit-def: $vgpr60_vgpr61
	s_and_saveexec_b64 s[2:3], s[16:17]
	s_cbranch_execz .LBB111_84
.LBB111_64:
	v_add_co_u32_e32 v60, vcc, 0x2000, v4
	v_addc_co_u32_e32 v61, vcc, 0, v5, vcc
	global_load_dwordx2 v[60:61], v[60:61], off offset:1024
	s_or_b64 exec, exec, s[2:3]
                                        ; implicit-def: $vgpr62_vgpr63
	s_and_saveexec_b64 s[2:3], s[22:23]
	s_cbranch_execz .LBB111_86
	s_branch .LBB111_85
.LBB111_65:
	s_mov_b64 s[10:11], 0
                                        ; implicit-def: $sgpr8_sgpr9
                                        ; implicit-def: $vgpr2_vgpr3
                                        ; implicit-def: $vgpr42_vgpr43
                                        ; implicit-def: $vgpr108
                                        ; implicit-def: $vgpr44_vgpr45
                                        ; implicit-def: $vgpr124
                                        ; implicit-def: $vgpr80_vgpr81
                                        ; implicit-def: $vgpr123
                                        ; implicit-def: $vgpr78_vgpr79
                                        ; implicit-def: $vgpr122
                                        ; implicit-def: $vgpr76_vgpr77
                                        ; implicit-def: $vgpr121
                                        ; implicit-def: $vgpr74_vgpr75
                                        ; implicit-def: $vgpr120
                                        ; implicit-def: $vgpr72_vgpr73
                                        ; implicit-def: $vgpr119
                                        ; implicit-def: $vgpr70_vgpr71
                                        ; implicit-def: $vgpr118
                                        ; implicit-def: $vgpr68_vgpr69
                                        ; implicit-def: $vgpr117
                                        ; implicit-def: $vgpr66_vgpr67
                                        ; implicit-def: $vgpr116
                                        ; implicit-def: $vgpr64_vgpr65
                                        ; implicit-def: $vgpr115
                                        ; implicit-def: $vgpr62_vgpr63
                                        ; implicit-def: $vgpr114
                                        ; implicit-def: $vgpr60_vgpr61
                                        ; implicit-def: $vgpr113
                                        ; implicit-def: $vgpr58_vgpr59
                                        ; implicit-def: $vgpr112
                                        ; implicit-def: $vgpr56_vgpr57
                                        ; implicit-def: $vgpr111
                                        ; implicit-def: $vgpr54_vgpr55
                                        ; implicit-def: $vgpr110
                                        ; implicit-def: $vgpr52_vgpr53
                                        ; implicit-def: $vgpr109
                                        ; implicit-def: $vgpr50_vgpr51
                                        ; implicit-def: $vgpr107
                                        ; implicit-def: $vgpr48_vgpr49
                                        ; implicit-def: $vgpr106
                                        ; implicit-def: $vgpr46_vgpr47
                                        ; implicit-def: $vgpr1
                                        ; implicit-def: $sgpr7
                                        ; implicit-def: $sgpr4_sgpr5
	s_and_b64 vcc, exec, s[2:3]
	s_cbranch_vccz .LBB111_136
	s_branch .LBB111_131
.LBB111_66:
	s_or_b64 exec, exec, s[68:69]
                                        ; implicit-def: $vgpr26_vgpr27
	s_and_saveexec_b64 s[2:3], s[46:47]
	s_cbranch_execz .LBB111_47
.LBB111_67:
	global_load_dwordx2 v[26:27], v[4:5], off offset:512
	s_or_b64 exec, exec, s[2:3]
                                        ; implicit-def: $vgpr28_vgpr29
	s_and_saveexec_b64 s[2:3], s[12:13]
	s_cbranch_execnz .LBB111_48
.LBB111_68:
	s_or_b64 exec, exec, s[2:3]
                                        ; implicit-def: $vgpr30_vgpr31
	s_and_saveexec_b64 s[2:3], s[18:19]
	s_cbranch_execz .LBB111_49
.LBB111_69:
	global_load_dwordx2 v[30:31], v[4:5], off offset:1536
	s_or_b64 exec, exec, s[2:3]
                                        ; implicit-def: $vgpr32_vgpr33
	s_and_saveexec_b64 s[2:3], s[26:27]
	s_cbranch_execnz .LBB111_50
.LBB111_70:
	s_or_b64 exec, exec, s[2:3]
                                        ; implicit-def: $vgpr34_vgpr35
	s_and_saveexec_b64 s[2:3], s[30:31]
	s_cbranch_execz .LBB111_51
.LBB111_71:
	global_load_dwordx2 v[34:35], v[4:5], off offset:2560
	s_or_b64 exec, exec, s[2:3]
                                        ; implicit-def: $vgpr36_vgpr37
	s_and_saveexec_b64 s[2:3], s[36:37]
	s_cbranch_execnz .LBB111_52
.LBB111_72:
	s_or_b64 exec, exec, s[2:3]
                                        ; implicit-def: $vgpr38_vgpr39
	s_and_saveexec_b64 s[2:3], s[40:41]
	s_cbranch_execz .LBB111_53
.LBB111_73:
	global_load_dwordx2 v[38:39], v[4:5], off offset:3584
	s_or_b64 exec, exec, s[2:3]
                                        ; implicit-def: $vgpr40_vgpr41
	s_and_saveexec_b64 s[2:3], s[44:45]
	s_cbranch_execnz .LBB111_54
.LBB111_74:
	s_or_b64 exec, exec, s[2:3]
                                        ; implicit-def: $vgpr42_vgpr43
	s_and_saveexec_b64 s[2:3], s[42:43]
	s_cbranch_execz .LBB111_55
.LBB111_75:
	v_add_co_u32_e32 v42, vcc, 0x1000, v4
	v_addc_co_u32_e32 v43, vcc, 0, v5, vcc
	global_load_dwordx2 v[42:43], v[42:43], off offset:512
	s_or_b64 exec, exec, s[2:3]
                                        ; implicit-def: $vgpr44_vgpr45
	s_and_saveexec_b64 s[2:3], s[38:39]
	s_cbranch_execnz .LBB111_56
.LBB111_76:
	s_or_b64 exec, exec, s[2:3]
                                        ; implicit-def: $vgpr46_vgpr47
	s_and_saveexec_b64 s[2:3], s[34:35]
	s_cbranch_execz .LBB111_57
.LBB111_77:
	v_add_co_u32_e32 v46, vcc, 0x1000, v4
	v_addc_co_u32_e32 v47, vcc, 0, v5, vcc
	global_load_dwordx2 v[46:47], v[46:47], off offset:1536
	s_or_b64 exec, exec, s[2:3]
                                        ; implicit-def: $vgpr48_vgpr49
	s_and_saveexec_b64 s[2:3], s[28:29]
	s_cbranch_execnz .LBB111_58
.LBB111_78:
	s_or_b64 exec, exec, s[2:3]
                                        ; implicit-def: $vgpr50_vgpr51
	s_and_saveexec_b64 s[2:3], s[20:21]
	s_cbranch_execz .LBB111_59
.LBB111_79:
	v_add_co_u32_e32 v50, vcc, 0x1000, v4
	v_addc_co_u32_e32 v51, vcc, 0, v5, vcc
	global_load_dwordx2 v[50:51], v[50:51], off offset:2560
	s_or_b64 exec, exec, s[2:3]
                                        ; implicit-def: $vgpr52_vgpr53
	s_and_saveexec_b64 s[2:3], s[14:15]
	s_cbranch_execnz .LBB111_60
.LBB111_80:
	s_or_b64 exec, exec, s[2:3]
                                        ; implicit-def: $vgpr54_vgpr55
	s_and_saveexec_b64 s[2:3], s[8:9]
	s_cbranch_execz .LBB111_61
.LBB111_81:
	v_add_co_u32_e32 v54, vcc, 0x1000, v4
	v_addc_co_u32_e32 v55, vcc, 0, v5, vcc
	global_load_dwordx2 v[54:55], v[54:55], off offset:3584
	s_or_b64 exec, exec, s[2:3]
                                        ; implicit-def: $vgpr56_vgpr57
	s_and_saveexec_b64 s[2:3], s[4:5]
	s_cbranch_execnz .LBB111_62
.LBB111_82:
	s_or_b64 exec, exec, s[2:3]
                                        ; implicit-def: $vgpr58_vgpr59
	s_and_saveexec_b64 s[2:3], s[10:11]
	s_cbranch_execz .LBB111_63
.LBB111_83:
	v_add_co_u32_e32 v58, vcc, 0x2000, v4
	v_addc_co_u32_e32 v59, vcc, 0, v5, vcc
	global_load_dwordx2 v[58:59], v[58:59], off offset:512
	s_or_b64 exec, exec, s[2:3]
                                        ; implicit-def: $vgpr60_vgpr61
	s_and_saveexec_b64 s[2:3], s[16:17]
	s_cbranch_execnz .LBB111_64
.LBB111_84:
	s_or_b64 exec, exec, s[2:3]
                                        ; implicit-def: $vgpr62_vgpr63
	s_and_saveexec_b64 s[2:3], s[22:23]
	s_cbranch_execz .LBB111_86
.LBB111_85:
	v_add_co_u32_e32 v62, vcc, 0x2000, v4
	v_addc_co_u32_e32 v63, vcc, 0, v5, vcc
	global_load_dwordx2 v[62:63], v[62:63], off offset:1536
.LBB111_86:
	s_or_b64 exec, exec, s[2:3]
	v_mul_u32_u24_e32 v83, 21, v0
                                        ; implicit-def: $vgpr64_vgpr65
	s_and_saveexec_b64 s[2:3], s[24:25]
	s_cbranch_execz .LBB111_88
; %bb.87:
	v_add_co_u32_e32 v4, vcc, 0x2000, v4
	v_addc_co_u32_e32 v5, vcc, 0, v5, vcc
	global_load_dwordx2 v[64:65], v[4:5], off offset:2048
.LBB111_88:
	s_or_b64 exec, exec, s[2:3]
	v_lshl_add_u32 v4, v0, 2, v1
	s_waitcnt vmcnt(0)
	ds_write2st64_b64 v4, v[2:3], v[26:27] offset1:1
	ds_write2st64_b64 v4, v[28:29], v[30:31] offset0:2 offset1:3
	ds_write2st64_b64 v4, v[32:33], v[34:35] offset0:4 offset1:5
	;; [unrolled: 1-line block ×9, first 2 shown]
	ds_write_b64 v4, v[64:65] offset:10240
	v_pk_mov_b32 v[42:43], 0, 0
	v_cmp_gt_u32_e32 vcc, s55, v83
	s_mov_b64 s[10:11], 0
	s_mov_b32 s7, 0
	s_mov_b64 s[2:3], 0
	v_mov_b32_e32 v108, 0
	v_pk_mov_b32 v[44:45], v[42:43], v[42:43] op_sel:[0,1]
	v_mov_b32_e32 v124, 0
	v_pk_mov_b32 v[80:81], v[42:43], v[42:43] op_sel:[0,1]
	;; [unrolled: 2-line block ×19, first 2 shown]
	v_mov_b32_e32 v1, 0
	s_waitcnt lgkmcnt(0)
	; wave barrier
	s_waitcnt lgkmcnt(0)
                                        ; implicit-def: $sgpr8_sgpr9
                                        ; implicit-def: $vgpr2_vgpr3
	s_and_saveexec_b64 s[4:5], vcc
	s_cbranch_execz .LBB111_130
; %bb.89:
	s_movk_i32 s8, 0xa0
	v_mad_u32_u24 v1, v0, s8, v4
	ds_read_b64 v[2:3], v1
	v_cmp_ne_u32_e32 vcc, v85, v24
	v_mov_b32_e32 v26, s59
	v_add_u32_e32 v5, 1, v83
	v_pk_mov_b32 v[44:45], 0, 0
	s_waitcnt lgkmcnt(0)
	v_cndmask_b32_e32 v43, v3, v26, vcc
	v_mov_b32_e32 v3, s58
	v_cndmask_b32_e64 v1, 0, 1, vcc
	v_cndmask_b32_e32 v42, v2, v3, vcc
	v_cmp_gt_u32_e32 vcc, s55, v5
	s_mov_b64 s[12:13], 0
	v_mov_b32_e32 v108, 0
	v_mov_b32_e32 v124, 0
	v_pk_mov_b32 v[80:81], v[44:45], v[44:45] op_sel:[0,1]
	v_mov_b32_e32 v123, 0
	v_pk_mov_b32 v[78:79], v[44:45], v[44:45] op_sel:[0,1]
	;; [unrolled: 2-line block ×18, first 2 shown]
                                        ; implicit-def: $sgpr14_sgpr15
                                        ; implicit-def: $vgpr2_vgpr3
	s_and_saveexec_b64 s[8:9], vcc
	s_cbranch_execz .LBB111_129
; %bb.90:
	v_mul_u32_u24_e32 v2, 0xa0, v0
	v_add_u32_e32 v26, v4, v2
	ds_read2_b64 v[2:5], v26 offset0:1 offset1:2
	v_cmp_ne_u32_e32 vcc, v24, v25
	v_mov_b32_e32 v24, s59
	v_add_u32_e32 v27, 2, v83
	v_pk_mov_b32 v[44:45], 0, 0
	s_waitcnt lgkmcnt(0)
	v_cndmask_b32_e32 v47, v3, v24, vcc
	v_mov_b32_e32 v3, s58
	v_cndmask_b32_e64 v106, 0, 1, vcc
	v_cndmask_b32_e32 v46, v2, v3, vcc
	v_cmp_gt_u32_e32 vcc, s55, v27
	s_mov_b64 s[14:15], 0
	v_mov_b32_e32 v108, 0
	v_mov_b32_e32 v124, 0
	v_pk_mov_b32 v[80:81], v[44:45], v[44:45] op_sel:[0,1]
	v_mov_b32_e32 v123, 0
	v_pk_mov_b32 v[78:79], v[44:45], v[44:45] op_sel:[0,1]
	;; [unrolled: 2-line block ×17, first 2 shown]
                                        ; implicit-def: $sgpr16_sgpr17
                                        ; implicit-def: $vgpr2_vgpr3
	s_and_saveexec_b64 s[10:11], vcc
	s_cbranch_execz .LBB111_128
; %bb.91:
	v_cmp_ne_u32_e32 vcc, v25, v22
	v_mov_b32_e32 v3, s59
	v_add_u32_e32 v2, 3, v83
	v_cndmask_b32_e32 v49, v5, v3, vcc
	v_mov_b32_e32 v3, s58
	v_pk_mov_b32 v[44:45], 0, 0
	v_cndmask_b32_e64 v107, 0, 1, vcc
	v_cndmask_b32_e32 v48, v4, v3, vcc
	v_cmp_gt_u32_e32 vcc, s55, v2
	s_mov_b64 s[16:17], 0
	v_mov_b32_e32 v108, 0
	v_mov_b32_e32 v124, 0
	v_pk_mov_b32 v[80:81], v[44:45], v[44:45] op_sel:[0,1]
	v_mov_b32_e32 v123, 0
	v_pk_mov_b32 v[78:79], v[44:45], v[44:45] op_sel:[0,1]
	;; [unrolled: 2-line block ×16, first 2 shown]
                                        ; implicit-def: $sgpr18_sgpr19
                                        ; implicit-def: $vgpr2_vgpr3
	s_and_saveexec_b64 s[12:13], vcc
	s_cbranch_execz .LBB111_127
; %bb.92:
	ds_read2_b64 v[2:5], v26 offset0:3 offset1:4
	v_cmp_ne_u32_e32 vcc, v22, v23
	v_mov_b32_e32 v22, s59
	v_add_u32_e32 v24, 4, v83
	v_pk_mov_b32 v[44:45], 0, 0
	s_waitcnt lgkmcnt(0)
	v_cndmask_b32_e32 v51, v3, v22, vcc
	v_mov_b32_e32 v3, s58
	v_cndmask_b32_e64 v109, 0, 1, vcc
	v_cndmask_b32_e32 v50, v2, v3, vcc
	v_cmp_gt_u32_e32 vcc, s55, v24
	s_mov_b64 s[18:19], 0
	v_mov_b32_e32 v108, 0
	v_mov_b32_e32 v124, 0
	v_pk_mov_b32 v[80:81], v[44:45], v[44:45] op_sel:[0,1]
	v_mov_b32_e32 v123, 0
	v_pk_mov_b32 v[78:79], v[44:45], v[44:45] op_sel:[0,1]
	;; [unrolled: 2-line block ×15, first 2 shown]
                                        ; implicit-def: $sgpr20_sgpr21
                                        ; implicit-def: $vgpr2_vgpr3
	s_and_saveexec_b64 s[14:15], vcc
	s_cbranch_execz .LBB111_126
; %bb.93:
	v_cmp_ne_u32_e32 vcc, v23, v20
	v_mov_b32_e32 v3, s59
	v_add_u32_e32 v2, 5, v83
	v_cndmask_b32_e32 v53, v5, v3, vcc
	v_mov_b32_e32 v3, s58
	v_pk_mov_b32 v[44:45], 0, 0
	v_cndmask_b32_e64 v110, 0, 1, vcc
	v_cndmask_b32_e32 v52, v4, v3, vcc
	v_cmp_gt_u32_e32 vcc, s55, v2
	s_mov_b64 s[20:21], 0
	v_mov_b32_e32 v108, 0
	v_mov_b32_e32 v124, 0
	v_pk_mov_b32 v[80:81], v[44:45], v[44:45] op_sel:[0,1]
	v_mov_b32_e32 v123, 0
	v_pk_mov_b32 v[78:79], v[44:45], v[44:45] op_sel:[0,1]
	;; [unrolled: 2-line block ×14, first 2 shown]
                                        ; implicit-def: $sgpr22_sgpr23
                                        ; implicit-def: $vgpr2_vgpr3
	s_and_saveexec_b64 s[16:17], vcc
	s_cbranch_execz .LBB111_125
; %bb.94:
	ds_read2_b64 v[2:5], v26 offset0:5 offset1:6
	v_cmp_ne_u32_e32 vcc, v20, v21
	v_mov_b32_e32 v20, s59
	v_add_u32_e32 v22, 6, v83
	v_pk_mov_b32 v[44:45], 0, 0
	s_waitcnt lgkmcnt(0)
	v_cndmask_b32_e32 v55, v3, v20, vcc
	v_mov_b32_e32 v3, s58
	v_cndmask_b32_e64 v111, 0, 1, vcc
	v_cndmask_b32_e32 v54, v2, v3, vcc
	v_cmp_gt_u32_e32 vcc, s55, v22
	s_mov_b64 s[22:23], 0
	v_mov_b32_e32 v108, 0
	v_mov_b32_e32 v124, 0
	v_pk_mov_b32 v[80:81], v[44:45], v[44:45] op_sel:[0,1]
	v_mov_b32_e32 v123, 0
	v_pk_mov_b32 v[78:79], v[44:45], v[44:45] op_sel:[0,1]
	;; [unrolled: 2-line block ×13, first 2 shown]
                                        ; implicit-def: $sgpr24_sgpr25
                                        ; implicit-def: $vgpr2_vgpr3
	s_and_saveexec_b64 s[18:19], vcc
	s_cbranch_execz .LBB111_124
; %bb.95:
	v_cmp_ne_u32_e32 vcc, v21, v18
	v_mov_b32_e32 v3, s59
	v_add_u32_e32 v2, 7, v83
	v_cndmask_b32_e32 v57, v5, v3, vcc
	v_mov_b32_e32 v3, s58
	v_pk_mov_b32 v[44:45], 0, 0
	v_cndmask_b32_e64 v112, 0, 1, vcc
	v_cndmask_b32_e32 v56, v4, v3, vcc
	v_cmp_gt_u32_e32 vcc, s55, v2
	s_mov_b64 s[24:25], 0
	v_mov_b32_e32 v108, 0
	v_mov_b32_e32 v124, 0
	v_pk_mov_b32 v[80:81], v[44:45], v[44:45] op_sel:[0,1]
	v_mov_b32_e32 v123, 0
	v_pk_mov_b32 v[78:79], v[44:45], v[44:45] op_sel:[0,1]
	;; [unrolled: 2-line block ×12, first 2 shown]
                                        ; implicit-def: $sgpr26_sgpr27
                                        ; implicit-def: $vgpr2_vgpr3
	s_and_saveexec_b64 s[20:21], vcc
	s_cbranch_execz .LBB111_123
; %bb.96:
	ds_read2_b64 v[2:5], v26 offset0:7 offset1:8
	v_cmp_ne_u32_e32 vcc, v18, v19
	v_mov_b32_e32 v18, s59
	v_add_u32_e32 v20, 8, v83
	v_pk_mov_b32 v[44:45], 0, 0
	s_waitcnt lgkmcnt(0)
	v_cndmask_b32_e32 v59, v3, v18, vcc
	v_mov_b32_e32 v3, s58
	v_cndmask_b32_e64 v113, 0, 1, vcc
	v_cndmask_b32_e32 v58, v2, v3, vcc
	v_cmp_gt_u32_e32 vcc, s55, v20
	s_mov_b64 s[26:27], 0
	v_mov_b32_e32 v108, 0
	v_mov_b32_e32 v124, 0
	v_pk_mov_b32 v[80:81], v[44:45], v[44:45] op_sel:[0,1]
	v_mov_b32_e32 v123, 0
	v_pk_mov_b32 v[78:79], v[44:45], v[44:45] op_sel:[0,1]
	v_mov_b32_e32 v122, 0
	v_pk_mov_b32 v[76:77], v[44:45], v[44:45] op_sel:[0,1]
	v_mov_b32_e32 v121, 0
	v_pk_mov_b32 v[74:75], v[44:45], v[44:45] op_sel:[0,1]
	v_mov_b32_e32 v120, 0
	v_pk_mov_b32 v[72:73], v[44:45], v[44:45] op_sel:[0,1]
	v_mov_b32_e32 v119, 0
	v_pk_mov_b32 v[70:71], v[44:45], v[44:45] op_sel:[0,1]
	v_mov_b32_e32 v118, 0
	v_pk_mov_b32 v[68:69], v[44:45], v[44:45] op_sel:[0,1]
	v_mov_b32_e32 v117, 0
	v_pk_mov_b32 v[66:67], v[44:45], v[44:45] op_sel:[0,1]
	v_mov_b32_e32 v116, 0
	v_pk_mov_b32 v[64:65], v[44:45], v[44:45] op_sel:[0,1]
	v_mov_b32_e32 v115, 0
	v_pk_mov_b32 v[62:63], v[44:45], v[44:45] op_sel:[0,1]
	v_mov_b32_e32 v114, 0
	v_pk_mov_b32 v[60:61], v[44:45], v[44:45] op_sel:[0,1]
                                        ; implicit-def: $sgpr28_sgpr29
                                        ; implicit-def: $vgpr2_vgpr3
	s_and_saveexec_b64 s[22:23], vcc
	s_cbranch_execz .LBB111_122
; %bb.97:
	v_cmp_ne_u32_e32 vcc, v19, v16
	v_mov_b32_e32 v3, s59
	v_add_u32_e32 v2, 9, v83
	v_cndmask_b32_e32 v61, v5, v3, vcc
	v_mov_b32_e32 v3, s58
	v_pk_mov_b32 v[44:45], 0, 0
	v_cndmask_b32_e64 v114, 0, 1, vcc
	v_cndmask_b32_e32 v60, v4, v3, vcc
	v_cmp_gt_u32_e32 vcc, s55, v2
	s_mov_b64 s[28:29], 0
	v_mov_b32_e32 v108, 0
	v_mov_b32_e32 v124, 0
	v_pk_mov_b32 v[80:81], v[44:45], v[44:45] op_sel:[0,1]
	v_mov_b32_e32 v123, 0
	v_pk_mov_b32 v[78:79], v[44:45], v[44:45] op_sel:[0,1]
	;; [unrolled: 2-line block ×10, first 2 shown]
                                        ; implicit-def: $sgpr30_sgpr31
                                        ; implicit-def: $vgpr2_vgpr3
	s_and_saveexec_b64 s[24:25], vcc
	s_cbranch_execz .LBB111_121
; %bb.98:
	ds_read2_b64 v[2:5], v26 offset0:9 offset1:10
	v_cmp_ne_u32_e32 vcc, v16, v17
	v_mov_b32_e32 v16, s59
	v_add_u32_e32 v18, 10, v83
	v_pk_mov_b32 v[44:45], 0, 0
	s_waitcnt lgkmcnt(0)
	v_cndmask_b32_e32 v63, v3, v16, vcc
	v_mov_b32_e32 v3, s58
	v_cndmask_b32_e64 v115, 0, 1, vcc
	v_cndmask_b32_e32 v62, v2, v3, vcc
	v_cmp_gt_u32_e32 vcc, s55, v18
	s_mov_b64 s[30:31], 0
	v_mov_b32_e32 v108, 0
	v_mov_b32_e32 v124, 0
	v_pk_mov_b32 v[80:81], v[44:45], v[44:45] op_sel:[0,1]
	v_mov_b32_e32 v123, 0
	v_pk_mov_b32 v[78:79], v[44:45], v[44:45] op_sel:[0,1]
	;; [unrolled: 2-line block ×9, first 2 shown]
                                        ; implicit-def: $sgpr34_sgpr35
                                        ; implicit-def: $vgpr2_vgpr3
	s_and_saveexec_b64 s[26:27], vcc
	s_cbranch_execz .LBB111_120
; %bb.99:
	v_cmp_ne_u32_e32 vcc, v17, v14
	v_mov_b32_e32 v3, s59
	v_add_u32_e32 v2, 11, v83
	v_cndmask_b32_e32 v65, v5, v3, vcc
	v_mov_b32_e32 v3, s58
	v_pk_mov_b32 v[44:45], 0, 0
	v_cndmask_b32_e64 v116, 0, 1, vcc
	v_cndmask_b32_e32 v64, v4, v3, vcc
	v_cmp_gt_u32_e32 vcc, s55, v2
	s_mov_b64 s[34:35], 0
	v_mov_b32_e32 v108, 0
	v_mov_b32_e32 v124, 0
	v_pk_mov_b32 v[80:81], v[44:45], v[44:45] op_sel:[0,1]
	v_mov_b32_e32 v123, 0
	v_pk_mov_b32 v[78:79], v[44:45], v[44:45] op_sel:[0,1]
	;; [unrolled: 2-line block ×8, first 2 shown]
                                        ; implicit-def: $sgpr36_sgpr37
                                        ; implicit-def: $vgpr2_vgpr3
	s_and_saveexec_b64 s[28:29], vcc
	s_cbranch_execz .LBB111_119
; %bb.100:
	ds_read2_b64 v[2:5], v26 offset0:11 offset1:12
	v_cmp_ne_u32_e32 vcc, v14, v15
	v_mov_b32_e32 v14, s59
	v_add_u32_e32 v16, 12, v83
	v_pk_mov_b32 v[44:45], 0, 0
	s_waitcnt lgkmcnt(0)
	v_cndmask_b32_e32 v67, v3, v14, vcc
	v_mov_b32_e32 v3, s58
	v_cndmask_b32_e64 v117, 0, 1, vcc
	v_cndmask_b32_e32 v66, v2, v3, vcc
	v_cmp_gt_u32_e32 vcc, s55, v16
	s_mov_b64 s[36:37], 0
	v_mov_b32_e32 v108, 0
	v_mov_b32_e32 v124, 0
	v_pk_mov_b32 v[80:81], v[44:45], v[44:45] op_sel:[0,1]
	v_mov_b32_e32 v123, 0
	v_pk_mov_b32 v[78:79], v[44:45], v[44:45] op_sel:[0,1]
	;; [unrolled: 2-line block ×7, first 2 shown]
                                        ; implicit-def: $sgpr38_sgpr39
                                        ; implicit-def: $vgpr2_vgpr3
	s_and_saveexec_b64 s[30:31], vcc
	s_cbranch_execz .LBB111_118
; %bb.101:
	v_cmp_ne_u32_e32 vcc, v15, v12
	v_mov_b32_e32 v3, s59
	v_add_u32_e32 v2, 13, v83
	v_cndmask_b32_e32 v69, v5, v3, vcc
	v_mov_b32_e32 v3, s58
	v_pk_mov_b32 v[44:45], 0, 0
	v_cndmask_b32_e64 v118, 0, 1, vcc
	v_cndmask_b32_e32 v68, v4, v3, vcc
	v_cmp_gt_u32_e32 vcc, s55, v2
	s_mov_b64 s[38:39], 0
	v_mov_b32_e32 v108, 0
	v_mov_b32_e32 v124, 0
	v_pk_mov_b32 v[80:81], v[44:45], v[44:45] op_sel:[0,1]
	v_mov_b32_e32 v123, 0
	v_pk_mov_b32 v[78:79], v[44:45], v[44:45] op_sel:[0,1]
	;; [unrolled: 2-line block ×6, first 2 shown]
                                        ; implicit-def: $sgpr40_sgpr41
                                        ; implicit-def: $vgpr2_vgpr3
	s_and_saveexec_b64 s[34:35], vcc
	s_cbranch_execz .LBB111_117
; %bb.102:
	ds_read2_b64 v[2:5], v26 offset0:13 offset1:14
	v_cmp_ne_u32_e32 vcc, v12, v13
	v_mov_b32_e32 v12, s59
	v_add_u32_e32 v14, 14, v83
	v_pk_mov_b32 v[44:45], 0, 0
	s_waitcnt lgkmcnt(0)
	v_cndmask_b32_e32 v71, v3, v12, vcc
	v_mov_b32_e32 v3, s58
	v_cndmask_b32_e64 v119, 0, 1, vcc
	v_cndmask_b32_e32 v70, v2, v3, vcc
	v_cmp_gt_u32_e32 vcc, s55, v14
	s_mov_b64 s[40:41], 0
	v_mov_b32_e32 v108, 0
	v_mov_b32_e32 v124, 0
	v_pk_mov_b32 v[80:81], v[44:45], v[44:45] op_sel:[0,1]
	v_mov_b32_e32 v123, 0
	v_pk_mov_b32 v[78:79], v[44:45], v[44:45] op_sel:[0,1]
	;; [unrolled: 2-line block ×5, first 2 shown]
                                        ; implicit-def: $sgpr42_sgpr43
                                        ; implicit-def: $vgpr2_vgpr3
	s_and_saveexec_b64 s[36:37], vcc
	s_cbranch_execz .LBB111_116
; %bb.103:
	v_cmp_ne_u32_e32 vcc, v13, v10
	v_mov_b32_e32 v3, s59
	v_add_u32_e32 v2, 15, v83
	v_cndmask_b32_e32 v73, v5, v3, vcc
	v_mov_b32_e32 v3, s58
	v_pk_mov_b32 v[44:45], 0, 0
	v_cndmask_b32_e64 v120, 0, 1, vcc
	v_cndmask_b32_e32 v72, v4, v3, vcc
	v_cmp_gt_u32_e32 vcc, s55, v2
	s_mov_b64 s[42:43], 0
	v_mov_b32_e32 v108, 0
	v_mov_b32_e32 v124, 0
	v_pk_mov_b32 v[80:81], v[44:45], v[44:45] op_sel:[0,1]
	v_mov_b32_e32 v123, 0
	v_pk_mov_b32 v[78:79], v[44:45], v[44:45] op_sel:[0,1]
	;; [unrolled: 2-line block ×4, first 2 shown]
                                        ; implicit-def: $sgpr44_sgpr45
                                        ; implicit-def: $vgpr2_vgpr3
	s_and_saveexec_b64 s[38:39], vcc
	s_cbranch_execz .LBB111_115
; %bb.104:
	ds_read2_b64 v[2:5], v26 offset0:15 offset1:16
	v_cmp_ne_u32_e32 vcc, v10, v11
	v_mov_b32_e32 v10, s59
	v_add_u32_e32 v12, 16, v83
	v_pk_mov_b32 v[44:45], 0, 0
	s_waitcnt lgkmcnt(0)
	v_cndmask_b32_e32 v75, v3, v10, vcc
	v_mov_b32_e32 v3, s58
	v_cndmask_b32_e64 v121, 0, 1, vcc
	v_cndmask_b32_e32 v74, v2, v3, vcc
	v_cmp_gt_u32_e32 vcc, s55, v12
	s_mov_b64 s[44:45], 0
	v_mov_b32_e32 v108, 0
	v_mov_b32_e32 v124, 0
	v_pk_mov_b32 v[80:81], v[44:45], v[44:45] op_sel:[0,1]
	v_mov_b32_e32 v123, 0
	v_pk_mov_b32 v[78:79], v[44:45], v[44:45] op_sel:[0,1]
	;; [unrolled: 2-line block ×3, first 2 shown]
                                        ; implicit-def: $sgpr46_sgpr47
                                        ; implicit-def: $vgpr2_vgpr3
	s_and_saveexec_b64 s[40:41], vcc
	s_cbranch_execz .LBB111_114
; %bb.105:
	v_cmp_ne_u32_e32 vcc, v11, v8
	v_mov_b32_e32 v3, s59
	v_add_u32_e32 v2, 17, v83
	v_cndmask_b32_e32 v77, v5, v3, vcc
	v_mov_b32_e32 v3, s58
	v_pk_mov_b32 v[44:45], 0, 0
	v_cndmask_b32_e64 v122, 0, 1, vcc
	v_cndmask_b32_e32 v76, v4, v3, vcc
	v_cmp_gt_u32_e32 vcc, s55, v2
	s_mov_b64 s[46:47], 0
	v_mov_b32_e32 v108, 0
	v_mov_b32_e32 v124, 0
	v_pk_mov_b32 v[80:81], v[44:45], v[44:45] op_sel:[0,1]
	v_mov_b32_e32 v123, 0
	v_pk_mov_b32 v[78:79], v[44:45], v[44:45] op_sel:[0,1]
                                        ; implicit-def: $sgpr68_sgpr69
                                        ; implicit-def: $vgpr2_vgpr3
	s_and_saveexec_b64 s[42:43], vcc
	s_cbranch_execz .LBB111_113
; %bb.106:
	ds_read2_b64 v[2:5], v26 offset0:17 offset1:18
	v_cmp_ne_u32_e32 vcc, v8, v9
	v_mov_b32_e32 v8, s59
	v_add_u32_e32 v10, 18, v83
	v_pk_mov_b32 v[44:45], 0, 0
	s_waitcnt lgkmcnt(0)
	v_cndmask_b32_e32 v79, v3, v8, vcc
	v_mov_b32_e32 v3, s58
	v_cndmask_b32_e64 v123, 0, 1, vcc
	v_cndmask_b32_e32 v78, v2, v3, vcc
	v_cmp_gt_u32_e32 vcc, s55, v10
	s_mov_b64 s[68:69], 0
	v_mov_b32_e32 v108, 0
	v_mov_b32_e32 v124, 0
	v_pk_mov_b32 v[80:81], v[44:45], v[44:45] op_sel:[0,1]
                                        ; implicit-def: $sgpr70_sgpr71
                                        ; implicit-def: $vgpr2_vgpr3
	s_and_saveexec_b64 s[44:45], vcc
	s_cbranch_execz .LBB111_112
; %bb.107:
	v_cmp_ne_u32_e32 vcc, v9, v6
	v_mov_b32_e32 v3, s59
	v_add_u32_e32 v2, 19, v83
	v_cndmask_b32_e32 v81, v5, v3, vcc
	v_mov_b32_e32 v3, s58
	v_cndmask_b32_e64 v124, 0, 1, vcc
	v_cndmask_b32_e32 v80, v4, v3, vcc
	v_cmp_gt_u32_e32 vcc, s55, v2
	v_mov_b32_e32 v108, 0
	v_pk_mov_b32 v[44:45], 0, 0
                                        ; implicit-def: $sgpr70_sgpr71
                                        ; implicit-def: $vgpr2_vgpr3
	s_and_saveexec_b64 s[46:47], vcc
	s_cbranch_execz .LBB111_111
; %bb.108:
	ds_read2_b64 v[2:5], v26 offset0:19 offset1:20
	v_cmp_ne_u32_e32 vcc, v6, v7
	v_mov_b32_e32 v6, s59
	v_add_u32_e32 v8, 20, v83
	v_cndmask_b32_e64 v108, 0, 1, vcc
	s_waitcnt lgkmcnt(0)
	v_cndmask_b32_e32 v45, v3, v6, vcc
	v_mov_b32_e32 v3, s58
	v_cndmask_b32_e32 v44, v2, v3, vcc
	v_cmp_gt_u32_e32 vcc, s55, v8
                                        ; implicit-def: $sgpr70_sgpr71
                                        ; implicit-def: $vgpr2_vgpr3
	s_and_saveexec_b64 s[72:73], vcc
	s_xor_b64 s[72:73], exec, s[72:73]
; %bb.109:
	v_mov_b32_e32 v2, s59
	v_cmp_ne_u32_e32 vcc, v7, v82
	v_cndmask_b32_e32 v3, v5, v2, vcc
	v_mov_b32_e32 v2, s58
	s_mov_b64 s[68:69], exec
	v_cndmask_b32_e32 v2, v4, v2, vcc
	s_and_b64 s[70:71], vcc, exec
; %bb.110:
	s_or_b64 exec, exec, s[72:73]
	s_and_b64 s[70:71], s[70:71], exec
	s_and_b64 s[68:69], s[68:69], exec
.LBB111_111:
	s_or_b64 exec, exec, s[46:47]
	s_and_b64 s[70:71], s[70:71], exec
	s_and_b64 s[46:47], s[68:69], exec
.LBB111_112:
	s_or_b64 exec, exec, s[44:45]
	s_and_b64 s[68:69], s[70:71], exec
	s_and_b64 s[44:45], s[46:47], exec
.LBB111_113:
	s_or_b64 exec, exec, s[42:43]
	s_and_b64 s[46:47], s[68:69], exec
	s_and_b64 s[42:43], s[44:45], exec
.LBB111_114:
	s_or_b64 exec, exec, s[40:41]
	s_and_b64 s[44:45], s[46:47], exec
	s_and_b64 s[40:41], s[42:43], exec
.LBB111_115:
	s_or_b64 exec, exec, s[38:39]
	s_and_b64 s[42:43], s[44:45], exec
	s_and_b64 s[38:39], s[40:41], exec
.LBB111_116:
	s_or_b64 exec, exec, s[36:37]
	s_and_b64 s[40:41], s[42:43], exec
	s_and_b64 s[36:37], s[38:39], exec
.LBB111_117:
	s_or_b64 exec, exec, s[34:35]
	s_and_b64 s[38:39], s[40:41], exec
	s_and_b64 s[34:35], s[36:37], exec
.LBB111_118:
	s_or_b64 exec, exec, s[30:31]
	s_and_b64 s[36:37], s[38:39], exec
	s_and_b64 s[30:31], s[34:35], exec
.LBB111_119:
	s_or_b64 exec, exec, s[28:29]
	s_and_b64 s[34:35], s[36:37], exec
	s_and_b64 s[28:29], s[30:31], exec
.LBB111_120:
	s_or_b64 exec, exec, s[26:27]
	s_and_b64 s[30:31], s[34:35], exec
	s_and_b64 s[26:27], s[28:29], exec
.LBB111_121:
	s_or_b64 exec, exec, s[24:25]
	s_and_b64 s[28:29], s[30:31], exec
	s_and_b64 s[24:25], s[26:27], exec
.LBB111_122:
	s_or_b64 exec, exec, s[22:23]
	s_and_b64 s[26:27], s[28:29], exec
	s_and_b64 s[22:23], s[24:25], exec
.LBB111_123:
	s_or_b64 exec, exec, s[20:21]
	s_and_b64 s[24:25], s[26:27], exec
	s_and_b64 s[20:21], s[22:23], exec
.LBB111_124:
	s_or_b64 exec, exec, s[18:19]
	s_and_b64 s[22:23], s[24:25], exec
	s_and_b64 s[18:19], s[20:21], exec
.LBB111_125:
	s_or_b64 exec, exec, s[16:17]
	s_and_b64 s[20:21], s[22:23], exec
	s_and_b64 s[16:17], s[18:19], exec
.LBB111_126:
	s_or_b64 exec, exec, s[14:15]
	s_and_b64 s[18:19], s[20:21], exec
	s_and_b64 s[14:15], s[16:17], exec
.LBB111_127:
	s_or_b64 exec, exec, s[12:13]
	s_and_b64 s[16:17], s[18:19], exec
	s_and_b64 s[12:13], s[14:15], exec
.LBB111_128:
	s_or_b64 exec, exec, s[10:11]
	s_and_b64 s[14:15], s[16:17], exec
	s_and_b64 s[10:11], s[12:13], exec
.LBB111_129:
	s_or_b64 exec, exec, s[8:9]
	s_and_b64 s[8:9], s[14:15], exec
	s_and_b64 s[10:11], s[10:11], exec
.LBB111_130:
	s_or_b64 exec, exec, s[4:5]
	s_mov_b64 s[4:5], 0
	s_and_b64 vcc, exec, s[2:3]
	s_cbranch_vccz .LBB111_136
.LBB111_131:
	v_mov_b32_e32 v1, s67
	v_add_co_u32_e32 v2, vcc, s66, v84
	v_addc_co_u32_e32 v1, vcc, 0, v1, vcc
	s_movk_i32 s4, 0x1000
	v_add_co_u32_e32 v2, vcc, s4, v2
	v_addc_co_u32_e32 v3, vcc, 0, v1, vcc
	global_load_dword v4, v84, s[66:67]
	global_load_dword v5, v84, s[66:67] offset:256
	global_load_dword v6, v84, s[66:67] offset:512
	;; [unrolled: 1-line block ×15, first 2 shown]
	global_load_dword v1, v[2:3], off
	global_load_dword v20, v[2:3], off offset:256
	global_load_dword v21, v[2:3], off offset:512
	;; [unrolled: 1-line block ×4, first 2 shown]
	s_movk_i32 s2, 0x50
	v_mad_u32_u24 v3, v0, s2, v84
	s_movk_i32 s3, 0xffb0
	v_cmp_ne_u32_e32 vcc, 63, v0
	v_mad_i32_i24 v2, v0, s3, v3
	s_waitcnt vmcnt(19)
	ds_write2st64_b32 v84, v4, v5 offset1:1
	s_waitcnt vmcnt(17)
	ds_write2st64_b32 v84, v6, v7 offset0:2 offset1:3
	s_waitcnt vmcnt(15)
	ds_write2st64_b32 v84, v8, v9 offset0:4 offset1:5
	;; [unrolled: 2-line block ×9, first 2 shown]
	s_waitcnt vmcnt(0)
	ds_write_b32 v84, v23 offset:5120
	s_waitcnt lgkmcnt(0)
	; wave barrier
	s_waitcnt lgkmcnt(0)
	ds_read_b32 v1, v3
	ds_read2_b32 v[60:61], v3 offset0:1 offset1:2
	ds_read2_b32 v[58:59], v3 offset0:3 offset1:4
	ds_read2_b32 v[56:57], v3 offset0:5 offset1:6
	ds_read2_b32 v[54:55], v3 offset0:7 offset1:8
	ds_read2_b32 v[52:53], v3 offset0:9 offset1:10
	ds_read2_b32 v[50:51], v3 offset0:11 offset1:12
	ds_read2_b32 v[48:49], v3 offset0:13 offset1:14
	s_load_dword s2, s[66:67], 0x1500
	ds_read2_b32 v[46:47], v3 offset0:15 offset1:16
	ds_read2_b32 v[44:45], v3 offset0:17 offset1:18
	;; [unrolled: 1-line block ×3, first 2 shown]
	s_waitcnt lgkmcnt(0)
	ds_write_b32 v2, v1 offset:5632
	s_waitcnt lgkmcnt(0)
	; wave barrier
	s_waitcnt lgkmcnt(0)
	v_mov_b32_e32 v85, s2
	s_and_saveexec_b64 s[2:3], vcc
	s_cbranch_execz .LBB111_133
; %bb.132:
	ds_read_b32 v85, v84 offset:5636
.LBB111_133:
	s_or_b64 exec, exec, s[2:3]
	v_lshlrev_b32_e32 v3, 3, v0
	v_mov_b32_e32 v4, s65
	v_add_co_u32_e32 v22, vcc, s64, v3
	v_addc_co_u32_e32 v23, vcc, 0, v4, vcc
	v_add_co_u32_e32 v20, vcc, s4, v22
	v_addc_co_u32_e32 v21, vcc, 0, v23, vcc
	s_movk_i32 s2, 0x2000
	v_add_co_u32_e32 v22, vcc, s2, v22
	s_waitcnt lgkmcnt(0)
	; wave barrier
	s_waitcnt lgkmcnt(0)
	global_load_dwordx2 v[4:5], v3, s[64:65]
	global_load_dwordx2 v[6:7], v3, s[64:65] offset:512
	global_load_dwordx2 v[8:9], v3, s[64:65] offset:1024
	;; [unrolled: 1-line block ×7, first 2 shown]
	v_addc_co_u32_e32 v23, vcc, 0, v23, vcc
	global_load_dwordx2 v[24:25], v[20:21], off offset:512
	global_load_dwordx2 v[26:27], v[20:21], off offset:1024
	;; [unrolled: 1-line block ×6, first 2 shown]
	global_load_dwordx2 v[36:37], v[22:23], off offset:-4096
	global_load_dwordx2 v[38:39], v[20:21], off offset:3584
	global_load_dwordx2 v[40:41], v[22:23], off
	global_load_dwordx2 v[42:43], v[22:23], off offset:512
	global_load_dwordx2 v[64:65], v[22:23], off offset:1024
	;; [unrolled: 1-line block ×4, first 2 shown]
	v_lshl_add_u32 v62, v0, 2, v2
	s_movk_i32 s2, 0xa0
	v_mad_u32_u24 v2, v0, s2, v62
	v_cmp_ne_u32_e32 vcc, v1, v60
	v_cmp_eq_u32_e64 s[2:3], v1, v60
	s_waitcnt vmcnt(19)
	ds_write2st64_b64 v62, v[4:5], v[6:7] offset1:1
	s_waitcnt vmcnt(17)
	ds_write2st64_b64 v62, v[8:9], v[10:11] offset0:2 offset1:3
	s_waitcnt vmcnt(15)
	ds_write2st64_b64 v62, v[12:13], v[14:15] offset0:4 offset1:5
	;; [unrolled: 2-line block ×4, first 2 shown]
	ds_write2st64_b64 v62, v[26:27], v[28:29] offset0:10 offset1:11
	ds_write2st64_b64 v62, v[30:31], v[32:33] offset0:12 offset1:13
	s_waitcnt vmcnt(5)
	ds_write2st64_b64 v62, v[34:35], v[38:39] offset0:14 offset1:15
	s_waitcnt vmcnt(3)
	ds_write2st64_b64 v62, v[40:41], v[42:43] offset0:16 offset1:17
	s_waitcnt vmcnt(1)
	ds_write2st64_b64 v62, v[64:65], v[66:67] offset0:18 offset1:19
	s_waitcnt vmcnt(0)
	ds_write_b64 v62, v[68:69] offset:10240
	s_waitcnt lgkmcnt(0)
	; wave barrier
	s_waitcnt lgkmcnt(0)
	ds_read2_b64 v[38:41], v2 offset0:1 offset1:2
	ds_read2_b64 v[34:37], v2 offset0:3 offset1:4
	;; [unrolled: 1-line block ×10, first 2 shown]
	v_pk_mov_b32 v[42:43], s[58:59], s[58:59] op_sel:[0,1]
	s_and_saveexec_b64 s[4:5], s[2:3]
	s_cbranch_execz .LBB111_135
; %bb.134:
	v_mul_u32_u24_e32 v1, 0xa0, v0
	v_add_u32_e32 v1, v62, v1
	ds_read_b64 v[42:43], v1
.LBB111_135:
	s_or_b64 exec, exec, s[4:5]
	v_cndmask_b32_e64 v1, 0, 1, vcc
	v_cmp_ne_u32_e32 vcc, v60, v61
	v_cmp_ne_u32_e64 s[38:39], v45, v82
	v_cmp_ne_u32_e64 s[40:41], v82, v83
	v_mov_b32_e32 v82, s59
	v_cmp_ne_u32_e64 s[8:9], v59, v56
	v_cmp_ne_u32_e64 s[30:31], v46, v47
	;; [unrolled: 1-line block ×3, first 2 shown]
	s_waitcnt lgkmcnt(9)
	v_cndmask_b32_e32 v47, v39, v82, vcc
	v_mov_b32_e32 v39, s58
	v_cmp_ne_u32_e64 s[2:3], v61, v58
	v_cmp_ne_u32_e64 s[4:5], v58, v59
	v_cndmask_b32_e64 v110, 0, 1, s[8:9]
	v_cmp_ne_u32_e64 s[10:11], v56, v57
	v_cmp_ne_u32_e64 s[12:13], v57, v54
	;; [unrolled: 1-line block ×11, first 2 shown]
	s_waitcnt lgkmcnt(8)
	v_cndmask_b32_e64 v53, v37, v82, s[8:9]
	v_cndmask_b32_e64 v52, v36, v39, s[8:9]
	v_cmp_ne_u32_e64 s[8:9], v83, v85
	v_cndmask_b32_e64 v106, 0, 1, vcc
	v_cndmask_b32_e64 v107, 0, 1, s[2:3]
	v_cndmask_b32_e64 v109, 0, 1, s[4:5]
	;; [unrolled: 1-line block ×17, first 2 shown]
	v_cndmask_b32_e32 v46, v38, v39, vcc
	v_cndmask_b32_e64 v49, v41, v82, s[2:3]
	v_cndmask_b32_e64 v48, v40, v39, s[2:3]
	v_cndmask_b32_e64 v51, v35, v82, s[4:5]
	v_cndmask_b32_e64 v50, v34, v39, s[4:5]
	s_waitcnt lgkmcnt(7)
	v_cndmask_b32_e64 v55, v31, v82, s[10:11]
	v_cndmask_b32_e64 v54, v30, v39, s[10:11]
	v_cndmask_b32_e64 v57, v33, v82, s[12:13]
	v_cndmask_b32_e64 v56, v32, v39, s[12:13]
	s_waitcnt lgkmcnt(6)
	;; [unrolled: 5-line block ×8, first 2 shown]
	v_cndmask_b32_e64 v45, v3, v82, s[40:41]
	v_cndmask_b32_e64 v44, v2, v39, s[40:41]
	;; [unrolled: 1-line block ×4, first 2 shown]
	s_mov_b64 s[10:11], -1
                                        ; implicit-def: $sgpr7
                                        ; implicit-def: $sgpr4_sgpr5
.LBB111_136:
	s_waitcnt lgkmcnt(11)
	v_pk_mov_b32 v[82:83], s[4:5], s[4:5] op_sel:[0,1]
	v_mov_b32_e32 v125, s7
	s_and_saveexec_b64 s[2:3], s[10:11]
; %bb.137:
	v_cndmask_b32_e64 v125, 0, 1, s[8:9]
	v_pk_mov_b32 v[82:83], v[2:3], v[2:3] op_sel:[0,1]
; %bb.138:
	s_or_b64 exec, exec, s[2:3]
	v_or_b32_e32 v2, v125, v108
	s_cmp_lg_u32 s6, 0
	v_or_b32_e32 v127, v2, v124
	v_mbcnt_lo_u32_b32 v126, -1, 0
	s_waitcnt lgkmcnt(0)
	; wave barrier
	s_waitcnt lgkmcnt(0)
	s_cbranch_scc0 .LBB111_197
; %bb.139:
	v_mov_b32_e32 v2, 0
	v_cmp_eq_u16_sdwa s[40:41], v106, v2 src0_sel:BYTE_0 src1_sel:DWORD
	v_cndmask_b32_e64 v4, 0, v42, s[40:41]
	v_cndmask_b32_e64 v3, 0, v43, s[40:41]
	v_add_co_u32_e32 v4, vcc, v4, v46
	v_cmp_eq_u16_sdwa s[38:39], v107, v2 src0_sel:BYTE_0 src1_sel:DWORD
	v_addc_co_u32_e32 v3, vcc, v3, v47, vcc
	v_cndmask_b32_e64 v4, 0, v4, s[38:39]
	v_cndmask_b32_e64 v3, 0, v3, s[38:39]
	v_add_co_u32_e32 v4, vcc, v4, v48
	v_cmp_eq_u16_sdwa s[36:37], v109, v2 src0_sel:BYTE_0 src1_sel:DWORD
	v_addc_co_u32_e32 v3, vcc, v3, v49, vcc
	;; [unrolled: 5-line block ×18, first 2 shown]
	v_cndmask_b32_e64 v4, 0, v4, s[2:3]
	v_cndmask_b32_e64 v3, 0, v3, s[2:3]
	v_add_co_u32_e32 v4, vcc, v4, v44
	v_addc_co_u32_e32 v3, vcc, v3, v45, vcc
	v_cmp_eq_u16_sdwa vcc, v125, v2 src0_sel:BYTE_0 src1_sel:DWORD
	v_cndmask_b32_e32 v2, 0, v4, vcc
	v_or_b32_e32 v4, v127, v123
	v_or_b32_e32 v4, v4, v122
	;; [unrolled: 1-line block ×17, first 2 shown]
	v_cndmask_b32_e32 v3, 0, v3, vcc
	v_add_co_u32_e32 v2, vcc, v2, v82
	v_or_b32_e32 v4, v4, v1
	v_mbcnt_hi_u32_b32 v5, -1, v126
	v_addc_co_u32_e32 v3, vcc, v3, v83, vcc
	v_and_b32_e32 v4, 1, v4
	v_and_b32_e32 v7, 15, v5
	v_cmp_eq_u32_e32 vcc, 1, v4
	v_mov_b32_dpp v8, v2 row_shr:1 row_mask:0xf bank_mask:0xf
	v_mov_b32_dpp v9, v3 row_shr:1 row_mask:0xf bank_mask:0xf
	;; [unrolled: 1-line block ×3, first 2 shown]
	v_cmp_ne_u32_e64 s[42:43], 0, v7
	v_mov_b32_e32 v6, v4
	s_and_saveexec_b64 s[46:47], s[42:43]
; %bb.140:
	v_and_b32_e32 v6, 1, v10
	v_cndmask_b32_e64 v8, v8, 0, vcc
	v_or_b32_e32 v4, v6, v4
	v_cndmask_b32_e64 v6, v9, 0, vcc
	v_add_co_u32_e32 v2, vcc, v8, v2
	v_addc_co_u32_e32 v3, vcc, v6, v3, vcc
	v_and_b32_e32 v6, 0xffff, v4
; %bb.141:
	s_or_b64 exec, exec, s[46:47]
	v_mov_b32_dpp v8, v2 row_shr:2 row_mask:0xf bank_mask:0xf
	v_mov_b32_dpp v9, v3 row_shr:2 row_mask:0xf bank_mask:0xf
	v_mov_b32_dpp v10, v6 row_shr:2 row_mask:0xf bank_mask:0xf
	v_cmp_lt_u32_e32 vcc, 1, v7
	s_and_saveexec_b64 s[46:47], vcc
	s_cbranch_execz .LBB111_143
; %bb.142:
	v_and_b32_e32 v6, 1, v4
	v_cmp_eq_u32_e32 vcc, 1, v6
	v_and_b32_e32 v6, 1, v10
	v_cmp_eq_u32_e64 s[42:43], 1, v6
	s_or_b64 s[42:43], vcc, s[42:43]
	v_cmp_eq_u16_e32 vcc, 0, v4
	v_cndmask_b32_e32 v6, 0, v8, vcc
	v_cndmask_b32_e64 v10, 0, 1, s[42:43]
	v_cndmask_b32_e32 v4, 0, v9, vcc
	v_add_co_u32_e32 v2, vcc, v6, v2
	v_addc_co_u32_e32 v3, vcc, v4, v3, vcc
	v_cndmask_b32_e64 v6, 0, 1, s[42:43]
	v_mov_b32_e32 v4, v10
.LBB111_143:
	s_or_b64 exec, exec, s[46:47]
	v_mov_b32_dpp v8, v2 row_shr:4 row_mask:0xf bank_mask:0xf
	v_mov_b32_dpp v9, v3 row_shr:4 row_mask:0xf bank_mask:0xf
	v_mov_b32_dpp v10, v6 row_shr:4 row_mask:0xf bank_mask:0xf
	v_cmp_lt_u32_e32 vcc, 3, v7
	s_and_saveexec_b64 s[46:47], vcc
	s_cbranch_execz .LBB111_145
; %bb.144:
	v_and_b32_e32 v6, 1, v4
	v_cmp_eq_u32_e32 vcc, 1, v6
	v_and_b32_e32 v6, 1, v10
	v_cmp_eq_u32_e64 s[42:43], 1, v6
	s_or_b64 s[42:43], vcc, s[42:43]
	v_cmp_eq_u16_e32 vcc, 0, v4
	v_cndmask_b32_e32 v6, 0, v8, vcc
	v_cndmask_b32_e64 v10, 0, 1, s[42:43]
	v_cndmask_b32_e32 v4, 0, v9, vcc
	v_add_co_u32_e32 v2, vcc, v6, v2
	v_addc_co_u32_e32 v3, vcc, v4, v3, vcc
	v_cndmask_b32_e64 v6, 0, 1, s[42:43]
	v_mov_b32_e32 v4, v10
.LBB111_145:
	;; [unrolled: 22-line block ×3, first 2 shown]
	s_or_b64 exec, exec, s[46:47]
	v_and_b32_e32 v10, 16, v5
	v_mov_b32_dpp v7, v2 row_bcast:15 row_mask:0xf bank_mask:0xf
	v_mov_b32_dpp v8, v3 row_bcast:15 row_mask:0xf bank_mask:0xf
	;; [unrolled: 1-line block ×3, first 2 shown]
	v_cmp_ne_u32_e32 vcc, 0, v10
	s_and_saveexec_b64 s[46:47], vcc
	s_cbranch_execz .LBB111_149
; %bb.148:
	v_and_b32_e32 v6, 1, v4
	v_cmp_eq_u32_e32 vcc, 1, v6
	v_and_b32_e32 v6, 1, v9
	v_cmp_eq_u32_e64 s[42:43], 1, v6
	s_or_b64 s[42:43], vcc, s[42:43]
	v_cmp_eq_u16_e32 vcc, 0, v4
	v_cndmask_b32_e32 v6, 0, v7, vcc
	v_cndmask_b32_e64 v9, 0, 1, s[42:43]
	v_cndmask_b32_e32 v4, 0, v8, vcc
	v_add_co_u32_e32 v2, vcc, v6, v2
	v_addc_co_u32_e32 v3, vcc, v4, v3, vcc
	v_cndmask_b32_e64 v6, 0, 1, s[42:43]
	v_mov_b32_e32 v4, v9
.LBB111_149:
	s_or_b64 exec, exec, s[46:47]
	v_mov_b32_dpp v7, v2 row_bcast:31 row_mask:0xf bank_mask:0xf
	v_mov_b32_dpp v8, v3 row_bcast:31 row_mask:0xf bank_mask:0xf
	;; [unrolled: 1-line block ×3, first 2 shown]
	v_cmp_lt_u32_e32 vcc, 31, v5
	s_and_saveexec_b64 s[46:47], vcc
	s_cbranch_execz .LBB111_151
; %bb.150:
	v_and_b32_e32 v9, 1, v4
	v_and_b32_e32 v6, 1, v6
	v_cmp_eq_u32_e32 vcc, 1, v9
	v_cmp_eq_u32_e64 s[42:43], 1, v6
	s_or_b64 s[42:43], vcc, s[42:43]
	v_cmp_eq_u16_e32 vcc, 0, v4
	v_cndmask_b32_e32 v7, 0, v7, vcc
	v_cndmask_b32_e64 v6, 0, 1, s[42:43]
	v_cndmask_b32_e32 v4, 0, v8, vcc
	v_add_co_u32_e32 v2, vcc, v7, v2
	v_addc_co_u32_e32 v3, vcc, v4, v3, vcc
	v_mov_b32_e32 v4, v6
.LBB111_151:
	s_or_b64 exec, exec, s[46:47]
	v_cmp_eq_u32_e32 vcc, 63, v0
	s_and_saveexec_b64 s[42:43], vcc
	s_cbranch_execz .LBB111_153
; %bb.152:
	v_mov_b32_e32 v6, 0
	ds_write_b64 v6, v[2:3]
	ds_write_b8 v6, v4 offset:8
.LBB111_153:
	s_or_b64 exec, exec, s[42:43]
	v_add_u32_e32 v6, -1, v5
	v_and_b32_e32 v7, 64, v5
	v_cmp_lt_i32_e32 vcc, v6, v7
	v_cndmask_b32_e32 v6, v6, v5, vcc
	v_lshlrev_b32_e32 v6, 2, v6
	ds_bpermute_b32 v12, v6, v2
	v_and_b32_e32 v2, 0xffff, v4
	ds_bpermute_b32 v13, v6, v3
	ds_bpermute_b32 v14, v6, v2
	v_cmp_gt_u32_e32 vcc, 64, v0
	s_waitcnt lgkmcnt(0)
	; wave barrier
	s_waitcnt lgkmcnt(0)
	s_and_saveexec_b64 s[64:65], vcc
	s_cbranch_execz .LBB111_196
; %bb.154:
	v_mov_b32_e32 v7, 0
	ds_read_b64 v[2:3], v7
	ds_read_u8 v15, v7 offset:8
	s_mov_b32 s67, 0
	v_cmp_eq_u32_e64 s[42:43], 0, v5
	s_and_saveexec_b64 s[46:47], s[42:43]
	s_cbranch_execz .LBB111_156
; %bb.155:
	s_add_i32 s66, s6, 64
	s_lshl_b64 s[68:69], s[66:67], 4
	s_add_u32 s68, s48, s68
	s_addc_u32 s69, s49, s69
	v_mov_b32_e32 v4, s66
	v_mov_b32_e32 v6, 1
	s_waitcnt lgkmcnt(1)
	global_store_dwordx2 v7, v[2:3], s[68:69]
	s_waitcnt lgkmcnt(0)
	global_store_byte v7, v15, s[68:69] offset:8
	s_waitcnt vmcnt(0)
	buffer_wbinvl1_vol
	global_store_byte v4, v6, s[52:53]
.LBB111_156:
	s_or_b64 exec, exec, s[46:47]
	v_xad_u32 v4, v5, -1, s6
	v_add_u32_e32 v6, 64, v4
	global_load_ubyte v16, v6, s[52:53] glc
	s_waitcnt vmcnt(0)
	v_cmp_eq_u16_e32 vcc, 0, v16
	s_and_saveexec_b64 s[46:47], vcc
	s_cbranch_execz .LBB111_160
; %bb.157:
	v_mov_b32_e32 v9, s53
	v_add_co_u32_e32 v8, vcc, s52, v6
	v_addc_co_u32_e32 v9, vcc, 0, v9, vcc
	s_mov_b64 s[66:67], 0
.LBB111_158:                            ; =>This Inner Loop Header: Depth=1
	global_load_ubyte v16, v[8:9], off glc
	s_waitcnt vmcnt(0)
	v_cmp_ne_u16_e32 vcc, 0, v16
	s_or_b64 s[66:67], vcc, s[66:67]
	s_andn2_b64 exec, exec, s[66:67]
	s_cbranch_execnz .LBB111_158
; %bb.159:
	s_or_b64 exec, exec, s[66:67]
.LBB111_160:
	s_or_b64 exec, exec, s[46:47]
	v_mov_b32_e32 v8, s51
	v_mov_b32_e32 v9, s49
	v_cmp_eq_u16_e32 vcc, 1, v16
	v_cndmask_b32_e32 v8, v8, v9, vcc
	v_mov_b32_e32 v9, s50
	v_mov_b32_e32 v10, s48
	v_cndmask_b32_e32 v9, v9, v10, vcc
	v_lshlrev_b64 v[6:7], 4, v[6:7]
	v_add_co_u32_e32 v6, vcc, v9, v6
	v_addc_co_u32_e32 v7, vcc, v8, v7, vcc
	s_waitcnt lgkmcnt(0)
	buffer_wbinvl1_vol
	global_load_dwordx2 v[10:11], v[6:7], off
	global_load_ubyte v31, v[6:7], off offset:8
	v_cmp_eq_u16_e32 vcc, 2, v16
	v_lshlrev_b64 v[6:7], v5, -1
	v_and_b32_e32 v8, 63, v5
	v_and_b32_e32 v9, vcc_hi, v7
	v_and_b32_e32 v18, vcc_lo, v6
	v_cmp_ne_u32_e32 vcc, 63, v8
	v_addc_co_u32_e32 v17, vcc, 0, v5, vcc
	v_lshlrev_b32_e32 v17, 2, v17
	v_or_b32_e32 v9, 0x80000000, v9
	v_ffbl_b32_e32 v9, v9
	v_add_u32_e32 v9, 32, v9
	v_ffbl_b32_e32 v18, v18
	v_min_u32_e32 v9, v18, v9
	v_add_u32_e32 v18, 1, v5
	v_cmp_le_u32_e32 vcc, v18, v9
	s_waitcnt vmcnt(1)
	ds_bpermute_b32 v20, v17, v10
	s_waitcnt vmcnt(0)
	v_and_b32_e32 v27, 1, v31
	ds_bpermute_b32 v21, v17, v11
	ds_bpermute_b32 v19, v17, v27
	s_and_saveexec_b64 s[46:47], vcc
	s_cbranch_execz .LBB111_162
; %bb.161:
	v_mov_b32_e32 v22, 0
	v_cmp_eq_u16_sdwa vcc, v31, v22 src0_sel:BYTE_0 src1_sel:DWORD
	s_waitcnt lgkmcnt(2)
	v_cndmask_b32_e32 v20, 0, v20, vcc
	s_waitcnt lgkmcnt(0)
	v_and_b32_e32 v19, 1, v19
	v_cndmask_b32_e32 v21, 0, v21, vcc
	v_add_co_u32_e32 v10, vcc, v20, v10
	v_or_b32_e32 v31, v19, v31
	v_addc_co_u32_e32 v11, vcc, v21, v11, vcc
	v_and_b32_e32 v27, 0xff, v31
.LBB111_162:
	s_or_b64 exec, exec, s[46:47]
	v_cmp_gt_u32_e32 vcc, 62, v8
	s_waitcnt lgkmcnt(0)
	v_cndmask_b32_e64 v19, 0, 1, vcc
	v_lshlrev_b32_e32 v19, 1, v19
	v_add_lshl_u32 v19, v19, v5, 2
	ds_bpermute_b32 v22, v19, v10
	ds_bpermute_b32 v23, v19, v11
	ds_bpermute_b32 v21, v19, v27
	v_add_u32_e32 v20, 2, v5
	v_cmp_le_u32_e32 vcc, v20, v9
	s_and_saveexec_b64 s[66:67], vcc
	s_cbranch_execz .LBB111_164
; %bb.163:
	v_mov_b32_e32 v24, 0
	v_cmp_eq_u16_sdwa vcc, v31, v24 src0_sel:BYTE_0 src1_sel:DWORD
	s_waitcnt lgkmcnt(2)
	v_cndmask_b32_e32 v22, 0, v22, vcc
	s_waitcnt lgkmcnt(1)
	v_cndmask_b32_e32 v23, 0, v23, vcc
	v_add_co_u32_e32 v10, vcc, v22, v10
	v_addc_co_u32_e32 v11, vcc, v23, v11, vcc
	v_and_b32_e32 v22, 1, v31
	s_waitcnt lgkmcnt(0)
	v_and_b32_e32 v21, 1, v21
	v_cmp_eq_u32_e32 vcc, 1, v22
	v_cmp_eq_u32_e64 s[46:47], 1, v21
	s_or_b64 s[46:47], vcc, s[46:47]
	v_cndmask_b32_e64 v31, 0, 1, s[46:47]
	v_cndmask_b32_e64 v27, 0, 1, s[46:47]
.LBB111_164:
	s_or_b64 exec, exec, s[66:67]
	v_cmp_gt_u32_e32 vcc, 60, v8
	s_waitcnt lgkmcnt(0)
	v_cndmask_b32_e64 v21, 0, 1, vcc
	v_lshlrev_b32_e32 v21, 2, v21
	v_add_lshl_u32 v21, v21, v5, 2
	ds_bpermute_b32 v24, v21, v10
	ds_bpermute_b32 v25, v21, v11
	ds_bpermute_b32 v23, v21, v27
	v_add_u32_e32 v22, 4, v5
	v_cmp_le_u32_e32 vcc, v22, v9
	s_and_saveexec_b64 s[66:67], vcc
	s_cbranch_execz .LBB111_166
; %bb.165:
	v_mov_b32_e32 v26, 0
	v_cmp_eq_u16_sdwa vcc, v31, v26 src0_sel:BYTE_0 src1_sel:DWORD
	s_waitcnt lgkmcnt(2)
	v_cndmask_b32_e32 v24, 0, v24, vcc
	s_waitcnt lgkmcnt(1)
	v_cndmask_b32_e32 v25, 0, v25, vcc
	v_add_co_u32_e32 v10, vcc, v24, v10
	v_addc_co_u32_e32 v11, vcc, v25, v11, vcc
	v_and_b32_e32 v24, 1, v31
	s_waitcnt lgkmcnt(0)
	v_and_b32_e32 v23, 1, v23
	v_cmp_eq_u32_e32 vcc, 1, v24
	v_cmp_eq_u32_e64 s[46:47], 1, v23
	s_or_b64 s[46:47], vcc, s[46:47]
	v_cndmask_b32_e64 v31, 0, 1, s[46:47]
	v_cndmask_b32_e64 v27, 0, 1, s[46:47]
.LBB111_166:
	;; [unrolled: 31-line block ×3, first 2 shown]
	s_or_b64 exec, exec, s[66:67]
	v_cmp_gt_u32_e32 vcc, 48, v8
	s_waitcnt lgkmcnt(0)
	v_cndmask_b32_e64 v25, 0, 1, vcc
	v_lshlrev_b32_e32 v25, 4, v25
	v_add_lshl_u32 v25, v25, v5, 2
	ds_bpermute_b32 v29, v25, v10
	ds_bpermute_b32 v30, v25, v11
	ds_bpermute_b32 v28, v25, v27
	v_add_u32_e32 v26, 16, v5
	v_cmp_le_u32_e32 vcc, v26, v9
	s_and_saveexec_b64 s[66:67], vcc
	s_cbranch_execz .LBB111_170
; %bb.169:
	v_mov_b32_e32 v27, 0
	v_cmp_eq_u16_sdwa vcc, v31, v27 src0_sel:BYTE_0 src1_sel:DWORD
	s_waitcnt lgkmcnt(2)
	v_cndmask_b32_e32 v29, 0, v29, vcc
	s_waitcnt lgkmcnt(1)
	v_cndmask_b32_e32 v27, 0, v30, vcc
	v_add_co_u32_e32 v10, vcc, v29, v10
	v_addc_co_u32_e32 v11, vcc, v27, v11, vcc
	v_and_b32_e32 v27, 1, v31
	v_cmp_eq_u32_e32 vcc, 1, v27
	s_waitcnt lgkmcnt(0)
	v_and_b32_e32 v27, 1, v28
	v_cmp_eq_u32_e64 s[46:47], 1, v27
	s_or_b64 s[46:47], vcc, s[46:47]
	v_cndmask_b32_e64 v31, 0, 1, s[46:47]
	v_cndmask_b32_e64 v27, 0, 1, s[46:47]
.LBB111_170:
	s_or_b64 exec, exec, s[66:67]
	v_cmp_gt_u32_e32 vcc, 32, v8
	v_cndmask_b32_e64 v8, 0, 1, vcc
	v_lshlrev_b32_e32 v8, 5, v8
	s_waitcnt lgkmcnt(0)
	v_add_lshl_u32 v28, v8, v5, 2
	ds_bpermute_b32 v30, v28, v10
	ds_bpermute_b32 v32, v28, v11
	;; [unrolled: 1-line block ×3, first 2 shown]
	v_add_u32_e32 v29, 32, v5
	v_cmp_le_u32_e32 vcc, v29, v9
	s_and_saveexec_b64 s[66:67], vcc
	s_cbranch_execz .LBB111_172
; %bb.171:
	v_mov_b32_e32 v5, 0
	v_cmp_eq_u16_sdwa vcc, v31, v5 src0_sel:BYTE_0 src1_sel:DWORD
	s_waitcnt lgkmcnt(2)
	v_cndmask_b32_e32 v9, 0, v30, vcc
	s_waitcnt lgkmcnt(1)
	v_cndmask_b32_e32 v5, 0, v32, vcc
	v_add_co_u32_e32 v10, vcc, v9, v10
	v_addc_co_u32_e32 v11, vcc, v5, v11, vcc
	v_and_b32_e32 v5, 1, v31
	v_cmp_eq_u32_e32 vcc, 1, v5
	s_waitcnt lgkmcnt(0)
	v_and_b32_e32 v5, 1, v8
	v_cmp_eq_u32_e64 s[46:47], 1, v5
	s_or_b64 s[46:47], vcc, s[46:47]
	v_cndmask_b32_e64 v31, 0, 1, s[46:47]
.LBB111_172:
	s_or_b64 exec, exec, s[66:67]
	v_mov_b32_e32 v5, 0
	s_waitcnt lgkmcnt(2)
	v_mov_b32_e32 v30, 2
	s_branch .LBB111_174
.LBB111_173:                            ;   in Loop: Header=BB111_174 Depth=1
	s_or_b64 exec, exec, s[68:69]
	v_cmp_eq_u16_sdwa vcc, v27, v5 src0_sel:BYTE_0 src1_sel:DWORD
	v_cndmask_b32_e32 v10, 0, v10, vcc
	v_cndmask_b32_e32 v11, 0, v11, vcc
	v_add_co_u32_e32 v10, vcc, v10, v8
	v_addc_co_u32_e32 v11, vcc, v11, v9, vcc
	v_and_b32_e32 v31, 1, v27
	v_cmp_eq_u32_e32 vcc, 1, v31
	s_or_b64 s[46:47], vcc, s[66:67]
	v_subrev_u32_e32 v4, 64, v4
	v_cndmask_b32_e64 v31, 0, 1, s[46:47]
.LBB111_174:                            ; =>This Loop Header: Depth=1
                                        ;     Child Loop BB111_177 Depth 2
	v_cmp_ne_u16_sdwa s[46:47], v16, v30 src0_sel:BYTE_0 src1_sel:DWORD
	s_waitcnt lgkmcnt(0)
	v_cndmask_b32_e64 v8, 0, 1, s[46:47]
	;;#ASMSTART
	;;#ASMEND
	v_cmp_ne_u32_e32 vcc, 0, v8
	v_mov_b32_e32 v27, v31
	s_cmp_lg_u64 vcc, exec
	v_pk_mov_b32 v[8:9], v[10:11], v[10:11] op_sel:[0,1]
	s_cbranch_scc1 .LBB111_191
; %bb.175:                              ;   in Loop: Header=BB111_174 Depth=1
	global_load_ubyte v16, v4, s[52:53] glc
	s_waitcnt vmcnt(0)
	v_cmp_eq_u16_e32 vcc, 0, v16
	s_and_saveexec_b64 s[46:47], vcc
	s_cbranch_execz .LBB111_179
; %bb.176:                              ;   in Loop: Header=BB111_174 Depth=1
	v_mov_b32_e32 v11, s53
	v_add_co_u32_e32 v10, vcc, s52, v4
	v_addc_co_u32_e32 v11, vcc, 0, v11, vcc
	s_mov_b64 s[66:67], 0
.LBB111_177:                            ;   Parent Loop BB111_174 Depth=1
                                        ; =>  This Inner Loop Header: Depth=2
	global_load_ubyte v16, v[10:11], off glc
	s_waitcnt vmcnt(0)
	v_cmp_ne_u16_e32 vcc, 0, v16
	s_or_b64 s[66:67], vcc, s[66:67]
	s_andn2_b64 exec, exec, s[66:67]
	s_cbranch_execnz .LBB111_177
; %bb.178:                              ;   in Loop: Header=BB111_174 Depth=1
	s_or_b64 exec, exec, s[66:67]
.LBB111_179:                            ;   in Loop: Header=BB111_174 Depth=1
	s_or_b64 exec, exec, s[46:47]
	v_mov_b32_e32 v10, s51
	v_mov_b32_e32 v11, s49
	v_cmp_eq_u16_e32 vcc, 1, v16
	v_cndmask_b32_e32 v31, v10, v11, vcc
	v_mov_b32_e32 v10, s50
	v_mov_b32_e32 v11, s48
	v_cndmask_b32_e32 v32, v10, v11, vcc
	v_lshlrev_b64 v[10:11], 4, v[4:5]
	v_add_co_u32_e32 v32, vcc, v32, v10
	v_addc_co_u32_e32 v33, vcc, v31, v11, vcc
	buffer_wbinvl1_vol
	global_load_dwordx2 v[10:11], v[32:33], off
	global_load_ubyte v31, v[32:33], off offset:8
	v_cmp_eq_u16_e32 vcc, 2, v16
	v_and_b32_e32 v32, vcc_hi, v7
	v_or_b32_e32 v32, 0x80000000, v32
	v_and_b32_e32 v37, vcc_lo, v6
	v_ffbl_b32_e32 v32, v32
	v_add_u32_e32 v32, 32, v32
	v_ffbl_b32_e32 v37, v37
	v_min_u32_e32 v32, v37, v32
	v_cmp_le_u32_e32 vcc, v18, v32
	s_waitcnt vmcnt(1)
	ds_bpermute_b32 v35, v17, v10
	s_waitcnt vmcnt(0)
	v_and_b32_e32 v33, 1, v31
	ds_bpermute_b32 v36, v17, v11
	ds_bpermute_b32 v34, v17, v33
	v_cmp_eq_u32_e64 s[66:67], 1, v33
	s_and_saveexec_b64 s[46:47], vcc
	s_cbranch_execz .LBB111_181
; %bb.180:                              ;   in Loop: Header=BB111_174 Depth=1
	v_cmp_eq_u16_sdwa vcc, v31, v5 src0_sel:BYTE_0 src1_sel:DWORD
	s_waitcnt lgkmcnt(2)
	v_cndmask_b32_e32 v35, 0, v35, vcc
	s_waitcnt lgkmcnt(1)
	v_cndmask_b32_e32 v33, 0, v36, vcc
	v_add_co_u32_e32 v10, vcc, v35, v10
	v_addc_co_u32_e32 v11, vcc, v33, v11, vcc
	s_waitcnt lgkmcnt(0)
	v_and_b32_e32 v33, 1, v34
	v_or_b32_e32 v31, v33, v31
	v_and_b32_e32 v34, 1, v31
	v_cmp_eq_u32_e32 vcc, 1, v34
	s_andn2_b64 s[66:67], s[66:67], exec
	s_and_b64 s[68:69], vcc, exec
	v_and_b32_e32 v33, 0xff, v31
	s_or_b64 s[66:67], s[66:67], s[68:69]
.LBB111_181:                            ;   in Loop: Header=BB111_174 Depth=1
	s_or_b64 exec, exec, s[46:47]
	s_waitcnt lgkmcnt(2)
	ds_bpermute_b32 v35, v19, v10
	s_waitcnt lgkmcnt(2)
	ds_bpermute_b32 v36, v19, v11
	s_waitcnt lgkmcnt(2)
	ds_bpermute_b32 v34, v19, v33
	v_cmp_le_u32_e32 vcc, v20, v32
	s_and_saveexec_b64 s[68:69], vcc
	s_cbranch_execz .LBB111_183
; %bb.182:                              ;   in Loop: Header=BB111_174 Depth=1
	v_cmp_eq_u16_sdwa vcc, v31, v5 src0_sel:BYTE_0 src1_sel:DWORD
	s_waitcnt lgkmcnt(2)
	v_cndmask_b32_e32 v35, 0, v35, vcc
	s_waitcnt lgkmcnt(1)
	v_cndmask_b32_e32 v33, 0, v36, vcc
	v_add_co_u32_e32 v10, vcc, v35, v10
	v_addc_co_u32_e32 v11, vcc, v33, v11, vcc
	v_and_b32_e32 v31, 1, v31
	v_cmp_eq_u32_e32 vcc, 1, v31
	s_waitcnt lgkmcnt(0)
	v_and_b32_e32 v31, 1, v34
	v_cmp_eq_u32_e64 s[46:47], 1, v31
	s_or_b64 s[46:47], vcc, s[46:47]
	v_cndmask_b32_e64 v31, 0, 1, s[46:47]
	v_cndmask_b32_e64 v33, 0, 1, s[46:47]
	s_andn2_b64 s[66:67], s[66:67], exec
	s_and_b64 s[46:47], s[46:47], exec
	s_or_b64 s[66:67], s[66:67], s[46:47]
.LBB111_183:                            ;   in Loop: Header=BB111_174 Depth=1
	s_or_b64 exec, exec, s[68:69]
	s_waitcnt lgkmcnt(2)
	ds_bpermute_b32 v35, v21, v10
	s_waitcnt lgkmcnt(2)
	ds_bpermute_b32 v36, v21, v11
	s_waitcnt lgkmcnt(2)
	ds_bpermute_b32 v34, v21, v33
	v_cmp_le_u32_e32 vcc, v22, v32
	s_and_saveexec_b64 s[68:69], vcc
	s_cbranch_execz .LBB111_185
; %bb.184:                              ;   in Loop: Header=BB111_174 Depth=1
	v_cmp_eq_u16_sdwa vcc, v31, v5 src0_sel:BYTE_0 src1_sel:DWORD
	s_waitcnt lgkmcnt(2)
	v_cndmask_b32_e32 v35, 0, v35, vcc
	s_waitcnt lgkmcnt(1)
	v_cndmask_b32_e32 v33, 0, v36, vcc
	v_add_co_u32_e32 v10, vcc, v35, v10
	v_addc_co_u32_e32 v11, vcc, v33, v11, vcc
	v_and_b32_e32 v31, 1, v31
	v_cmp_eq_u32_e32 vcc, 1, v31
	s_waitcnt lgkmcnt(0)
	v_and_b32_e32 v31, 1, v34
	v_cmp_eq_u32_e64 s[46:47], 1, v31
	s_or_b64 s[46:47], vcc, s[46:47]
	v_cndmask_b32_e64 v31, 0, 1, s[46:47]
	v_cndmask_b32_e64 v33, 0, 1, s[46:47]
	s_andn2_b64 s[66:67], s[66:67], exec
	s_and_b64 s[46:47], s[46:47], exec
	s_or_b64 s[66:67], s[66:67], s[46:47]
.LBB111_185:                            ;   in Loop: Header=BB111_174 Depth=1
	;; [unrolled: 30-line block ×4, first 2 shown]
	s_or_b64 exec, exec, s[68:69]
	s_waitcnt lgkmcnt(0)
	ds_bpermute_b32 v34, v28, v10
	ds_bpermute_b32 v35, v28, v11
	;; [unrolled: 1-line block ×3, first 2 shown]
	v_cmp_le_u32_e32 vcc, v29, v32
	s_and_saveexec_b64 s[68:69], vcc
	s_cbranch_execz .LBB111_173
; %bb.190:                              ;   in Loop: Header=BB111_174 Depth=1
	v_cmp_eq_u16_sdwa vcc, v31, v5 src0_sel:BYTE_0 src1_sel:DWORD
	s_waitcnt lgkmcnt(2)
	v_cndmask_b32_e32 v34, 0, v34, vcc
	s_waitcnt lgkmcnt(1)
	v_cndmask_b32_e32 v32, 0, v35, vcc
	v_add_co_u32_e32 v10, vcc, v34, v10
	v_addc_co_u32_e32 v11, vcc, v32, v11, vcc
	v_and_b32_e32 v31, 1, v31
	v_cmp_eq_u32_e32 vcc, 1, v31
	s_waitcnt lgkmcnt(0)
	v_and_b32_e32 v31, 1, v33
	v_cmp_eq_u32_e64 s[46:47], 1, v31
	s_or_b64 s[46:47], vcc, s[46:47]
	s_andn2_b64 s[66:67], s[66:67], exec
	s_and_b64 s[46:47], s[46:47], exec
	s_or_b64 s[66:67], s[66:67], s[46:47]
	s_branch .LBB111_173
.LBB111_191:                            ;   in Loop: Header=BB111_174 Depth=1
                                        ; implicit-def: $vgpr31
                                        ; implicit-def: $vgpr10_vgpr11
                                        ; implicit-def: $vgpr16
	s_cbranch_execz .LBB111_174
; %bb.192:
	s_and_saveexec_b64 s[46:47], s[42:43]
	s_cbranch_execz .LBB111_194
; %bb.193:
	v_mov_b32_e32 v4, 0
	s_mov_b32 s7, 0
	v_cmp_eq_u16_sdwa vcc, v15, v4 src0_sel:BYTE_0 src1_sel:DWORD
	s_add_i32 s6, s6, 64
	v_cndmask_b32_e32 v6, 0, v8, vcc
	s_lshl_b64 s[42:43], s[6:7], 4
	v_cndmask_b32_e32 v5, 0, v9, vcc
	v_add_co_u32_e32 v2, vcc, v6, v2
	s_add_u32 s42, s50, s42
	v_addc_co_u32_e32 v3, vcc, v5, v3, vcc
	v_or_b32_e32 v5, v15, v27
	s_addc_u32 s43, s51, s43
	v_and_b32_e32 v5, 1, v5
	global_store_dwordx2 v4, v[2:3], s[42:43]
	global_store_byte v4, v5, s[42:43] offset:8
	v_mov_b32_e32 v2, s6
	v_mov_b32_e32 v3, 2
	s_waitcnt vmcnt(0) lgkmcnt(0)
	buffer_wbinvl1_vol
	global_store_byte v2, v3, s[52:53]
.LBB111_194:
	s_or_b64 exec, exec, s[46:47]
	v_cmp_eq_u32_e32 vcc, 0, v0
	s_and_b64 exec, exec, vcc
	s_cbranch_execz .LBB111_196
; %bb.195:
	v_mov_b32_e32 v2, 0
	ds_write_b64 v2, v[8:9]
	ds_write_b8 v2, v27 offset:8
.LBB111_196:
	s_or_b64 exec, exec, s[64:65]
	v_mov_b32_e32 v4, 0
	s_waitcnt lgkmcnt(0)
	; wave barrier
	s_waitcnt lgkmcnt(0)
	ds_read_b64 v[2:3], v4
	v_cmp_eq_u32_sdwa vcc, v14, v4 src0_sel:BYTE_0 src1_sel:DWORD
	s_waitcnt lgkmcnt(0)
	v_cndmask_b32_e32 v6, 0, v2, vcc
	v_cndmask_b32_e32 v5, 0, v3, vcc
	v_add_co_u32_e32 v6, vcc, v12, v6
	v_addc_co_u32_e32 v5, vcc, v13, v5, vcc
	v_cmp_eq_u32_e32 vcc, 0, v0
	v_cndmask_b32_e32 v85, v5, v3, vcc
	v_cndmask_b32_e32 v84, v6, v2, vcc
	v_cmp_eq_u16_sdwa vcc, v1, v4 src0_sel:BYTE_0 src1_sel:DWORD
	v_cndmask_b32_e32 v3, 0, v84, vcc
	v_cndmask_b32_e32 v2, 0, v85, vcc
	v_add_co_u32_e32 v4, vcc, v3, v42
	v_addc_co_u32_e32 v5, vcc, v2, v43, vcc
	v_cndmask_b32_e64 v3, 0, v4, s[40:41]
	v_cndmask_b32_e64 v2, 0, v5, s[40:41]
	v_add_co_u32_e32 v6, vcc, v3, v46
	v_addc_co_u32_e32 v7, vcc, v2, v47, vcc
	v_cndmask_b32_e64 v3, 0, v6, s[38:39]
	v_cndmask_b32_e64 v2, 0, v7, s[38:39]
	;; [unrolled: 4-line block ×19, first 2 shown]
	s_branch .LBB111_217
.LBB111_197:
                                        ; implicit-def: $vgpr84_vgpr85
                                        ; implicit-def: $vgpr104_vgpr105
                                        ; implicit-def: $vgpr102_vgpr103
                                        ; implicit-def: $vgpr100_vgpr101
                                        ; implicit-def: $vgpr98_vgpr99
                                        ; implicit-def: $vgpr96_vgpr97
                                        ; implicit-def: $vgpr94_vgpr95
                                        ; implicit-def: $vgpr92_vgpr93
                                        ; implicit-def: $vgpr90_vgpr91
                                        ; implicit-def: $vgpr88_vgpr89
                                        ; implicit-def: $vgpr86_vgpr87
                                        ; implicit-def: $vgpr38_vgpr39_vgpr40_vgpr41
                                        ; implicit-def: $vgpr34_vgpr35_vgpr36_vgpr37
                                        ; implicit-def: $vgpr30_vgpr31_vgpr32_vgpr33
                                        ; implicit-def: $vgpr26_vgpr27_vgpr28_vgpr29
                                        ; implicit-def: $vgpr22_vgpr23_vgpr24_vgpr25
                                        ; implicit-def: $vgpr18_vgpr19_vgpr20_vgpr21
                                        ; implicit-def: $vgpr14_vgpr15_vgpr16_vgpr17
                                        ; implicit-def: $vgpr10_vgpr11_vgpr12_vgpr13
                                        ; implicit-def: $vgpr6_vgpr7_vgpr8_vgpr9
                                        ; implicit-def: $vgpr2_vgpr3_vgpr4_vgpr5
	s_cbranch_execz .LBB111_217
; %bb.198:
	s_cmp_eq_u64 s[62:63], 0
	s_cbranch_scc1 .LBB111_200
; %bb.199:
	s_load_dwordx2 s[58:59], s[62:63], 0x0
.LBB111_200:
	v_mov_b32_e32 v2, 0
	v_cmp_eq_u16_sdwa s[38:39], v106, v2 src0_sel:BYTE_0 src1_sel:DWORD
	v_cndmask_b32_e64 v4, 0, v42, s[38:39]
	v_cndmask_b32_e64 v3, 0, v43, s[38:39]
	v_add_co_u32_e32 v4, vcc, v4, v46
	v_cmp_eq_u16_sdwa s[36:37], v107, v2 src0_sel:BYTE_0 src1_sel:DWORD
	v_addc_co_u32_e32 v3, vcc, v3, v47, vcc
	v_cndmask_b32_e64 v4, 0, v4, s[36:37]
	v_cndmask_b32_e64 v3, 0, v3, s[36:37]
	v_add_co_u32_e32 v4, vcc, v4, v48
	v_cmp_eq_u16_sdwa s[34:35], v109, v2 src0_sel:BYTE_0 src1_sel:DWORD
	v_addc_co_u32_e32 v3, vcc, v3, v49, vcc
	;; [unrolled: 5-line block ×17, first 2 shown]
	v_cndmask_b32_e64 v4, 0, v4, s[2:3]
	v_cndmask_b32_e64 v3, 0, v3, s[2:3]
	v_add_co_u32_e32 v4, vcc, v4, v80
	v_addc_co_u32_e32 v3, vcc, v3, v81, vcc
	v_cmp_eq_u16_sdwa vcc, v108, v2 src0_sel:BYTE_0 src1_sel:DWORD
	v_cndmask_b32_e32 v4, 0, v4, vcc
	v_cndmask_b32_e32 v3, 0, v3, vcc
	v_add_co_u32_e64 v4, s[40:41], v4, v44
	v_addc_co_u32_e64 v3, s[40:41], v3, v45, s[40:41]
	v_cmp_eq_u16_sdwa s[40:41], v125, v2 src0_sel:BYTE_0 src1_sel:DWORD
	v_cndmask_b32_e64 v2, 0, v4, s[40:41]
	v_or_b32_e32 v4, v127, v123
	v_or_b32_e32 v4, v4, v122
	;; [unrolled: 1-line block ×18, first 2 shown]
	v_cndmask_b32_e64 v3, 0, v3, s[40:41]
	v_add_co_u32_e64 v2, s[40:41], v2, v82
	v_and_b32_e32 v5, 1, v4
	v_mbcnt_hi_u32_b32 v4, -1, v126
	v_addc_co_u32_e64 v3, s[40:41], v3, v83, s[40:41]
	v_and_b32_e32 v7, 15, v4
	v_cmp_eq_u32_e64 s[40:41], 1, v5
	v_mov_b32_dpp v8, v2 row_shr:1 row_mask:0xf bank_mask:0xf
	v_mov_b32_dpp v9, v3 row_shr:1 row_mask:0xf bank_mask:0xf
	;; [unrolled: 1-line block ×3, first 2 shown]
	v_cmp_ne_u32_e64 s[42:43], 0, v7
	v_mov_b32_e32 v6, v5
	s_and_saveexec_b64 s[44:45], s[42:43]
; %bb.201:
	v_and_b32_e32 v6, 1, v10
	v_cndmask_b32_e64 v8, v8, 0, s[40:41]
	v_or_b32_e32 v5, v6, v5
	v_cndmask_b32_e64 v6, v9, 0, s[40:41]
	v_add_co_u32_e64 v2, s[40:41], v8, v2
	v_addc_co_u32_e64 v3, s[40:41], v6, v3, s[40:41]
	v_and_b32_e32 v6, 0xffff, v5
; %bb.202:
	s_or_b64 exec, exec, s[44:45]
	v_mov_b32_dpp v8, v2 row_shr:2 row_mask:0xf bank_mask:0xf
	v_mov_b32_dpp v9, v3 row_shr:2 row_mask:0xf bank_mask:0xf
	v_mov_b32_dpp v10, v6 row_shr:2 row_mask:0xf bank_mask:0xf
	v_cmp_lt_u32_e64 s[40:41], 1, v7
	s_and_saveexec_b64 s[44:45], s[40:41]
	s_cbranch_execz .LBB111_204
; %bb.203:
	v_and_b32_e32 v6, 1, v5
	v_cmp_eq_u32_e64 s[40:41], 1, v6
	v_and_b32_e32 v6, 1, v10
	v_cmp_eq_u32_e64 s[42:43], 1, v6
	s_or_b64 s[42:43], s[40:41], s[42:43]
	v_cmp_eq_u16_e64 s[40:41], 0, v5
	v_cndmask_b32_e64 v6, 0, v8, s[40:41]
	v_cndmask_b32_e64 v10, 0, 1, s[42:43]
	v_cndmask_b32_e64 v5, 0, v9, s[40:41]
	v_add_co_u32_e64 v2, s[40:41], v6, v2
	v_addc_co_u32_e64 v3, s[40:41], v5, v3, s[40:41]
	v_cndmask_b32_e64 v6, 0, 1, s[42:43]
	v_mov_b32_e32 v5, v10
.LBB111_204:
	s_or_b64 exec, exec, s[44:45]
	v_mov_b32_dpp v8, v2 row_shr:4 row_mask:0xf bank_mask:0xf
	v_mov_b32_dpp v9, v3 row_shr:4 row_mask:0xf bank_mask:0xf
	v_mov_b32_dpp v10, v6 row_shr:4 row_mask:0xf bank_mask:0xf
	v_cmp_lt_u32_e64 s[40:41], 3, v7
	s_and_saveexec_b64 s[44:45], s[40:41]
	s_cbranch_execz .LBB111_206
; %bb.205:
	v_and_b32_e32 v6, 1, v5
	v_cmp_eq_u32_e64 s[40:41], 1, v6
	v_and_b32_e32 v6, 1, v10
	v_cmp_eq_u32_e64 s[42:43], 1, v6
	s_or_b64 s[42:43], s[40:41], s[42:43]
	v_cmp_eq_u16_e64 s[40:41], 0, v5
	v_cndmask_b32_e64 v6, 0, v8, s[40:41]
	v_cndmask_b32_e64 v10, 0, 1, s[42:43]
	v_cndmask_b32_e64 v5, 0, v9, s[40:41]
	v_add_co_u32_e64 v2, s[40:41], v6, v2
	v_addc_co_u32_e64 v3, s[40:41], v5, v3, s[40:41]
	v_cndmask_b32_e64 v6, 0, 1, s[42:43]
	v_mov_b32_e32 v5, v10
.LBB111_206:
	;; [unrolled: 22-line block ×3, first 2 shown]
	s_or_b64 exec, exec, s[44:45]
	v_and_b32_e32 v10, 16, v4
	v_mov_b32_dpp v7, v2 row_bcast:15 row_mask:0xf bank_mask:0xf
	v_mov_b32_dpp v8, v3 row_bcast:15 row_mask:0xf bank_mask:0xf
	;; [unrolled: 1-line block ×3, first 2 shown]
	v_cmp_ne_u32_e64 s[40:41], 0, v10
	s_and_saveexec_b64 s[44:45], s[40:41]
	s_cbranch_execz .LBB111_210
; %bb.209:
	v_and_b32_e32 v6, 1, v5
	v_cmp_eq_u32_e64 s[40:41], 1, v6
	v_and_b32_e32 v6, 1, v9
	v_cmp_eq_u32_e64 s[42:43], 1, v6
	s_or_b64 s[42:43], s[40:41], s[42:43]
	v_cmp_eq_u16_e64 s[40:41], 0, v5
	v_cndmask_b32_e64 v6, 0, v7, s[40:41]
	v_cndmask_b32_e64 v9, 0, 1, s[42:43]
	;; [unrolled: 1-line block ×3, first 2 shown]
	v_add_co_u32_e64 v2, s[40:41], v6, v2
	v_addc_co_u32_e64 v3, s[40:41], v5, v3, s[40:41]
	v_cndmask_b32_e64 v6, 0, 1, s[42:43]
	v_mov_b32_e32 v5, v9
.LBB111_210:
	s_or_b64 exec, exec, s[44:45]
	v_mov_b32_dpp v7, v2 row_bcast:31 row_mask:0xf bank_mask:0xf
	v_mov_b32_dpp v8, v3 row_bcast:31 row_mask:0xf bank_mask:0xf
	;; [unrolled: 1-line block ×3, first 2 shown]
	v_cmp_lt_u32_e64 s[40:41], 31, v4
	s_and_saveexec_b64 s[44:45], s[40:41]
	s_cbranch_execz .LBB111_212
; %bb.211:
	v_and_b32_e32 v9, 1, v5
	v_and_b32_e32 v6, 1, v6
	v_cmp_eq_u32_e64 s[40:41], 1, v9
	v_cmp_eq_u32_e64 s[42:43], 1, v6
	s_or_b64 s[40:41], s[40:41], s[42:43]
	v_cndmask_b32_e64 v6, 0, 1, s[40:41]
	v_cmp_eq_u16_e64 s[40:41], 0, v5
	v_cndmask_b32_e64 v7, 0, v7, s[40:41]
	v_cndmask_b32_e64 v5, 0, v8, s[40:41]
	v_add_co_u32_e64 v2, s[40:41], v7, v2
	v_addc_co_u32_e64 v3, s[40:41], v5, v3, s[40:41]
	v_mov_b32_e32 v5, v6
.LBB111_212:
	s_or_b64 exec, exec, s[44:45]
	v_cmp_eq_u32_e64 s[40:41], 63, v0
	s_and_saveexec_b64 s[42:43], s[40:41]
	s_cbranch_execz .LBB111_214
; %bb.213:
	v_mov_b32_e32 v6, 0
	ds_write_b64 v6, v[2:3]
	ds_write_b8 v6, v5 offset:8
.LBB111_214:
	s_or_b64 exec, exec, s[42:43]
	v_cmp_eq_u16_e64 s[40:41], 0, v5
	s_waitcnt lgkmcnt(0)
	v_mov_b32_e32 v7, s58
	v_mov_b32_e32 v6, s59
	v_cndmask_b32_e64 v8, 0, v7, s[40:41]
	v_cndmask_b32_e64 v5, 0, v6, s[40:41]
	v_add_co_u32_e64 v2, s[40:41], v8, v2
	v_addc_co_u32_e64 v3, s[40:41], v5, v3, s[40:41]
	v_add_u32_e32 v5, -1, v4
	v_and_b32_e32 v8, 64, v4
	v_cmp_lt_i32_e64 s[40:41], v5, v8
	v_cndmask_b32_e64 v5, v5, v4, s[40:41]
	v_lshlrev_b32_e32 v5, 2, v5
	ds_bpermute_b32 v2, v5, v2
	ds_bpermute_b32 v3, v5, v3
	v_cmp_eq_u32_e64 s[42:43], 0, v4
	v_cmp_eq_u32_e64 s[40:41], 0, v0
	s_or_b64 s[42:43], s[40:41], s[42:43]
	s_waitcnt lgkmcnt(1)
	v_cndmask_b32_e64 v84, v2, v7, s[42:43]
	v_mov_b32_e32 v2, 0
	s_waitcnt lgkmcnt(0)
	v_cndmask_b32_e64 v85, v3, v6, s[42:43]
	v_cmp_eq_u16_sdwa s[42:43], v1, v2 src0_sel:BYTE_0 src1_sel:DWORD
	v_cndmask_b32_e64 v3, 0, v84, s[42:43]
	v_cndmask_b32_e64 v1, 0, v85, s[42:43]
	v_add_co_u32_e64 v4, s[42:43], v3, v42
	v_addc_co_u32_e64 v5, s[42:43], v1, v43, s[42:43]
	v_cndmask_b32_e64 v3, 0, v4, s[38:39]
	v_cndmask_b32_e64 v1, 0, v5, s[38:39]
	v_add_co_u32_e64 v6, s[38:39], v3, v46
	v_addc_co_u32_e64 v7, s[38:39], v1, v47, s[38:39]
	;; [unrolled: 4-line block ×19, first 2 shown]
	v_cndmask_b32_e32 v105, 0, v103, vcc
	v_cndmask_b32_e32 v104, 0, v102, vcc
	s_waitcnt lgkmcnt(0)
	; wave barrier
	s_and_saveexec_b64 s[2:3], s[40:41]
	s_cbranch_execz .LBB111_216
; %bb.215:
	ds_read_u8 v1, v2 offset:8
	ds_read_b64 v[8:9], v2
	v_pk_mov_b32 v[84:85], s[58:59], s[58:59] op_sel:[0,1]
	s_waitcnt lgkmcnt(1)
	v_cmp_eq_u16_e32 vcc, 0, v1
	s_and_b64 s[4:5], vcc, exec
	s_cselect_b32 s4, s59, 0
	s_cselect_b32 s5, s58, 0
	v_mov_b32_e32 v3, s4
	s_waitcnt lgkmcnt(0)
	v_add_co_u32_e32 v8, vcc, s5, v8
	v_addc_co_u32_e32 v9, vcc, v3, v9, vcc
	global_store_dwordx2 v2, v[8:9], s[50:51] offset:1024
	global_store_byte v2, v1, s[50:51] offset:1032
	v_mov_b32_e32 v1, 2
	s_waitcnt vmcnt(0)
	buffer_wbinvl1_vol
	global_store_byte v2, v1, s[52:53] offset:64
.LBB111_216:
	s_or_b64 exec, exec, s[2:3]
.LBB111_217:
	v_add_co_u32_e32 v2, vcc, v104, v44
	v_addc_co_u32_e32 v3, vcc, v105, v45, vcc
	s_add_u32 s2, s56, s60
	s_addc_u32 s3, s57, s61
	s_and_b64 vcc, exec, s[0:1]
	v_lshlrev_b32_e32 v12, 3, v0
	s_cbranch_vccz .LBB111_259
; %bb.218:
	s_movk_i32 s0, 0xa8
	v_mul_i32_i24_e32 v16, 0xffffff60, v0
	v_mul_u32_u24_e32 v13, 0xa8, v0
	v_mad_u32_u24 v8, v0, s0, v16
	s_waitcnt lgkmcnt(0)
	; wave barrier
	ds_write2_b64 v13, v[84:85], v[4:5] offset1:1
	ds_write2_b64 v13, v[6:7], v[86:87] offset0:2 offset1:3
	ds_write2_b64 v13, v[10:11], v[88:89] offset0:4 offset1:5
	ds_write2_b64 v13, v[14:15], v[90:91] offset0:6 offset1:7
	ds_write2_b64 v13, v[18:19], v[92:93] offset0:8 offset1:9
	ds_write2_b64 v13, v[22:23], v[94:95] offset0:10 offset1:11
	ds_write2_b64 v13, v[26:27], v[96:97] offset0:12 offset1:13
	ds_write2_b64 v13, v[30:31], v[98:99] offset0:14 offset1:15
	ds_write2_b64 v13, v[34:35], v[100:101] offset0:16 offset1:17
	ds_write2_b64 v13, v[38:39], v[102:103] offset0:18 offset1:19
	ds_write_b64 v13, v[2:3] offset:160
	s_waitcnt lgkmcnt(0)
	; wave barrier
	s_waitcnt lgkmcnt(0)
	ds_read2st64_b64 v[76:79], v8 offset0:1 offset1:2
	ds_read2st64_b64 v[72:75], v8 offset0:3 offset1:4
	ds_read2st64_b64 v[68:71], v8 offset0:5 offset1:6
	ds_read2st64_b64 v[64:67], v8 offset0:7 offset1:8
	ds_read2st64_b64 v[60:63], v8 offset0:9 offset1:10
	ds_read2st64_b64 v[56:59], v8 offset0:11 offset1:12
	ds_read2st64_b64 v[52:55], v8 offset0:13 offset1:14
	ds_read2st64_b64 v[48:51], v8 offset0:15 offset1:16
	ds_read2st64_b64 v[44:47], v8 offset0:17 offset1:18
	ds_read2st64_b64 v[40:43], v8 offset0:19 offset1:20
	v_mov_b32_e32 v9, s3
	v_add_co_u32_e32 v8, vcc, s2, v12
	s_add_i32 s33, s33, s54
	v_addc_co_u32_e32 v9, vcc, 0, v9, vcc
	v_mov_b32_e32 v1, 0
	v_cmp_gt_u32_e32 vcc, s33, v0
	s_and_saveexec_b64 s[0:1], vcc
	s_cbranch_execz .LBB111_220
; %bb.219:
	v_add_u32_e32 v13, v13, v16
	ds_read_b64 v[16:17], v13
	s_waitcnt lgkmcnt(0)
	global_store_dwordx2 v[8:9], v[16:17], off
.LBB111_220:
	s_or_b64 exec, exec, s[0:1]
	v_or_b32_e32 v13, 64, v0
	v_cmp_gt_u32_e32 vcc, s33, v13
	s_and_saveexec_b64 s[0:1], vcc
	s_cbranch_execz .LBB111_222
; %bb.221:
	s_waitcnt lgkmcnt(9)
	global_store_dwordx2 v[8:9], v[76:77], off offset:512
.LBB111_222:
	s_or_b64 exec, exec, s[0:1]
	v_or_b32_e32 v13, 0x80, v0
	v_cmp_gt_u32_e32 vcc, s33, v13
	s_and_saveexec_b64 s[0:1], vcc
	s_cbranch_execz .LBB111_224
; %bb.223:
	s_waitcnt lgkmcnt(9)
	global_store_dwordx2 v[8:9], v[78:79], off offset:1024
.LBB111_224:
	;; [unrolled: 9-line block ×7, first 2 shown]
	s_or_b64 exec, exec, s[0:1]
	v_or_b32_e32 v13, 0x200, v0
	v_cmp_gt_u32_e32 vcc, s33, v13
	s_and_saveexec_b64 s[0:1], vcc
	s_cbranch_execz .LBB111_236
; %bb.235:
	v_add_co_u32_e32 v16, vcc, 0x1000, v8
	v_addc_co_u32_e32 v17, vcc, 0, v9, vcc
	s_waitcnt lgkmcnt(6)
	global_store_dwordx2 v[16:17], v[66:67], off
.LBB111_236:
	s_or_b64 exec, exec, s[0:1]
	v_or_b32_e32 v13, 0x240, v0
	v_cmp_gt_u32_e32 vcc, s33, v13
	s_and_saveexec_b64 s[0:1], vcc
	s_cbranch_execz .LBB111_238
; %bb.237:
	v_add_co_u32_e32 v16, vcc, 0x1000, v8
	v_addc_co_u32_e32 v17, vcc, 0, v9, vcc
	s_waitcnt lgkmcnt(5)
	global_store_dwordx2 v[16:17], v[60:61], off offset:512
.LBB111_238:
	s_or_b64 exec, exec, s[0:1]
	v_or_b32_e32 v13, 0x280, v0
	v_cmp_gt_u32_e32 vcc, s33, v13
	s_and_saveexec_b64 s[0:1], vcc
	s_cbranch_execz .LBB111_240
; %bb.239:
	v_add_co_u32_e32 v16, vcc, 0x1000, v8
	v_addc_co_u32_e32 v17, vcc, 0, v9, vcc
	s_waitcnt lgkmcnt(5)
	global_store_dwordx2 v[16:17], v[62:63], off offset:1024
.LBB111_240:
	;; [unrolled: 11-line block ×7, first 2 shown]
	s_or_b64 exec, exec, s[0:1]
	v_or_b32_e32 v13, 0x400, v0
	v_cmp_gt_u32_e32 vcc, s33, v13
	s_and_saveexec_b64 s[0:1], vcc
	s_cbranch_execz .LBB111_252
; %bb.251:
	v_add_co_u32_e32 v16, vcc, 0x2000, v8
	v_addc_co_u32_e32 v17, vcc, 0, v9, vcc
	s_waitcnt lgkmcnt(2)
	global_store_dwordx2 v[16:17], v[50:51], off
.LBB111_252:
	s_or_b64 exec, exec, s[0:1]
	v_or_b32_e32 v13, 0x440, v0
	v_cmp_gt_u32_e32 vcc, s33, v13
	s_and_saveexec_b64 s[0:1], vcc
	s_cbranch_execz .LBB111_254
; %bb.253:
	v_add_co_u32_e32 v16, vcc, 0x2000, v8
	v_addc_co_u32_e32 v17, vcc, 0, v9, vcc
	s_waitcnt lgkmcnt(1)
	global_store_dwordx2 v[16:17], v[44:45], off offset:512
.LBB111_254:
	s_or_b64 exec, exec, s[0:1]
	v_or_b32_e32 v13, 0x480, v0
	v_cmp_gt_u32_e32 vcc, s33, v13
	s_and_saveexec_b64 s[0:1], vcc
	s_cbranch_execz .LBB111_256
; %bb.255:
	v_add_co_u32_e32 v16, vcc, 0x2000, v8
	v_addc_co_u32_e32 v17, vcc, 0, v9, vcc
	s_waitcnt lgkmcnt(1)
	global_store_dwordx2 v[16:17], v[46:47], off offset:1024
.LBB111_256:
	;; [unrolled: 11-line block ×3, first 2 shown]
	s_or_b64 exec, exec, s[0:1]
	v_or_b32_e32 v8, 0x500, v0
	v_cmp_gt_u32_e64 s[0:1], s33, v8
	s_branch .LBB111_261
.LBB111_259:
	s_mov_b64 s[0:1], 0
                                        ; implicit-def: $vgpr42_vgpr43
	s_cbranch_execz .LBB111_261
; %bb.260:
	v_mul_u32_u24_e32 v1, 0xa8, v0
	s_waitcnt lgkmcnt(0)
	; wave barrier
	s_waitcnt lgkmcnt(0)
	s_movk_i32 s4, 0xa8
	ds_write2_b64 v1, v[84:85], v[4:5] offset1:1
	ds_write2_b64 v1, v[6:7], v[86:87] offset0:2 offset1:3
	ds_write2_b64 v1, v[10:11], v[88:89] offset0:4 offset1:5
	;; [unrolled: 1-line block ×9, first 2 shown]
	ds_write_b64 v1, v[2:3] offset:160
	v_mul_i32_i24_e32 v2, 0xffffff60, v0
	v_mad_u32_u24 v10, v0, s4, v2
	s_waitcnt lgkmcnt(0)
	; wave barrier
	s_waitcnt lgkmcnt(0)
	ds_read2st64_b64 v[2:5], v10 offset1:1
	ds_read2st64_b64 v[6:9], v10 offset0:2 offset1:3
	ds_read2st64_b64 v[14:17], v10 offset0:4 offset1:5
	;; [unrolled: 1-line block ×9, first 2 shown]
	ds_read_b64 v[42:43], v10 offset:10240
	v_mov_b32_e32 v10, s3
	v_add_co_u32_e32 v11, vcc, s2, v12
	v_addc_co_u32_e32 v10, vcc, 0, v10, vcc
	s_movk_i32 s4, 0x1000
	s_waitcnt lgkmcnt(10)
	global_store_dwordx2 v12, v[2:3], s[2:3]
	global_store_dwordx2 v12, v[4:5], s[2:3] offset:512
	s_waitcnt lgkmcnt(9)
	global_store_dwordx2 v12, v[6:7], s[2:3] offset:1024
	global_store_dwordx2 v12, v[8:9], s[2:3] offset:1536
	s_waitcnt lgkmcnt(8)
	global_store_dwordx2 v12, v[14:15], s[2:3] offset:2048
	;; [unrolled: 3-line block ×3, first 2 shown]
	global_store_dwordx2 v12, v[20:21], s[2:3] offset:3584
	v_add_co_u32_e32 v2, vcc, s4, v11
	v_addc_co_u32_e32 v3, vcc, 0, v10, vcc
	s_waitcnt lgkmcnt(6)
	global_store_dwordx2 v[2:3], v[22:23], off
	global_store_dwordx2 v[2:3], v[24:25], off offset:512
	s_waitcnt lgkmcnt(5)
	global_store_dwordx2 v[2:3], v[26:27], off offset:1024
	global_store_dwordx2 v[2:3], v[28:29], off offset:1536
	s_waitcnt lgkmcnt(4)
	global_store_dwordx2 v[2:3], v[30:31], off offset:2048
	;; [unrolled: 3-line block ×3, first 2 shown]
	global_store_dwordx2 v[2:3], v[36:37], off offset:3584
	v_add_co_u32_e32 v2, vcc, 0x2000, v11
	v_mov_b32_e32 v1, 0
	v_addc_co_u32_e32 v3, vcc, 0, v10, vcc
	s_or_b64 s[0:1], s[0:1], exec
	s_waitcnt lgkmcnt(2)
	global_store_dwordx2 v[2:3], v[38:39], off
	global_store_dwordx2 v[2:3], v[40:41], off offset:512
	s_waitcnt lgkmcnt(1)
	global_store_dwordx2 v[2:3], v[44:45], off offset:1024
	global_store_dwordx2 v[2:3], v[46:47], off offset:1536
.LBB111_261:
	s_and_saveexec_b64 s[4:5], s[0:1]
	s_cbranch_execz .LBB111_263
; %bb.262:
	v_lshlrev_b64 v[0:1], 3, v[0:1]
	v_mov_b32_e32 v2, s3
	v_add_co_u32_e32 v0, vcc, s2, v0
	v_addc_co_u32_e32 v1, vcc, v2, v1, vcc
	v_add_co_u32_e32 v0, vcc, 0x2000, v0
	v_addc_co_u32_e32 v1, vcc, 0, v1, vcc
	s_waitcnt lgkmcnt(0)
	global_store_dwordx2 v[0:1], v[42:43], off offset:2048
	s_endpgm
.LBB111_263:
	s_endpgm
	.section	.rodata,"a",@progbits
	.p2align	6, 0x0
	.amdhsa_kernel _ZN7rocprim6detail25device_scan_by_key_kernelILNS0_25lookback_scan_determinismE0ELb1ENS0_26wrapped_scan_by_key_configINS_14default_configEimEEPiN6hipcub22TransformInputIteratorImNS7_6CastOpImEEPmlEESB_mNS7_8EqualityENS7_3SumENS0_19lookback_scan_stateINS_5tupleIJmbEEELb0ELb0EEEmEEvT2_T3_T4_T5_T6_T7_T8_mmmPKNSG_IJT9_bEEE
		.amdhsa_group_segment_fixed_size 10752
		.amdhsa_private_segment_fixed_size 0
		.amdhsa_kernarg_size 104
		.amdhsa_user_sgpr_count 6
		.amdhsa_user_sgpr_private_segment_buffer 1
		.amdhsa_user_sgpr_dispatch_ptr 0
		.amdhsa_user_sgpr_queue_ptr 0
		.amdhsa_user_sgpr_kernarg_segment_ptr 1
		.amdhsa_user_sgpr_dispatch_id 0
		.amdhsa_user_sgpr_flat_scratch_init 0
		.amdhsa_user_sgpr_kernarg_preload_length 0
		.amdhsa_user_sgpr_kernarg_preload_offset 0
		.amdhsa_user_sgpr_private_segment_size 0
		.amdhsa_uses_dynamic_stack 0
		.amdhsa_system_sgpr_private_segment_wavefront_offset 0
		.amdhsa_system_sgpr_workgroup_id_x 1
		.amdhsa_system_sgpr_workgroup_id_y 0
		.amdhsa_system_sgpr_workgroup_id_z 0
		.amdhsa_system_sgpr_workgroup_info 0
		.amdhsa_system_vgpr_workitem_id 0
		.amdhsa_next_free_vgpr 128
		.amdhsa_next_free_sgpr 74
		.amdhsa_accum_offset 128
		.amdhsa_reserve_vcc 1
		.amdhsa_reserve_flat_scratch 0
		.amdhsa_float_round_mode_32 0
		.amdhsa_float_round_mode_16_64 0
		.amdhsa_float_denorm_mode_32 3
		.amdhsa_float_denorm_mode_16_64 3
		.amdhsa_dx10_clamp 1
		.amdhsa_ieee_mode 1
		.amdhsa_fp16_overflow 0
		.amdhsa_tg_split 0
		.amdhsa_exception_fp_ieee_invalid_op 0
		.amdhsa_exception_fp_denorm_src 0
		.amdhsa_exception_fp_ieee_div_zero 0
		.amdhsa_exception_fp_ieee_overflow 0
		.amdhsa_exception_fp_ieee_underflow 0
		.amdhsa_exception_fp_ieee_inexact 0
		.amdhsa_exception_int_div_zero 0
	.end_amdhsa_kernel
	.section	.text._ZN7rocprim6detail25device_scan_by_key_kernelILNS0_25lookback_scan_determinismE0ELb1ENS0_26wrapped_scan_by_key_configINS_14default_configEimEEPiN6hipcub22TransformInputIteratorImNS7_6CastOpImEEPmlEESB_mNS7_8EqualityENS7_3SumENS0_19lookback_scan_stateINS_5tupleIJmbEEELb0ELb0EEEmEEvT2_T3_T4_T5_T6_T7_T8_mmmPKNSG_IJT9_bEEE,"axG",@progbits,_ZN7rocprim6detail25device_scan_by_key_kernelILNS0_25lookback_scan_determinismE0ELb1ENS0_26wrapped_scan_by_key_configINS_14default_configEimEEPiN6hipcub22TransformInputIteratorImNS7_6CastOpImEEPmlEESB_mNS7_8EqualityENS7_3SumENS0_19lookback_scan_stateINS_5tupleIJmbEEELb0ELb0EEEmEEvT2_T3_T4_T5_T6_T7_T8_mmmPKNSG_IJT9_bEEE,comdat
.Lfunc_end111:
	.size	_ZN7rocprim6detail25device_scan_by_key_kernelILNS0_25lookback_scan_determinismE0ELb1ENS0_26wrapped_scan_by_key_configINS_14default_configEimEEPiN6hipcub22TransformInputIteratorImNS7_6CastOpImEEPmlEESB_mNS7_8EqualityENS7_3SumENS0_19lookback_scan_stateINS_5tupleIJmbEEELb0ELb0EEEmEEvT2_T3_T4_T5_T6_T7_T8_mmmPKNSG_IJT9_bEEE, .Lfunc_end111-_ZN7rocprim6detail25device_scan_by_key_kernelILNS0_25lookback_scan_determinismE0ELb1ENS0_26wrapped_scan_by_key_configINS_14default_configEimEEPiN6hipcub22TransformInputIteratorImNS7_6CastOpImEEPmlEESB_mNS7_8EqualityENS7_3SumENS0_19lookback_scan_stateINS_5tupleIJmbEEELb0ELb0EEEmEEvT2_T3_T4_T5_T6_T7_T8_mmmPKNSG_IJT9_bEEE
                                        ; -- End function
	.section	.AMDGPU.csdata,"",@progbits
; Kernel info:
; codeLenInByte = 16492
; NumSgprs: 78
; NumVgprs: 128
; NumAgprs: 0
; TotalNumVgprs: 128
; ScratchSize: 0
; MemoryBound: 0
; FloatMode: 240
; IeeeMode: 1
; LDSByteSize: 10752 bytes/workgroup (compile time only)
; SGPRBlocks: 9
; VGPRBlocks: 15
; NumSGPRsForWavesPerEU: 78
; NumVGPRsForWavesPerEU: 128
; AccumOffset: 128
; Occupancy: 2
; WaveLimiterHint : 1
; COMPUTE_PGM_RSRC2:SCRATCH_EN: 0
; COMPUTE_PGM_RSRC2:USER_SGPR: 6
; COMPUTE_PGM_RSRC2:TRAP_HANDLER: 0
; COMPUTE_PGM_RSRC2:TGID_X_EN: 1
; COMPUTE_PGM_RSRC2:TGID_Y_EN: 0
; COMPUTE_PGM_RSRC2:TGID_Z_EN: 0
; COMPUTE_PGM_RSRC2:TIDIG_COMP_CNT: 0
; COMPUTE_PGM_RSRC3_GFX90A:ACCUM_OFFSET: 31
; COMPUTE_PGM_RSRC3_GFX90A:TG_SPLIT: 0
	.section	.text._ZN7rocprim6detail25device_scan_by_key_kernelILNS0_25lookback_scan_determinismE0ELb1ENS0_26wrapped_scan_by_key_configINS_14default_configEiyEEPiN6hipcub22TransformInputIteratorIyNS7_6CastOpIyEEPylEESB_yNS7_8EqualityENS7_3SumENS0_19lookback_scan_stateINS_5tupleIJybEEELb1ELb0EEEyEEvT2_T3_T4_T5_T6_T7_T8_mmmPKNSG_IJT9_bEEE,"axG",@progbits,_ZN7rocprim6detail25device_scan_by_key_kernelILNS0_25lookback_scan_determinismE0ELb1ENS0_26wrapped_scan_by_key_configINS_14default_configEiyEEPiN6hipcub22TransformInputIteratorIyNS7_6CastOpIyEEPylEESB_yNS7_8EqualityENS7_3SumENS0_19lookback_scan_stateINS_5tupleIJybEEELb1ELb0EEEyEEvT2_T3_T4_T5_T6_T7_T8_mmmPKNSG_IJT9_bEEE,comdat
	.protected	_ZN7rocprim6detail25device_scan_by_key_kernelILNS0_25lookback_scan_determinismE0ELb1ENS0_26wrapped_scan_by_key_configINS_14default_configEiyEEPiN6hipcub22TransformInputIteratorIyNS7_6CastOpIyEEPylEESB_yNS7_8EqualityENS7_3SumENS0_19lookback_scan_stateINS_5tupleIJybEEELb1ELb0EEEyEEvT2_T3_T4_T5_T6_T7_T8_mmmPKNSG_IJT9_bEEE ; -- Begin function _ZN7rocprim6detail25device_scan_by_key_kernelILNS0_25lookback_scan_determinismE0ELb1ENS0_26wrapped_scan_by_key_configINS_14default_configEiyEEPiN6hipcub22TransformInputIteratorIyNS7_6CastOpIyEEPylEESB_yNS7_8EqualityENS7_3SumENS0_19lookback_scan_stateINS_5tupleIJybEEELb1ELb0EEEyEEvT2_T3_T4_T5_T6_T7_T8_mmmPKNSG_IJT9_bEEE
	.globl	_ZN7rocprim6detail25device_scan_by_key_kernelILNS0_25lookback_scan_determinismE0ELb1ENS0_26wrapped_scan_by_key_configINS_14default_configEiyEEPiN6hipcub22TransformInputIteratorIyNS7_6CastOpIyEEPylEESB_yNS7_8EqualityENS7_3SumENS0_19lookback_scan_stateINS_5tupleIJybEEELb1ELb0EEEyEEvT2_T3_T4_T5_T6_T7_T8_mmmPKNSG_IJT9_bEEE
	.p2align	8
	.type	_ZN7rocprim6detail25device_scan_by_key_kernelILNS0_25lookback_scan_determinismE0ELb1ENS0_26wrapped_scan_by_key_configINS_14default_configEiyEEPiN6hipcub22TransformInputIteratorIyNS7_6CastOpIyEEPylEESB_yNS7_8EqualityENS7_3SumENS0_19lookback_scan_stateINS_5tupleIJybEEELb1ELb0EEEyEEvT2_T3_T4_T5_T6_T7_T8_mmmPKNSG_IJT9_bEEE,@function
_ZN7rocprim6detail25device_scan_by_key_kernelILNS0_25lookback_scan_determinismE0ELb1ENS0_26wrapped_scan_by_key_configINS_14default_configEiyEEPiN6hipcub22TransformInputIteratorIyNS7_6CastOpIyEEPylEESB_yNS7_8EqualityENS7_3SumENS0_19lookback_scan_stateINS_5tupleIJybEEELb1ELb0EEEyEEvT2_T3_T4_T5_T6_T7_T8_mmmPKNSG_IJT9_bEEE: ; @_ZN7rocprim6detail25device_scan_by_key_kernelILNS0_25lookback_scan_determinismE0ELb1ENS0_26wrapped_scan_by_key_configINS_14default_configEiyEEPiN6hipcub22TransformInputIteratorIyNS7_6CastOpIyEEPylEESB_yNS7_8EqualityENS7_3SumENS0_19lookback_scan_stateINS_5tupleIJybEEELb1ELb0EEEyEEvT2_T3_T4_T5_T6_T7_T8_mmmPKNSG_IJT9_bEEE
; %bb.0:
	s_endpgm
	.section	.rodata,"a",@progbits
	.p2align	6, 0x0
	.amdhsa_kernel _ZN7rocprim6detail25device_scan_by_key_kernelILNS0_25lookback_scan_determinismE0ELb1ENS0_26wrapped_scan_by_key_configINS_14default_configEiyEEPiN6hipcub22TransformInputIteratorIyNS7_6CastOpIyEEPylEESB_yNS7_8EqualityENS7_3SumENS0_19lookback_scan_stateINS_5tupleIJybEEELb1ELb0EEEyEEvT2_T3_T4_T5_T6_T7_T8_mmmPKNSG_IJT9_bEEE
		.amdhsa_group_segment_fixed_size 0
		.amdhsa_private_segment_fixed_size 0
		.amdhsa_kernarg_size 104
		.amdhsa_user_sgpr_count 6
		.amdhsa_user_sgpr_private_segment_buffer 1
		.amdhsa_user_sgpr_dispatch_ptr 0
		.amdhsa_user_sgpr_queue_ptr 0
		.amdhsa_user_sgpr_kernarg_segment_ptr 1
		.amdhsa_user_sgpr_dispatch_id 0
		.amdhsa_user_sgpr_flat_scratch_init 0
		.amdhsa_user_sgpr_kernarg_preload_length 0
		.amdhsa_user_sgpr_kernarg_preload_offset 0
		.amdhsa_user_sgpr_private_segment_size 0
		.amdhsa_uses_dynamic_stack 0
		.amdhsa_system_sgpr_private_segment_wavefront_offset 0
		.amdhsa_system_sgpr_workgroup_id_x 1
		.amdhsa_system_sgpr_workgroup_id_y 0
		.amdhsa_system_sgpr_workgroup_id_z 0
		.amdhsa_system_sgpr_workgroup_info 0
		.amdhsa_system_vgpr_workitem_id 0
		.amdhsa_next_free_vgpr 1
		.amdhsa_next_free_sgpr 0
		.amdhsa_accum_offset 4
		.amdhsa_reserve_vcc 0
		.amdhsa_reserve_flat_scratch 0
		.amdhsa_float_round_mode_32 0
		.amdhsa_float_round_mode_16_64 0
		.amdhsa_float_denorm_mode_32 3
		.amdhsa_float_denorm_mode_16_64 3
		.amdhsa_dx10_clamp 1
		.amdhsa_ieee_mode 1
		.amdhsa_fp16_overflow 0
		.amdhsa_tg_split 0
		.amdhsa_exception_fp_ieee_invalid_op 0
		.amdhsa_exception_fp_denorm_src 0
		.amdhsa_exception_fp_ieee_div_zero 0
		.amdhsa_exception_fp_ieee_overflow 0
		.amdhsa_exception_fp_ieee_underflow 0
		.amdhsa_exception_fp_ieee_inexact 0
		.amdhsa_exception_int_div_zero 0
	.end_amdhsa_kernel
	.section	.text._ZN7rocprim6detail25device_scan_by_key_kernelILNS0_25lookback_scan_determinismE0ELb1ENS0_26wrapped_scan_by_key_configINS_14default_configEiyEEPiN6hipcub22TransformInputIteratorIyNS7_6CastOpIyEEPylEESB_yNS7_8EqualityENS7_3SumENS0_19lookback_scan_stateINS_5tupleIJybEEELb1ELb0EEEyEEvT2_T3_T4_T5_T6_T7_T8_mmmPKNSG_IJT9_bEEE,"axG",@progbits,_ZN7rocprim6detail25device_scan_by_key_kernelILNS0_25lookback_scan_determinismE0ELb1ENS0_26wrapped_scan_by_key_configINS_14default_configEiyEEPiN6hipcub22TransformInputIteratorIyNS7_6CastOpIyEEPylEESB_yNS7_8EqualityENS7_3SumENS0_19lookback_scan_stateINS_5tupleIJybEEELb1ELb0EEEyEEvT2_T3_T4_T5_T6_T7_T8_mmmPKNSG_IJT9_bEEE,comdat
.Lfunc_end112:
	.size	_ZN7rocprim6detail25device_scan_by_key_kernelILNS0_25lookback_scan_determinismE0ELb1ENS0_26wrapped_scan_by_key_configINS_14default_configEiyEEPiN6hipcub22TransformInputIteratorIyNS7_6CastOpIyEEPylEESB_yNS7_8EqualityENS7_3SumENS0_19lookback_scan_stateINS_5tupleIJybEEELb1ELb0EEEyEEvT2_T3_T4_T5_T6_T7_T8_mmmPKNSG_IJT9_bEEE, .Lfunc_end112-_ZN7rocprim6detail25device_scan_by_key_kernelILNS0_25lookback_scan_determinismE0ELb1ENS0_26wrapped_scan_by_key_configINS_14default_configEiyEEPiN6hipcub22TransformInputIteratorIyNS7_6CastOpIyEEPylEESB_yNS7_8EqualityENS7_3SumENS0_19lookback_scan_stateINS_5tupleIJybEEELb1ELb0EEEyEEvT2_T3_T4_T5_T6_T7_T8_mmmPKNSG_IJT9_bEEE
                                        ; -- End function
	.section	.AMDGPU.csdata,"",@progbits
; Kernel info:
; codeLenInByte = 4
; NumSgprs: 4
; NumVgprs: 0
; NumAgprs: 0
; TotalNumVgprs: 0
; ScratchSize: 0
; MemoryBound: 0
; FloatMode: 240
; IeeeMode: 1
; LDSByteSize: 0 bytes/workgroup (compile time only)
; SGPRBlocks: 0
; VGPRBlocks: 0
; NumSGPRsForWavesPerEU: 4
; NumVGPRsForWavesPerEU: 1
; AccumOffset: 4
; Occupancy: 8
; WaveLimiterHint : 0
; COMPUTE_PGM_RSRC2:SCRATCH_EN: 0
; COMPUTE_PGM_RSRC2:USER_SGPR: 6
; COMPUTE_PGM_RSRC2:TRAP_HANDLER: 0
; COMPUTE_PGM_RSRC2:TGID_X_EN: 1
; COMPUTE_PGM_RSRC2:TGID_Y_EN: 0
; COMPUTE_PGM_RSRC2:TGID_Z_EN: 0
; COMPUTE_PGM_RSRC2:TIDIG_COMP_CNT: 0
; COMPUTE_PGM_RSRC3_GFX90A:ACCUM_OFFSET: 0
; COMPUTE_PGM_RSRC3_GFX90A:TG_SPLIT: 0
	.section	.text._ZN7rocprim6detail25device_scan_by_key_kernelILNS0_25lookback_scan_determinismE0ELb1ENS0_26wrapped_scan_by_key_configINS_14default_configEiyEEPiN6hipcub22TransformInputIteratorIyNS7_6CastOpIyEEPylEESB_yNS7_8EqualityENS7_3SumENS0_19lookback_scan_stateINS_5tupleIJybEEELb0ELb0EEEyEEvT2_T3_T4_T5_T6_T7_T8_mmmPKNSG_IJT9_bEEE,"axG",@progbits,_ZN7rocprim6detail25device_scan_by_key_kernelILNS0_25lookback_scan_determinismE0ELb1ENS0_26wrapped_scan_by_key_configINS_14default_configEiyEEPiN6hipcub22TransformInputIteratorIyNS7_6CastOpIyEEPylEESB_yNS7_8EqualityENS7_3SumENS0_19lookback_scan_stateINS_5tupleIJybEEELb0ELb0EEEyEEvT2_T3_T4_T5_T6_T7_T8_mmmPKNSG_IJT9_bEEE,comdat
	.protected	_ZN7rocprim6detail25device_scan_by_key_kernelILNS0_25lookback_scan_determinismE0ELb1ENS0_26wrapped_scan_by_key_configINS_14default_configEiyEEPiN6hipcub22TransformInputIteratorIyNS7_6CastOpIyEEPylEESB_yNS7_8EqualityENS7_3SumENS0_19lookback_scan_stateINS_5tupleIJybEEELb0ELb0EEEyEEvT2_T3_T4_T5_T6_T7_T8_mmmPKNSG_IJT9_bEEE ; -- Begin function _ZN7rocprim6detail25device_scan_by_key_kernelILNS0_25lookback_scan_determinismE0ELb1ENS0_26wrapped_scan_by_key_configINS_14default_configEiyEEPiN6hipcub22TransformInputIteratorIyNS7_6CastOpIyEEPylEESB_yNS7_8EqualityENS7_3SumENS0_19lookback_scan_stateINS_5tupleIJybEEELb0ELb0EEEyEEvT2_T3_T4_T5_T6_T7_T8_mmmPKNSG_IJT9_bEEE
	.globl	_ZN7rocprim6detail25device_scan_by_key_kernelILNS0_25lookback_scan_determinismE0ELb1ENS0_26wrapped_scan_by_key_configINS_14default_configEiyEEPiN6hipcub22TransformInputIteratorIyNS7_6CastOpIyEEPylEESB_yNS7_8EqualityENS7_3SumENS0_19lookback_scan_stateINS_5tupleIJybEEELb0ELb0EEEyEEvT2_T3_T4_T5_T6_T7_T8_mmmPKNSG_IJT9_bEEE
	.p2align	8
	.type	_ZN7rocprim6detail25device_scan_by_key_kernelILNS0_25lookback_scan_determinismE0ELb1ENS0_26wrapped_scan_by_key_configINS_14default_configEiyEEPiN6hipcub22TransformInputIteratorIyNS7_6CastOpIyEEPylEESB_yNS7_8EqualityENS7_3SumENS0_19lookback_scan_stateINS_5tupleIJybEEELb0ELb0EEEyEEvT2_T3_T4_T5_T6_T7_T8_mmmPKNSG_IJT9_bEEE,@function
_ZN7rocprim6detail25device_scan_by_key_kernelILNS0_25lookback_scan_determinismE0ELb1ENS0_26wrapped_scan_by_key_configINS_14default_configEiyEEPiN6hipcub22TransformInputIteratorIyNS7_6CastOpIyEEPylEESB_yNS7_8EqualityENS7_3SumENS0_19lookback_scan_stateINS_5tupleIJybEEELb0ELb0EEEyEEvT2_T3_T4_T5_T6_T7_T8_mmmPKNSG_IJT9_bEEE: ; @_ZN7rocprim6detail25device_scan_by_key_kernelILNS0_25lookback_scan_determinismE0ELb1ENS0_26wrapped_scan_by_key_configINS_14default_configEiyEEPiN6hipcub22TransformInputIteratorIyNS7_6CastOpIyEEPylEESB_yNS7_8EqualityENS7_3SumENS0_19lookback_scan_stateINS_5tupleIJybEEELb0ELb0EEEyEEvT2_T3_T4_T5_T6_T7_T8_mmmPKNSG_IJT9_bEEE
; %bb.0:
	s_load_dwordx4 s[0:3], s[4:5], 0x0
	s_load_dwordx4 s[56:59], s[4:5], 0x18
	s_load_dwordx8 s[48:55], s[4:5], 0x30
	s_load_dwordx2 s[62:63], s[4:5], 0x60
	s_load_dwordx4 s[8:11], s[4:5], 0x50
	s_mul_i32 s4, s6, 0x540
	s_mov_b32 s5, 0
	s_lshl_b64 s[12:13], s[4:5], 2
	s_waitcnt lgkmcnt(0)
	s_add_u32 s66, s0, s12
	s_addc_u32 s67, s1, s13
	s_lshl_b64 s[60:61], s[4:5], 3
	s_add_u32 s64, s2, s60
	s_addc_u32 s65, s3, s61
	s_add_u32 s0, s6, s8
	s_addc_u32 s1, 0, s9
	s_add_u32 s4, s10, -1
	s_addc_u32 s5, s11, -1
	v_pk_mov_b32 v[2:3], s[4:5], s[4:5] op_sel:[0,1]
	v_cmp_ge_u64_e64 s[0:1], s[0:1], v[2:3]
	s_mov_b64 s[2:3], -1
	s_and_b64 vcc, exec, s[0:1]
	s_mul_i32 s33, s4, 0xfffffac0
	v_lshlrev_b32_e32 v84, 2, v0
	s_cbranch_vccz .LBB113_65
; %bb.1:
	s_load_dword s7, s[66:67], 0x0
	s_add_i32 s55, s33, s54
	v_mov_b32_e32 v1, s67
	v_add_co_u32_e32 v2, vcc, s66, v84
	v_addc_co_u32_e32 v3, vcc, 0, v1, vcc
	v_cmp_gt_u32_e64 s[2:3], s55, v0
	s_waitcnt lgkmcnt(0)
	v_mov_b32_e32 v1, s7
	s_and_saveexec_b64 s[4:5], s[2:3]
	s_cbranch_execz .LBB113_3
; %bb.2:
	global_load_dword v1, v[2:3], off
.LBB113_3:
	s_or_b64 exec, exec, s[4:5]
	v_or_b32_e32 v4, 64, v0
	v_cmp_gt_u32_e64 s[46:47], s55, v4
	v_mov_b32_e32 v4, s7
	s_and_saveexec_b64 s[4:5], s[46:47]
	s_cbranch_execz .LBB113_5
; %bb.4:
	global_load_dword v4, v[2:3], off offset:256
.LBB113_5:
	s_or_b64 exec, exec, s[4:5]
	v_or_b32_e32 v5, 0x80, v0
	v_cmp_gt_u32_e64 s[12:13], s55, v5
	v_mov_b32_e32 v5, s7
	s_and_saveexec_b64 s[4:5], s[12:13]
	s_cbranch_execz .LBB113_7
; %bb.6:
	global_load_dword v5, v[2:3], off offset:512
.LBB113_7:
	s_or_b64 exec, exec, s[4:5]
	v_or_b32_e32 v6, 0xc0, v0
	v_cmp_gt_u32_e64 s[18:19], s55, v6
	v_mov_b32_e32 v6, s7
	s_and_saveexec_b64 s[4:5], s[18:19]
	s_cbranch_execz .LBB113_9
; %bb.8:
	global_load_dword v6, v[2:3], off offset:768
.LBB113_9:
	s_or_b64 exec, exec, s[4:5]
	v_or_b32_e32 v7, 0x100, v0
	v_cmp_gt_u32_e64 s[26:27], s55, v7
	v_mov_b32_e32 v7, s7
	s_and_saveexec_b64 s[4:5], s[26:27]
	s_cbranch_execz .LBB113_11
; %bb.10:
	global_load_dword v7, v[2:3], off offset:1024
.LBB113_11:
	s_or_b64 exec, exec, s[4:5]
	v_or_b32_e32 v8, 0x140, v0
	v_cmp_gt_u32_e64 s[30:31], s55, v8
	v_mov_b32_e32 v8, s7
	s_and_saveexec_b64 s[4:5], s[30:31]
	s_cbranch_execz .LBB113_13
; %bb.12:
	global_load_dword v8, v[2:3], off offset:1280
.LBB113_13:
	s_or_b64 exec, exec, s[4:5]
	v_or_b32_e32 v9, 0x180, v0
	v_cmp_gt_u32_e64 s[36:37], s55, v9
	v_mov_b32_e32 v9, s7
	s_and_saveexec_b64 s[4:5], s[36:37]
	s_cbranch_execz .LBB113_15
; %bb.14:
	global_load_dword v9, v[2:3], off offset:1536
.LBB113_15:
	s_or_b64 exec, exec, s[4:5]
	v_or_b32_e32 v10, 0x1c0, v0
	v_cmp_gt_u32_e64 s[40:41], s55, v10
	v_mov_b32_e32 v10, s7
	s_and_saveexec_b64 s[4:5], s[40:41]
	s_cbranch_execz .LBB113_17
; %bb.16:
	global_load_dword v10, v[2:3], off offset:1792
.LBB113_17:
	s_or_b64 exec, exec, s[4:5]
	v_or_b32_e32 v11, 0x200, v0
	v_cmp_gt_u32_e64 s[44:45], s55, v11
	v_mov_b32_e32 v11, s7
	s_and_saveexec_b64 s[4:5], s[44:45]
	s_cbranch_execz .LBB113_19
; %bb.18:
	global_load_dword v11, v[2:3], off offset:2048
.LBB113_19:
	s_or_b64 exec, exec, s[4:5]
	v_or_b32_e32 v12, 0x240, v0
	v_cmp_gt_u32_e64 s[42:43], s55, v12
	v_mov_b32_e32 v12, s7
	s_and_saveexec_b64 s[4:5], s[42:43]
	s_cbranch_execz .LBB113_21
; %bb.20:
	global_load_dword v12, v[2:3], off offset:2304
.LBB113_21:
	s_or_b64 exec, exec, s[4:5]
	v_or_b32_e32 v13, 0x280, v0
	v_cmp_gt_u32_e64 s[38:39], s55, v13
	v_mov_b32_e32 v13, s7
	s_and_saveexec_b64 s[4:5], s[38:39]
	s_cbranch_execz .LBB113_23
; %bb.22:
	global_load_dword v13, v[2:3], off offset:2560
.LBB113_23:
	s_or_b64 exec, exec, s[4:5]
	v_or_b32_e32 v14, 0x2c0, v0
	v_cmp_gt_u32_e64 s[34:35], s55, v14
	v_mov_b32_e32 v14, s7
	s_and_saveexec_b64 s[4:5], s[34:35]
	s_cbranch_execz .LBB113_25
; %bb.24:
	global_load_dword v14, v[2:3], off offset:2816
.LBB113_25:
	s_or_b64 exec, exec, s[4:5]
	v_or_b32_e32 v15, 0x300, v0
	v_cmp_gt_u32_e64 s[28:29], s55, v15
	v_mov_b32_e32 v15, s7
	s_and_saveexec_b64 s[4:5], s[28:29]
	s_cbranch_execz .LBB113_27
; %bb.26:
	global_load_dword v15, v[2:3], off offset:3072
.LBB113_27:
	s_or_b64 exec, exec, s[4:5]
	v_or_b32_e32 v16, 0x340, v0
	v_cmp_gt_u32_e64 s[20:21], s55, v16
	v_mov_b32_e32 v16, s7
	s_and_saveexec_b64 s[4:5], s[20:21]
	s_cbranch_execz .LBB113_29
; %bb.28:
	global_load_dword v16, v[2:3], off offset:3328
.LBB113_29:
	s_or_b64 exec, exec, s[4:5]
	v_or_b32_e32 v17, 0x380, v0
	v_cmp_gt_u32_e64 s[14:15], s55, v17
	v_mov_b32_e32 v17, s7
	s_and_saveexec_b64 s[4:5], s[14:15]
	s_cbranch_execz .LBB113_31
; %bb.30:
	global_load_dword v17, v[2:3], off offset:3584
.LBB113_31:
	s_or_b64 exec, exec, s[4:5]
	v_or_b32_e32 v18, 0x3c0, v0
	v_cmp_gt_u32_e64 s[8:9], s55, v18
	v_mov_b32_e32 v18, s7
	s_and_saveexec_b64 s[4:5], s[8:9]
	s_cbranch_execz .LBB113_33
; %bb.32:
	global_load_dword v18, v[2:3], off offset:3840
.LBB113_33:
	s_or_b64 exec, exec, s[4:5]
	v_or_b32_e32 v19, 0x400, v0
	v_cmp_gt_u32_e64 s[4:5], s55, v19
	v_mov_b32_e32 v19, s7
	s_and_saveexec_b64 s[10:11], s[4:5]
	s_cbranch_execz .LBB113_35
; %bb.34:
	v_add_co_u32_e32 v20, vcc, 0x1000, v2
	v_addc_co_u32_e32 v21, vcc, 0, v3, vcc
	global_load_dword v19, v[20:21], off
.LBB113_35:
	s_or_b64 exec, exec, s[10:11]
	v_or_b32_e32 v20, 0x440, v0
	v_cmp_gt_u32_e64 s[10:11], s55, v20
	v_mov_b32_e32 v20, s7
	s_and_saveexec_b64 s[16:17], s[10:11]
	s_cbranch_execz .LBB113_37
; %bb.36:
	v_add_co_u32_e32 v20, vcc, 0x1000, v2
	v_addc_co_u32_e32 v21, vcc, 0, v3, vcc
	global_load_dword v20, v[20:21], off offset:256
.LBB113_37:
	s_or_b64 exec, exec, s[16:17]
	v_or_b32_e32 v21, 0x480, v0
	v_cmp_gt_u32_e64 s[16:17], s55, v21
	v_mov_b32_e32 v21, s7
	s_and_saveexec_b64 s[22:23], s[16:17]
	s_cbranch_execz .LBB113_39
; %bb.38:
	v_add_co_u32_e32 v22, vcc, 0x1000, v2
	v_addc_co_u32_e32 v23, vcc, 0, v3, vcc
	global_load_dword v21, v[22:23], off offset:512
.LBB113_39:
	;; [unrolled: 11-line block ×4, first 2 shown]
	s_or_b64 exec, exec, s[68:69]
	s_movk_i32 s7, 0x50
	s_waitcnt vmcnt(0)
	ds_write2st64_b32 v84, v1, v4 offset1:1
	ds_write2st64_b32 v84, v5, v6 offset0:2 offset1:3
	ds_write2st64_b32 v84, v7, v8 offset0:4 offset1:5
	;; [unrolled: 1-line block ×9, first 2 shown]
	ds_write_b32 v84, v23 offset:5120
	v_mad_u32_u24 v1, v0, s7, v84
	s_waitcnt lgkmcnt(0)
	; wave barrier
	s_waitcnt lgkmcnt(0)
	ds_read_b32 v85, v1
	ds_read2_b32 v[24:25], v1 offset0:1 offset1:2
	ds_read2_b32 v[22:23], v1 offset0:3 offset1:4
	;; [unrolled: 1-line block ×10, first 2 shown]
	s_load_dword s7, s[66:67], 0x0
	s_movk_i32 s68, 0xffb0
	v_mad_i32_i24 v1, v0, s68, v1
	v_cmp_ne_u32_e32 vcc, 63, v0
	s_waitcnt lgkmcnt(0)
	ds_write_b32 v1, v85 offset:5632
	v_mov_b32_e32 v82, s7
	s_waitcnt lgkmcnt(0)
	; wave barrier
	s_waitcnt lgkmcnt(0)
	s_and_saveexec_b64 s[68:69], vcc
	s_cbranch_execz .LBB113_45
; %bb.44:
	ds_read_b32 v82, v84 offset:5636
.LBB113_45:
	s_or_b64 exec, exec, s[68:69]
	v_lshlrev_b32_e32 v2, 3, v0
	v_mov_b32_e32 v3, s65
	v_add_co_u32_e32 v4, vcc, s64, v2
	v_addc_co_u32_e32 v5, vcc, 0, v3, vcc
	s_waitcnt lgkmcnt(0)
	; wave barrier
	s_waitcnt lgkmcnt(0)
                                        ; implicit-def: $vgpr2_vgpr3
	s_and_saveexec_b64 s[68:69], s[2:3]
	s_cbranch_execz .LBB113_66
; %bb.46:
	global_load_dwordx2 v[2:3], v[4:5], off
	s_or_b64 exec, exec, s[68:69]
                                        ; implicit-def: $vgpr26_vgpr27
	s_and_saveexec_b64 s[2:3], s[46:47]
	s_cbranch_execnz .LBB113_67
.LBB113_47:
	s_or_b64 exec, exec, s[2:3]
                                        ; implicit-def: $vgpr28_vgpr29
	s_and_saveexec_b64 s[2:3], s[12:13]
	s_cbranch_execz .LBB113_68
.LBB113_48:
	global_load_dwordx2 v[28:29], v[4:5], off offset:1024
	s_or_b64 exec, exec, s[2:3]
                                        ; implicit-def: $vgpr30_vgpr31
	s_and_saveexec_b64 s[2:3], s[18:19]
	s_cbranch_execnz .LBB113_69
.LBB113_49:
	s_or_b64 exec, exec, s[2:3]
                                        ; implicit-def: $vgpr32_vgpr33
	s_and_saveexec_b64 s[2:3], s[26:27]
	s_cbranch_execz .LBB113_70
.LBB113_50:
	global_load_dwordx2 v[32:33], v[4:5], off offset:2048
	s_or_b64 exec, exec, s[2:3]
                                        ; implicit-def: $vgpr34_vgpr35
	s_and_saveexec_b64 s[2:3], s[30:31]
	s_cbranch_execnz .LBB113_71
.LBB113_51:
	s_or_b64 exec, exec, s[2:3]
                                        ; implicit-def: $vgpr36_vgpr37
	s_and_saveexec_b64 s[2:3], s[36:37]
	s_cbranch_execz .LBB113_72
.LBB113_52:
	global_load_dwordx2 v[36:37], v[4:5], off offset:3072
	s_or_b64 exec, exec, s[2:3]
                                        ; implicit-def: $vgpr38_vgpr39
	s_and_saveexec_b64 s[2:3], s[40:41]
	s_cbranch_execnz .LBB113_73
.LBB113_53:
	s_or_b64 exec, exec, s[2:3]
                                        ; implicit-def: $vgpr40_vgpr41
	s_and_saveexec_b64 s[2:3], s[44:45]
	s_cbranch_execz .LBB113_74
.LBB113_54:
	v_add_co_u32_e32 v40, vcc, 0x1000, v4
	v_addc_co_u32_e32 v41, vcc, 0, v5, vcc
	global_load_dwordx2 v[40:41], v[40:41], off
	s_or_b64 exec, exec, s[2:3]
                                        ; implicit-def: $vgpr42_vgpr43
	s_and_saveexec_b64 s[2:3], s[42:43]
	s_cbranch_execnz .LBB113_75
.LBB113_55:
	s_or_b64 exec, exec, s[2:3]
                                        ; implicit-def: $vgpr44_vgpr45
	s_and_saveexec_b64 s[2:3], s[38:39]
	s_cbranch_execz .LBB113_76
.LBB113_56:
	v_add_co_u32_e32 v44, vcc, 0x1000, v4
	v_addc_co_u32_e32 v45, vcc, 0, v5, vcc
	global_load_dwordx2 v[44:45], v[44:45], off offset:1024
	s_or_b64 exec, exec, s[2:3]
                                        ; implicit-def: $vgpr46_vgpr47
	s_and_saveexec_b64 s[2:3], s[34:35]
	s_cbranch_execnz .LBB113_77
.LBB113_57:
	s_or_b64 exec, exec, s[2:3]
                                        ; implicit-def: $vgpr48_vgpr49
	s_and_saveexec_b64 s[2:3], s[28:29]
	s_cbranch_execz .LBB113_78
.LBB113_58:
	v_add_co_u32_e32 v48, vcc, 0x1000, v4
	v_addc_co_u32_e32 v49, vcc, 0, v5, vcc
	global_load_dwordx2 v[48:49], v[48:49], off offset:2048
	s_or_b64 exec, exec, s[2:3]
                                        ; implicit-def: $vgpr50_vgpr51
	s_and_saveexec_b64 s[2:3], s[20:21]
	s_cbranch_execnz .LBB113_79
.LBB113_59:
	s_or_b64 exec, exec, s[2:3]
                                        ; implicit-def: $vgpr52_vgpr53
	s_and_saveexec_b64 s[2:3], s[14:15]
	s_cbranch_execz .LBB113_80
.LBB113_60:
	v_add_co_u32_e32 v52, vcc, 0x1000, v4
	v_addc_co_u32_e32 v53, vcc, 0, v5, vcc
	global_load_dwordx2 v[52:53], v[52:53], off offset:3072
	s_or_b64 exec, exec, s[2:3]
                                        ; implicit-def: $vgpr54_vgpr55
	s_and_saveexec_b64 s[2:3], s[8:9]
	s_cbranch_execnz .LBB113_81
.LBB113_61:
	s_or_b64 exec, exec, s[2:3]
                                        ; implicit-def: $vgpr56_vgpr57
	s_and_saveexec_b64 s[2:3], s[4:5]
	s_cbranch_execz .LBB113_82
.LBB113_62:
	v_add_co_u32_e32 v56, vcc, 0x2000, v4
	v_addc_co_u32_e32 v57, vcc, 0, v5, vcc
	global_load_dwordx2 v[56:57], v[56:57], off
	s_or_b64 exec, exec, s[2:3]
                                        ; implicit-def: $vgpr58_vgpr59
	s_and_saveexec_b64 s[2:3], s[10:11]
	s_cbranch_execnz .LBB113_83
.LBB113_63:
	s_or_b64 exec, exec, s[2:3]
                                        ; implicit-def: $vgpr60_vgpr61
	s_and_saveexec_b64 s[2:3], s[16:17]
	s_cbranch_execz .LBB113_84
.LBB113_64:
	v_add_co_u32_e32 v60, vcc, 0x2000, v4
	v_addc_co_u32_e32 v61, vcc, 0, v5, vcc
	global_load_dwordx2 v[60:61], v[60:61], off offset:1024
	s_or_b64 exec, exec, s[2:3]
                                        ; implicit-def: $vgpr62_vgpr63
	s_and_saveexec_b64 s[2:3], s[22:23]
	s_cbranch_execz .LBB113_86
	s_branch .LBB113_85
.LBB113_65:
	s_mov_b64 s[10:11], 0
                                        ; implicit-def: $sgpr8_sgpr9
                                        ; implicit-def: $vgpr2_vgpr3
                                        ; implicit-def: $vgpr42_vgpr43
                                        ; implicit-def: $vgpr108
                                        ; implicit-def: $vgpr44_vgpr45
                                        ; implicit-def: $vgpr124
                                        ; implicit-def: $vgpr80_vgpr81
                                        ; implicit-def: $vgpr123
                                        ; implicit-def: $vgpr78_vgpr79
                                        ; implicit-def: $vgpr122
                                        ; implicit-def: $vgpr76_vgpr77
                                        ; implicit-def: $vgpr121
                                        ; implicit-def: $vgpr74_vgpr75
                                        ; implicit-def: $vgpr120
                                        ; implicit-def: $vgpr72_vgpr73
                                        ; implicit-def: $vgpr119
                                        ; implicit-def: $vgpr70_vgpr71
                                        ; implicit-def: $vgpr118
                                        ; implicit-def: $vgpr68_vgpr69
                                        ; implicit-def: $vgpr117
                                        ; implicit-def: $vgpr66_vgpr67
                                        ; implicit-def: $vgpr116
                                        ; implicit-def: $vgpr64_vgpr65
                                        ; implicit-def: $vgpr115
                                        ; implicit-def: $vgpr62_vgpr63
                                        ; implicit-def: $vgpr114
                                        ; implicit-def: $vgpr60_vgpr61
                                        ; implicit-def: $vgpr113
                                        ; implicit-def: $vgpr58_vgpr59
                                        ; implicit-def: $vgpr112
                                        ; implicit-def: $vgpr56_vgpr57
                                        ; implicit-def: $vgpr111
                                        ; implicit-def: $vgpr54_vgpr55
                                        ; implicit-def: $vgpr110
                                        ; implicit-def: $vgpr52_vgpr53
                                        ; implicit-def: $vgpr109
                                        ; implicit-def: $vgpr50_vgpr51
                                        ; implicit-def: $vgpr107
                                        ; implicit-def: $vgpr48_vgpr49
                                        ; implicit-def: $vgpr106
                                        ; implicit-def: $vgpr46_vgpr47
                                        ; implicit-def: $vgpr1
                                        ; implicit-def: $sgpr7
                                        ; implicit-def: $sgpr4_sgpr5
	s_and_b64 vcc, exec, s[2:3]
	s_cbranch_vccz .LBB113_136
	s_branch .LBB113_131
.LBB113_66:
	s_or_b64 exec, exec, s[68:69]
                                        ; implicit-def: $vgpr26_vgpr27
	s_and_saveexec_b64 s[2:3], s[46:47]
	s_cbranch_execz .LBB113_47
.LBB113_67:
	global_load_dwordx2 v[26:27], v[4:5], off offset:512
	s_or_b64 exec, exec, s[2:3]
                                        ; implicit-def: $vgpr28_vgpr29
	s_and_saveexec_b64 s[2:3], s[12:13]
	s_cbranch_execnz .LBB113_48
.LBB113_68:
	s_or_b64 exec, exec, s[2:3]
                                        ; implicit-def: $vgpr30_vgpr31
	s_and_saveexec_b64 s[2:3], s[18:19]
	s_cbranch_execz .LBB113_49
.LBB113_69:
	global_load_dwordx2 v[30:31], v[4:5], off offset:1536
	s_or_b64 exec, exec, s[2:3]
                                        ; implicit-def: $vgpr32_vgpr33
	s_and_saveexec_b64 s[2:3], s[26:27]
	s_cbranch_execnz .LBB113_50
.LBB113_70:
	s_or_b64 exec, exec, s[2:3]
                                        ; implicit-def: $vgpr34_vgpr35
	s_and_saveexec_b64 s[2:3], s[30:31]
	s_cbranch_execz .LBB113_51
.LBB113_71:
	global_load_dwordx2 v[34:35], v[4:5], off offset:2560
	s_or_b64 exec, exec, s[2:3]
                                        ; implicit-def: $vgpr36_vgpr37
	s_and_saveexec_b64 s[2:3], s[36:37]
	s_cbranch_execnz .LBB113_52
.LBB113_72:
	s_or_b64 exec, exec, s[2:3]
                                        ; implicit-def: $vgpr38_vgpr39
	s_and_saveexec_b64 s[2:3], s[40:41]
	s_cbranch_execz .LBB113_53
.LBB113_73:
	global_load_dwordx2 v[38:39], v[4:5], off offset:3584
	s_or_b64 exec, exec, s[2:3]
                                        ; implicit-def: $vgpr40_vgpr41
	s_and_saveexec_b64 s[2:3], s[44:45]
	s_cbranch_execnz .LBB113_54
.LBB113_74:
	s_or_b64 exec, exec, s[2:3]
                                        ; implicit-def: $vgpr42_vgpr43
	s_and_saveexec_b64 s[2:3], s[42:43]
	s_cbranch_execz .LBB113_55
.LBB113_75:
	v_add_co_u32_e32 v42, vcc, 0x1000, v4
	v_addc_co_u32_e32 v43, vcc, 0, v5, vcc
	global_load_dwordx2 v[42:43], v[42:43], off offset:512
	s_or_b64 exec, exec, s[2:3]
                                        ; implicit-def: $vgpr44_vgpr45
	s_and_saveexec_b64 s[2:3], s[38:39]
	s_cbranch_execnz .LBB113_56
.LBB113_76:
	s_or_b64 exec, exec, s[2:3]
                                        ; implicit-def: $vgpr46_vgpr47
	s_and_saveexec_b64 s[2:3], s[34:35]
	s_cbranch_execz .LBB113_57
.LBB113_77:
	v_add_co_u32_e32 v46, vcc, 0x1000, v4
	v_addc_co_u32_e32 v47, vcc, 0, v5, vcc
	global_load_dwordx2 v[46:47], v[46:47], off offset:1536
	s_or_b64 exec, exec, s[2:3]
                                        ; implicit-def: $vgpr48_vgpr49
	s_and_saveexec_b64 s[2:3], s[28:29]
	s_cbranch_execnz .LBB113_58
.LBB113_78:
	s_or_b64 exec, exec, s[2:3]
                                        ; implicit-def: $vgpr50_vgpr51
	s_and_saveexec_b64 s[2:3], s[20:21]
	s_cbranch_execz .LBB113_59
.LBB113_79:
	v_add_co_u32_e32 v50, vcc, 0x1000, v4
	v_addc_co_u32_e32 v51, vcc, 0, v5, vcc
	global_load_dwordx2 v[50:51], v[50:51], off offset:2560
	s_or_b64 exec, exec, s[2:3]
                                        ; implicit-def: $vgpr52_vgpr53
	s_and_saveexec_b64 s[2:3], s[14:15]
	s_cbranch_execnz .LBB113_60
.LBB113_80:
	s_or_b64 exec, exec, s[2:3]
                                        ; implicit-def: $vgpr54_vgpr55
	s_and_saveexec_b64 s[2:3], s[8:9]
	s_cbranch_execz .LBB113_61
.LBB113_81:
	v_add_co_u32_e32 v54, vcc, 0x1000, v4
	v_addc_co_u32_e32 v55, vcc, 0, v5, vcc
	global_load_dwordx2 v[54:55], v[54:55], off offset:3584
	s_or_b64 exec, exec, s[2:3]
                                        ; implicit-def: $vgpr56_vgpr57
	s_and_saveexec_b64 s[2:3], s[4:5]
	s_cbranch_execnz .LBB113_62
.LBB113_82:
	s_or_b64 exec, exec, s[2:3]
                                        ; implicit-def: $vgpr58_vgpr59
	s_and_saveexec_b64 s[2:3], s[10:11]
	s_cbranch_execz .LBB113_63
.LBB113_83:
	v_add_co_u32_e32 v58, vcc, 0x2000, v4
	v_addc_co_u32_e32 v59, vcc, 0, v5, vcc
	global_load_dwordx2 v[58:59], v[58:59], off offset:512
	s_or_b64 exec, exec, s[2:3]
                                        ; implicit-def: $vgpr60_vgpr61
	s_and_saveexec_b64 s[2:3], s[16:17]
	s_cbranch_execnz .LBB113_64
.LBB113_84:
	s_or_b64 exec, exec, s[2:3]
                                        ; implicit-def: $vgpr62_vgpr63
	s_and_saveexec_b64 s[2:3], s[22:23]
	s_cbranch_execz .LBB113_86
.LBB113_85:
	v_add_co_u32_e32 v62, vcc, 0x2000, v4
	v_addc_co_u32_e32 v63, vcc, 0, v5, vcc
	global_load_dwordx2 v[62:63], v[62:63], off offset:1536
.LBB113_86:
	s_or_b64 exec, exec, s[2:3]
	v_mul_u32_u24_e32 v83, 21, v0
                                        ; implicit-def: $vgpr64_vgpr65
	s_and_saveexec_b64 s[2:3], s[24:25]
	s_cbranch_execz .LBB113_88
; %bb.87:
	v_add_co_u32_e32 v4, vcc, 0x2000, v4
	v_addc_co_u32_e32 v5, vcc, 0, v5, vcc
	global_load_dwordx2 v[64:65], v[4:5], off offset:2048
.LBB113_88:
	s_or_b64 exec, exec, s[2:3]
	v_lshl_add_u32 v4, v0, 2, v1
	s_waitcnt vmcnt(0)
	ds_write2st64_b64 v4, v[2:3], v[26:27] offset1:1
	ds_write2st64_b64 v4, v[28:29], v[30:31] offset0:2 offset1:3
	ds_write2st64_b64 v4, v[32:33], v[34:35] offset0:4 offset1:5
	;; [unrolled: 1-line block ×9, first 2 shown]
	ds_write_b64 v4, v[64:65] offset:10240
	v_pk_mov_b32 v[42:43], 0, 0
	v_cmp_gt_u32_e32 vcc, s55, v83
	s_mov_b64 s[10:11], 0
	s_mov_b32 s7, 0
	s_mov_b64 s[2:3], 0
	v_mov_b32_e32 v108, 0
	v_pk_mov_b32 v[44:45], v[42:43], v[42:43] op_sel:[0,1]
	v_mov_b32_e32 v124, 0
	v_pk_mov_b32 v[80:81], v[42:43], v[42:43] op_sel:[0,1]
	;; [unrolled: 2-line block ×19, first 2 shown]
	v_mov_b32_e32 v1, 0
	s_waitcnt lgkmcnt(0)
	; wave barrier
	s_waitcnt lgkmcnt(0)
                                        ; implicit-def: $sgpr8_sgpr9
                                        ; implicit-def: $vgpr2_vgpr3
	s_and_saveexec_b64 s[4:5], vcc
	s_cbranch_execz .LBB113_130
; %bb.89:
	s_movk_i32 s8, 0xa0
	v_mad_u32_u24 v1, v0, s8, v4
	ds_read_b64 v[2:3], v1
	v_cmp_ne_u32_e32 vcc, v85, v24
	v_mov_b32_e32 v26, s59
	v_add_u32_e32 v5, 1, v83
	v_pk_mov_b32 v[44:45], 0, 0
	s_waitcnt lgkmcnt(0)
	v_cndmask_b32_e32 v43, v3, v26, vcc
	v_mov_b32_e32 v3, s58
	v_cndmask_b32_e64 v1, 0, 1, vcc
	v_cndmask_b32_e32 v42, v2, v3, vcc
	v_cmp_gt_u32_e32 vcc, s55, v5
	s_mov_b64 s[12:13], 0
	v_mov_b32_e32 v108, 0
	v_mov_b32_e32 v124, 0
	v_pk_mov_b32 v[80:81], v[44:45], v[44:45] op_sel:[0,1]
	v_mov_b32_e32 v123, 0
	v_pk_mov_b32 v[78:79], v[44:45], v[44:45] op_sel:[0,1]
	;; [unrolled: 2-line block ×18, first 2 shown]
                                        ; implicit-def: $sgpr14_sgpr15
                                        ; implicit-def: $vgpr2_vgpr3
	s_and_saveexec_b64 s[8:9], vcc
	s_cbranch_execz .LBB113_129
; %bb.90:
	v_mul_u32_u24_e32 v2, 0xa0, v0
	v_add_u32_e32 v26, v4, v2
	ds_read2_b64 v[2:5], v26 offset0:1 offset1:2
	v_cmp_ne_u32_e32 vcc, v24, v25
	v_mov_b32_e32 v24, s59
	v_add_u32_e32 v27, 2, v83
	v_pk_mov_b32 v[44:45], 0, 0
	s_waitcnt lgkmcnt(0)
	v_cndmask_b32_e32 v47, v3, v24, vcc
	v_mov_b32_e32 v3, s58
	v_cndmask_b32_e64 v106, 0, 1, vcc
	v_cndmask_b32_e32 v46, v2, v3, vcc
	v_cmp_gt_u32_e32 vcc, s55, v27
	s_mov_b64 s[14:15], 0
	v_mov_b32_e32 v108, 0
	v_mov_b32_e32 v124, 0
	v_pk_mov_b32 v[80:81], v[44:45], v[44:45] op_sel:[0,1]
	v_mov_b32_e32 v123, 0
	v_pk_mov_b32 v[78:79], v[44:45], v[44:45] op_sel:[0,1]
	;; [unrolled: 2-line block ×17, first 2 shown]
                                        ; implicit-def: $sgpr16_sgpr17
                                        ; implicit-def: $vgpr2_vgpr3
	s_and_saveexec_b64 s[10:11], vcc
	s_cbranch_execz .LBB113_128
; %bb.91:
	v_cmp_ne_u32_e32 vcc, v25, v22
	v_mov_b32_e32 v3, s59
	v_add_u32_e32 v2, 3, v83
	v_cndmask_b32_e32 v49, v5, v3, vcc
	v_mov_b32_e32 v3, s58
	v_pk_mov_b32 v[44:45], 0, 0
	v_cndmask_b32_e64 v107, 0, 1, vcc
	v_cndmask_b32_e32 v48, v4, v3, vcc
	v_cmp_gt_u32_e32 vcc, s55, v2
	s_mov_b64 s[16:17], 0
	v_mov_b32_e32 v108, 0
	v_mov_b32_e32 v124, 0
	v_pk_mov_b32 v[80:81], v[44:45], v[44:45] op_sel:[0,1]
	v_mov_b32_e32 v123, 0
	v_pk_mov_b32 v[78:79], v[44:45], v[44:45] op_sel:[0,1]
	;; [unrolled: 2-line block ×16, first 2 shown]
                                        ; implicit-def: $sgpr18_sgpr19
                                        ; implicit-def: $vgpr2_vgpr3
	s_and_saveexec_b64 s[12:13], vcc
	s_cbranch_execz .LBB113_127
; %bb.92:
	ds_read2_b64 v[2:5], v26 offset0:3 offset1:4
	v_cmp_ne_u32_e32 vcc, v22, v23
	v_mov_b32_e32 v22, s59
	v_add_u32_e32 v24, 4, v83
	v_pk_mov_b32 v[44:45], 0, 0
	s_waitcnt lgkmcnt(0)
	v_cndmask_b32_e32 v51, v3, v22, vcc
	v_mov_b32_e32 v3, s58
	v_cndmask_b32_e64 v109, 0, 1, vcc
	v_cndmask_b32_e32 v50, v2, v3, vcc
	v_cmp_gt_u32_e32 vcc, s55, v24
	s_mov_b64 s[18:19], 0
	v_mov_b32_e32 v108, 0
	v_mov_b32_e32 v124, 0
	v_pk_mov_b32 v[80:81], v[44:45], v[44:45] op_sel:[0,1]
	v_mov_b32_e32 v123, 0
	v_pk_mov_b32 v[78:79], v[44:45], v[44:45] op_sel:[0,1]
	;; [unrolled: 2-line block ×15, first 2 shown]
                                        ; implicit-def: $sgpr20_sgpr21
                                        ; implicit-def: $vgpr2_vgpr3
	s_and_saveexec_b64 s[14:15], vcc
	s_cbranch_execz .LBB113_126
; %bb.93:
	v_cmp_ne_u32_e32 vcc, v23, v20
	v_mov_b32_e32 v3, s59
	v_add_u32_e32 v2, 5, v83
	v_cndmask_b32_e32 v53, v5, v3, vcc
	v_mov_b32_e32 v3, s58
	v_pk_mov_b32 v[44:45], 0, 0
	v_cndmask_b32_e64 v110, 0, 1, vcc
	v_cndmask_b32_e32 v52, v4, v3, vcc
	v_cmp_gt_u32_e32 vcc, s55, v2
	s_mov_b64 s[20:21], 0
	v_mov_b32_e32 v108, 0
	v_mov_b32_e32 v124, 0
	v_pk_mov_b32 v[80:81], v[44:45], v[44:45] op_sel:[0,1]
	v_mov_b32_e32 v123, 0
	v_pk_mov_b32 v[78:79], v[44:45], v[44:45] op_sel:[0,1]
	;; [unrolled: 2-line block ×14, first 2 shown]
                                        ; implicit-def: $sgpr22_sgpr23
                                        ; implicit-def: $vgpr2_vgpr3
	s_and_saveexec_b64 s[16:17], vcc
	s_cbranch_execz .LBB113_125
; %bb.94:
	ds_read2_b64 v[2:5], v26 offset0:5 offset1:6
	v_cmp_ne_u32_e32 vcc, v20, v21
	v_mov_b32_e32 v20, s59
	v_add_u32_e32 v22, 6, v83
	v_pk_mov_b32 v[44:45], 0, 0
	s_waitcnt lgkmcnt(0)
	v_cndmask_b32_e32 v55, v3, v20, vcc
	v_mov_b32_e32 v3, s58
	v_cndmask_b32_e64 v111, 0, 1, vcc
	v_cndmask_b32_e32 v54, v2, v3, vcc
	v_cmp_gt_u32_e32 vcc, s55, v22
	s_mov_b64 s[22:23], 0
	v_mov_b32_e32 v108, 0
	v_mov_b32_e32 v124, 0
	v_pk_mov_b32 v[80:81], v[44:45], v[44:45] op_sel:[0,1]
	v_mov_b32_e32 v123, 0
	v_pk_mov_b32 v[78:79], v[44:45], v[44:45] op_sel:[0,1]
	;; [unrolled: 2-line block ×13, first 2 shown]
                                        ; implicit-def: $sgpr24_sgpr25
                                        ; implicit-def: $vgpr2_vgpr3
	s_and_saveexec_b64 s[18:19], vcc
	s_cbranch_execz .LBB113_124
; %bb.95:
	v_cmp_ne_u32_e32 vcc, v21, v18
	v_mov_b32_e32 v3, s59
	v_add_u32_e32 v2, 7, v83
	v_cndmask_b32_e32 v57, v5, v3, vcc
	v_mov_b32_e32 v3, s58
	v_pk_mov_b32 v[44:45], 0, 0
	v_cndmask_b32_e64 v112, 0, 1, vcc
	v_cndmask_b32_e32 v56, v4, v3, vcc
	v_cmp_gt_u32_e32 vcc, s55, v2
	s_mov_b64 s[24:25], 0
	v_mov_b32_e32 v108, 0
	v_mov_b32_e32 v124, 0
	v_pk_mov_b32 v[80:81], v[44:45], v[44:45] op_sel:[0,1]
	v_mov_b32_e32 v123, 0
	v_pk_mov_b32 v[78:79], v[44:45], v[44:45] op_sel:[0,1]
	;; [unrolled: 2-line block ×12, first 2 shown]
                                        ; implicit-def: $sgpr26_sgpr27
                                        ; implicit-def: $vgpr2_vgpr3
	s_and_saveexec_b64 s[20:21], vcc
	s_cbranch_execz .LBB113_123
; %bb.96:
	ds_read2_b64 v[2:5], v26 offset0:7 offset1:8
	v_cmp_ne_u32_e32 vcc, v18, v19
	v_mov_b32_e32 v18, s59
	v_add_u32_e32 v20, 8, v83
	v_pk_mov_b32 v[44:45], 0, 0
	s_waitcnt lgkmcnt(0)
	v_cndmask_b32_e32 v59, v3, v18, vcc
	v_mov_b32_e32 v3, s58
	v_cndmask_b32_e64 v113, 0, 1, vcc
	v_cndmask_b32_e32 v58, v2, v3, vcc
	v_cmp_gt_u32_e32 vcc, s55, v20
	s_mov_b64 s[26:27], 0
	v_mov_b32_e32 v108, 0
	v_mov_b32_e32 v124, 0
	v_pk_mov_b32 v[80:81], v[44:45], v[44:45] op_sel:[0,1]
	v_mov_b32_e32 v123, 0
	v_pk_mov_b32 v[78:79], v[44:45], v[44:45] op_sel:[0,1]
	;; [unrolled: 2-line block ×11, first 2 shown]
                                        ; implicit-def: $sgpr28_sgpr29
                                        ; implicit-def: $vgpr2_vgpr3
	s_and_saveexec_b64 s[22:23], vcc
	s_cbranch_execz .LBB113_122
; %bb.97:
	v_cmp_ne_u32_e32 vcc, v19, v16
	v_mov_b32_e32 v3, s59
	v_add_u32_e32 v2, 9, v83
	v_cndmask_b32_e32 v61, v5, v3, vcc
	v_mov_b32_e32 v3, s58
	v_pk_mov_b32 v[44:45], 0, 0
	v_cndmask_b32_e64 v114, 0, 1, vcc
	v_cndmask_b32_e32 v60, v4, v3, vcc
	v_cmp_gt_u32_e32 vcc, s55, v2
	s_mov_b64 s[28:29], 0
	v_mov_b32_e32 v108, 0
	v_mov_b32_e32 v124, 0
	v_pk_mov_b32 v[80:81], v[44:45], v[44:45] op_sel:[0,1]
	v_mov_b32_e32 v123, 0
	v_pk_mov_b32 v[78:79], v[44:45], v[44:45] op_sel:[0,1]
	;; [unrolled: 2-line block ×10, first 2 shown]
                                        ; implicit-def: $sgpr30_sgpr31
                                        ; implicit-def: $vgpr2_vgpr3
	s_and_saveexec_b64 s[24:25], vcc
	s_cbranch_execz .LBB113_121
; %bb.98:
	ds_read2_b64 v[2:5], v26 offset0:9 offset1:10
	v_cmp_ne_u32_e32 vcc, v16, v17
	v_mov_b32_e32 v16, s59
	v_add_u32_e32 v18, 10, v83
	v_pk_mov_b32 v[44:45], 0, 0
	s_waitcnt lgkmcnt(0)
	v_cndmask_b32_e32 v63, v3, v16, vcc
	v_mov_b32_e32 v3, s58
	v_cndmask_b32_e64 v115, 0, 1, vcc
	v_cndmask_b32_e32 v62, v2, v3, vcc
	v_cmp_gt_u32_e32 vcc, s55, v18
	s_mov_b64 s[30:31], 0
	v_mov_b32_e32 v108, 0
	v_mov_b32_e32 v124, 0
	v_pk_mov_b32 v[80:81], v[44:45], v[44:45] op_sel:[0,1]
	v_mov_b32_e32 v123, 0
	v_pk_mov_b32 v[78:79], v[44:45], v[44:45] op_sel:[0,1]
	;; [unrolled: 2-line block ×9, first 2 shown]
                                        ; implicit-def: $sgpr34_sgpr35
                                        ; implicit-def: $vgpr2_vgpr3
	s_and_saveexec_b64 s[26:27], vcc
	s_cbranch_execz .LBB113_120
; %bb.99:
	v_cmp_ne_u32_e32 vcc, v17, v14
	v_mov_b32_e32 v3, s59
	v_add_u32_e32 v2, 11, v83
	v_cndmask_b32_e32 v65, v5, v3, vcc
	v_mov_b32_e32 v3, s58
	v_pk_mov_b32 v[44:45], 0, 0
	v_cndmask_b32_e64 v116, 0, 1, vcc
	v_cndmask_b32_e32 v64, v4, v3, vcc
	v_cmp_gt_u32_e32 vcc, s55, v2
	s_mov_b64 s[34:35], 0
	v_mov_b32_e32 v108, 0
	v_mov_b32_e32 v124, 0
	v_pk_mov_b32 v[80:81], v[44:45], v[44:45] op_sel:[0,1]
	v_mov_b32_e32 v123, 0
	v_pk_mov_b32 v[78:79], v[44:45], v[44:45] op_sel:[0,1]
	;; [unrolled: 2-line block ×8, first 2 shown]
                                        ; implicit-def: $sgpr36_sgpr37
                                        ; implicit-def: $vgpr2_vgpr3
	s_and_saveexec_b64 s[28:29], vcc
	s_cbranch_execz .LBB113_119
; %bb.100:
	ds_read2_b64 v[2:5], v26 offset0:11 offset1:12
	v_cmp_ne_u32_e32 vcc, v14, v15
	v_mov_b32_e32 v14, s59
	v_add_u32_e32 v16, 12, v83
	v_pk_mov_b32 v[44:45], 0, 0
	s_waitcnt lgkmcnt(0)
	v_cndmask_b32_e32 v67, v3, v14, vcc
	v_mov_b32_e32 v3, s58
	v_cndmask_b32_e64 v117, 0, 1, vcc
	v_cndmask_b32_e32 v66, v2, v3, vcc
	v_cmp_gt_u32_e32 vcc, s55, v16
	s_mov_b64 s[36:37], 0
	v_mov_b32_e32 v108, 0
	v_mov_b32_e32 v124, 0
	v_pk_mov_b32 v[80:81], v[44:45], v[44:45] op_sel:[0,1]
	v_mov_b32_e32 v123, 0
	v_pk_mov_b32 v[78:79], v[44:45], v[44:45] op_sel:[0,1]
	;; [unrolled: 2-line block ×7, first 2 shown]
                                        ; implicit-def: $sgpr38_sgpr39
                                        ; implicit-def: $vgpr2_vgpr3
	s_and_saveexec_b64 s[30:31], vcc
	s_cbranch_execz .LBB113_118
; %bb.101:
	v_cmp_ne_u32_e32 vcc, v15, v12
	v_mov_b32_e32 v3, s59
	v_add_u32_e32 v2, 13, v83
	v_cndmask_b32_e32 v69, v5, v3, vcc
	v_mov_b32_e32 v3, s58
	v_pk_mov_b32 v[44:45], 0, 0
	v_cndmask_b32_e64 v118, 0, 1, vcc
	v_cndmask_b32_e32 v68, v4, v3, vcc
	v_cmp_gt_u32_e32 vcc, s55, v2
	s_mov_b64 s[38:39], 0
	v_mov_b32_e32 v108, 0
	v_mov_b32_e32 v124, 0
	v_pk_mov_b32 v[80:81], v[44:45], v[44:45] op_sel:[0,1]
	v_mov_b32_e32 v123, 0
	v_pk_mov_b32 v[78:79], v[44:45], v[44:45] op_sel:[0,1]
	;; [unrolled: 2-line block ×6, first 2 shown]
                                        ; implicit-def: $sgpr40_sgpr41
                                        ; implicit-def: $vgpr2_vgpr3
	s_and_saveexec_b64 s[34:35], vcc
	s_cbranch_execz .LBB113_117
; %bb.102:
	ds_read2_b64 v[2:5], v26 offset0:13 offset1:14
	v_cmp_ne_u32_e32 vcc, v12, v13
	v_mov_b32_e32 v12, s59
	v_add_u32_e32 v14, 14, v83
	v_pk_mov_b32 v[44:45], 0, 0
	s_waitcnt lgkmcnt(0)
	v_cndmask_b32_e32 v71, v3, v12, vcc
	v_mov_b32_e32 v3, s58
	v_cndmask_b32_e64 v119, 0, 1, vcc
	v_cndmask_b32_e32 v70, v2, v3, vcc
	v_cmp_gt_u32_e32 vcc, s55, v14
	s_mov_b64 s[40:41], 0
	v_mov_b32_e32 v108, 0
	v_mov_b32_e32 v124, 0
	v_pk_mov_b32 v[80:81], v[44:45], v[44:45] op_sel:[0,1]
	v_mov_b32_e32 v123, 0
	v_pk_mov_b32 v[78:79], v[44:45], v[44:45] op_sel:[0,1]
	;; [unrolled: 2-line block ×5, first 2 shown]
                                        ; implicit-def: $sgpr42_sgpr43
                                        ; implicit-def: $vgpr2_vgpr3
	s_and_saveexec_b64 s[36:37], vcc
	s_cbranch_execz .LBB113_116
; %bb.103:
	v_cmp_ne_u32_e32 vcc, v13, v10
	v_mov_b32_e32 v3, s59
	v_add_u32_e32 v2, 15, v83
	v_cndmask_b32_e32 v73, v5, v3, vcc
	v_mov_b32_e32 v3, s58
	v_pk_mov_b32 v[44:45], 0, 0
	v_cndmask_b32_e64 v120, 0, 1, vcc
	v_cndmask_b32_e32 v72, v4, v3, vcc
	v_cmp_gt_u32_e32 vcc, s55, v2
	s_mov_b64 s[42:43], 0
	v_mov_b32_e32 v108, 0
	v_mov_b32_e32 v124, 0
	v_pk_mov_b32 v[80:81], v[44:45], v[44:45] op_sel:[0,1]
	v_mov_b32_e32 v123, 0
	v_pk_mov_b32 v[78:79], v[44:45], v[44:45] op_sel:[0,1]
	;; [unrolled: 2-line block ×4, first 2 shown]
                                        ; implicit-def: $sgpr44_sgpr45
                                        ; implicit-def: $vgpr2_vgpr3
	s_and_saveexec_b64 s[38:39], vcc
	s_cbranch_execz .LBB113_115
; %bb.104:
	ds_read2_b64 v[2:5], v26 offset0:15 offset1:16
	v_cmp_ne_u32_e32 vcc, v10, v11
	v_mov_b32_e32 v10, s59
	v_add_u32_e32 v12, 16, v83
	v_pk_mov_b32 v[44:45], 0, 0
	s_waitcnt lgkmcnt(0)
	v_cndmask_b32_e32 v75, v3, v10, vcc
	v_mov_b32_e32 v3, s58
	v_cndmask_b32_e64 v121, 0, 1, vcc
	v_cndmask_b32_e32 v74, v2, v3, vcc
	v_cmp_gt_u32_e32 vcc, s55, v12
	s_mov_b64 s[44:45], 0
	v_mov_b32_e32 v108, 0
	v_mov_b32_e32 v124, 0
	v_pk_mov_b32 v[80:81], v[44:45], v[44:45] op_sel:[0,1]
	v_mov_b32_e32 v123, 0
	v_pk_mov_b32 v[78:79], v[44:45], v[44:45] op_sel:[0,1]
	;; [unrolled: 2-line block ×3, first 2 shown]
                                        ; implicit-def: $sgpr46_sgpr47
                                        ; implicit-def: $vgpr2_vgpr3
	s_and_saveexec_b64 s[40:41], vcc
	s_cbranch_execz .LBB113_114
; %bb.105:
	v_cmp_ne_u32_e32 vcc, v11, v8
	v_mov_b32_e32 v3, s59
	v_add_u32_e32 v2, 17, v83
	v_cndmask_b32_e32 v77, v5, v3, vcc
	v_mov_b32_e32 v3, s58
	v_pk_mov_b32 v[44:45], 0, 0
	v_cndmask_b32_e64 v122, 0, 1, vcc
	v_cndmask_b32_e32 v76, v4, v3, vcc
	v_cmp_gt_u32_e32 vcc, s55, v2
	s_mov_b64 s[46:47], 0
	v_mov_b32_e32 v108, 0
	v_mov_b32_e32 v124, 0
	v_pk_mov_b32 v[80:81], v[44:45], v[44:45] op_sel:[0,1]
	v_mov_b32_e32 v123, 0
	v_pk_mov_b32 v[78:79], v[44:45], v[44:45] op_sel:[0,1]
                                        ; implicit-def: $sgpr68_sgpr69
                                        ; implicit-def: $vgpr2_vgpr3
	s_and_saveexec_b64 s[42:43], vcc
	s_cbranch_execz .LBB113_113
; %bb.106:
	ds_read2_b64 v[2:5], v26 offset0:17 offset1:18
	v_cmp_ne_u32_e32 vcc, v8, v9
	v_mov_b32_e32 v8, s59
	v_add_u32_e32 v10, 18, v83
	v_pk_mov_b32 v[44:45], 0, 0
	s_waitcnt lgkmcnt(0)
	v_cndmask_b32_e32 v79, v3, v8, vcc
	v_mov_b32_e32 v3, s58
	v_cndmask_b32_e64 v123, 0, 1, vcc
	v_cndmask_b32_e32 v78, v2, v3, vcc
	v_cmp_gt_u32_e32 vcc, s55, v10
	s_mov_b64 s[68:69], 0
	v_mov_b32_e32 v108, 0
	v_mov_b32_e32 v124, 0
	v_pk_mov_b32 v[80:81], v[44:45], v[44:45] op_sel:[0,1]
                                        ; implicit-def: $sgpr70_sgpr71
                                        ; implicit-def: $vgpr2_vgpr3
	s_and_saveexec_b64 s[44:45], vcc
	s_cbranch_execz .LBB113_112
; %bb.107:
	v_cmp_ne_u32_e32 vcc, v9, v6
	v_mov_b32_e32 v3, s59
	v_add_u32_e32 v2, 19, v83
	v_cndmask_b32_e32 v81, v5, v3, vcc
	v_mov_b32_e32 v3, s58
	v_cndmask_b32_e64 v124, 0, 1, vcc
	v_cndmask_b32_e32 v80, v4, v3, vcc
	v_cmp_gt_u32_e32 vcc, s55, v2
	v_mov_b32_e32 v108, 0
	v_pk_mov_b32 v[44:45], 0, 0
                                        ; implicit-def: $sgpr70_sgpr71
                                        ; implicit-def: $vgpr2_vgpr3
	s_and_saveexec_b64 s[46:47], vcc
	s_cbranch_execz .LBB113_111
; %bb.108:
	ds_read2_b64 v[2:5], v26 offset0:19 offset1:20
	v_cmp_ne_u32_e32 vcc, v6, v7
	v_mov_b32_e32 v6, s59
	v_add_u32_e32 v8, 20, v83
	v_cndmask_b32_e64 v108, 0, 1, vcc
	s_waitcnt lgkmcnt(0)
	v_cndmask_b32_e32 v45, v3, v6, vcc
	v_mov_b32_e32 v3, s58
	v_cndmask_b32_e32 v44, v2, v3, vcc
	v_cmp_gt_u32_e32 vcc, s55, v8
                                        ; implicit-def: $sgpr70_sgpr71
                                        ; implicit-def: $vgpr2_vgpr3
	s_and_saveexec_b64 s[72:73], vcc
	s_xor_b64 s[72:73], exec, s[72:73]
; %bb.109:
	v_mov_b32_e32 v2, s59
	v_cmp_ne_u32_e32 vcc, v7, v82
	v_cndmask_b32_e32 v3, v5, v2, vcc
	v_mov_b32_e32 v2, s58
	s_mov_b64 s[68:69], exec
	v_cndmask_b32_e32 v2, v4, v2, vcc
	s_and_b64 s[70:71], vcc, exec
; %bb.110:
	s_or_b64 exec, exec, s[72:73]
	s_and_b64 s[70:71], s[70:71], exec
	s_and_b64 s[68:69], s[68:69], exec
.LBB113_111:
	s_or_b64 exec, exec, s[46:47]
	s_and_b64 s[70:71], s[70:71], exec
	s_and_b64 s[46:47], s[68:69], exec
.LBB113_112:
	s_or_b64 exec, exec, s[44:45]
	s_and_b64 s[68:69], s[70:71], exec
	s_and_b64 s[44:45], s[46:47], exec
.LBB113_113:
	s_or_b64 exec, exec, s[42:43]
	s_and_b64 s[46:47], s[68:69], exec
	s_and_b64 s[42:43], s[44:45], exec
.LBB113_114:
	s_or_b64 exec, exec, s[40:41]
	s_and_b64 s[44:45], s[46:47], exec
	s_and_b64 s[40:41], s[42:43], exec
.LBB113_115:
	s_or_b64 exec, exec, s[38:39]
	s_and_b64 s[42:43], s[44:45], exec
	s_and_b64 s[38:39], s[40:41], exec
.LBB113_116:
	s_or_b64 exec, exec, s[36:37]
	s_and_b64 s[40:41], s[42:43], exec
	s_and_b64 s[36:37], s[38:39], exec
.LBB113_117:
	s_or_b64 exec, exec, s[34:35]
	s_and_b64 s[38:39], s[40:41], exec
	s_and_b64 s[34:35], s[36:37], exec
.LBB113_118:
	s_or_b64 exec, exec, s[30:31]
	s_and_b64 s[36:37], s[38:39], exec
	s_and_b64 s[30:31], s[34:35], exec
.LBB113_119:
	s_or_b64 exec, exec, s[28:29]
	s_and_b64 s[34:35], s[36:37], exec
	s_and_b64 s[28:29], s[30:31], exec
.LBB113_120:
	s_or_b64 exec, exec, s[26:27]
	s_and_b64 s[30:31], s[34:35], exec
	s_and_b64 s[26:27], s[28:29], exec
.LBB113_121:
	s_or_b64 exec, exec, s[24:25]
	s_and_b64 s[28:29], s[30:31], exec
	s_and_b64 s[24:25], s[26:27], exec
.LBB113_122:
	s_or_b64 exec, exec, s[22:23]
	s_and_b64 s[26:27], s[28:29], exec
	s_and_b64 s[22:23], s[24:25], exec
.LBB113_123:
	s_or_b64 exec, exec, s[20:21]
	s_and_b64 s[24:25], s[26:27], exec
	s_and_b64 s[20:21], s[22:23], exec
.LBB113_124:
	s_or_b64 exec, exec, s[18:19]
	s_and_b64 s[22:23], s[24:25], exec
	s_and_b64 s[18:19], s[20:21], exec
.LBB113_125:
	s_or_b64 exec, exec, s[16:17]
	s_and_b64 s[20:21], s[22:23], exec
	s_and_b64 s[16:17], s[18:19], exec
.LBB113_126:
	s_or_b64 exec, exec, s[14:15]
	s_and_b64 s[18:19], s[20:21], exec
	s_and_b64 s[14:15], s[16:17], exec
.LBB113_127:
	s_or_b64 exec, exec, s[12:13]
	s_and_b64 s[16:17], s[18:19], exec
	s_and_b64 s[12:13], s[14:15], exec
.LBB113_128:
	s_or_b64 exec, exec, s[10:11]
	s_and_b64 s[14:15], s[16:17], exec
	s_and_b64 s[10:11], s[12:13], exec
.LBB113_129:
	s_or_b64 exec, exec, s[8:9]
	s_and_b64 s[8:9], s[14:15], exec
	s_and_b64 s[10:11], s[10:11], exec
.LBB113_130:
	s_or_b64 exec, exec, s[4:5]
	s_mov_b64 s[4:5], 0
	s_and_b64 vcc, exec, s[2:3]
	s_cbranch_vccz .LBB113_136
.LBB113_131:
	v_mov_b32_e32 v1, s67
	v_add_co_u32_e32 v2, vcc, s66, v84
	v_addc_co_u32_e32 v1, vcc, 0, v1, vcc
	s_movk_i32 s4, 0x1000
	v_add_co_u32_e32 v2, vcc, s4, v2
	v_addc_co_u32_e32 v3, vcc, 0, v1, vcc
	global_load_dword v4, v84, s[66:67]
	global_load_dword v5, v84, s[66:67] offset:256
	global_load_dword v6, v84, s[66:67] offset:512
	;; [unrolled: 1-line block ×15, first 2 shown]
	global_load_dword v1, v[2:3], off
	global_load_dword v20, v[2:3], off offset:256
	global_load_dword v21, v[2:3], off offset:512
	;; [unrolled: 1-line block ×4, first 2 shown]
	s_movk_i32 s2, 0x50
	v_mad_u32_u24 v3, v0, s2, v84
	s_movk_i32 s3, 0xffb0
	v_cmp_ne_u32_e32 vcc, 63, v0
	v_mad_i32_i24 v2, v0, s3, v3
	s_waitcnt vmcnt(19)
	ds_write2st64_b32 v84, v4, v5 offset1:1
	s_waitcnt vmcnt(17)
	ds_write2st64_b32 v84, v6, v7 offset0:2 offset1:3
	s_waitcnt vmcnt(15)
	ds_write2st64_b32 v84, v8, v9 offset0:4 offset1:5
	;; [unrolled: 2-line block ×9, first 2 shown]
	s_waitcnt vmcnt(0)
	ds_write_b32 v84, v23 offset:5120
	s_waitcnt lgkmcnt(0)
	; wave barrier
	s_waitcnt lgkmcnt(0)
	ds_read_b32 v1, v3
	ds_read2_b32 v[60:61], v3 offset0:1 offset1:2
	ds_read2_b32 v[58:59], v3 offset0:3 offset1:4
	;; [unrolled: 1-line block ×7, first 2 shown]
	s_load_dword s2, s[66:67], 0x1500
	ds_read2_b32 v[46:47], v3 offset0:15 offset1:16
	ds_read2_b32 v[44:45], v3 offset0:17 offset1:18
	;; [unrolled: 1-line block ×3, first 2 shown]
	s_waitcnt lgkmcnt(0)
	ds_write_b32 v2, v1 offset:5632
	s_waitcnt lgkmcnt(0)
	; wave barrier
	s_waitcnt lgkmcnt(0)
	v_mov_b32_e32 v85, s2
	s_and_saveexec_b64 s[2:3], vcc
	s_cbranch_execz .LBB113_133
; %bb.132:
	ds_read_b32 v85, v84 offset:5636
.LBB113_133:
	s_or_b64 exec, exec, s[2:3]
	v_lshlrev_b32_e32 v3, 3, v0
	v_mov_b32_e32 v4, s65
	v_add_co_u32_e32 v22, vcc, s64, v3
	v_addc_co_u32_e32 v23, vcc, 0, v4, vcc
	v_add_co_u32_e32 v20, vcc, s4, v22
	v_addc_co_u32_e32 v21, vcc, 0, v23, vcc
	s_movk_i32 s2, 0x2000
	v_add_co_u32_e32 v22, vcc, s2, v22
	s_waitcnt lgkmcnt(0)
	; wave barrier
	s_waitcnt lgkmcnt(0)
	global_load_dwordx2 v[4:5], v3, s[64:65]
	global_load_dwordx2 v[6:7], v3, s[64:65] offset:512
	global_load_dwordx2 v[8:9], v3, s[64:65] offset:1024
	;; [unrolled: 1-line block ×7, first 2 shown]
	v_addc_co_u32_e32 v23, vcc, 0, v23, vcc
	global_load_dwordx2 v[24:25], v[20:21], off offset:512
	global_load_dwordx2 v[26:27], v[20:21], off offset:1024
	;; [unrolled: 1-line block ×6, first 2 shown]
	global_load_dwordx2 v[36:37], v[22:23], off offset:-4096
	global_load_dwordx2 v[38:39], v[20:21], off offset:3584
	global_load_dwordx2 v[40:41], v[22:23], off
	global_load_dwordx2 v[42:43], v[22:23], off offset:512
	global_load_dwordx2 v[64:65], v[22:23], off offset:1024
	;; [unrolled: 1-line block ×4, first 2 shown]
	v_lshl_add_u32 v62, v0, 2, v2
	s_movk_i32 s2, 0xa0
	v_mad_u32_u24 v2, v0, s2, v62
	v_cmp_ne_u32_e32 vcc, v1, v60
	v_cmp_eq_u32_e64 s[2:3], v1, v60
	s_waitcnt vmcnt(19)
	ds_write2st64_b64 v62, v[4:5], v[6:7] offset1:1
	s_waitcnt vmcnt(17)
	ds_write2st64_b64 v62, v[8:9], v[10:11] offset0:2 offset1:3
	s_waitcnt vmcnt(15)
	ds_write2st64_b64 v62, v[12:13], v[14:15] offset0:4 offset1:5
	;; [unrolled: 2-line block ×4, first 2 shown]
	ds_write2st64_b64 v62, v[26:27], v[28:29] offset0:10 offset1:11
	ds_write2st64_b64 v62, v[30:31], v[32:33] offset0:12 offset1:13
	s_waitcnt vmcnt(5)
	ds_write2st64_b64 v62, v[34:35], v[38:39] offset0:14 offset1:15
	s_waitcnt vmcnt(3)
	;; [unrolled: 2-line block ×4, first 2 shown]
	ds_write_b64 v62, v[68:69] offset:10240
	s_waitcnt lgkmcnt(0)
	; wave barrier
	s_waitcnt lgkmcnt(0)
	ds_read2_b64 v[38:41], v2 offset0:1 offset1:2
	ds_read2_b64 v[34:37], v2 offset0:3 offset1:4
	ds_read2_b64 v[30:33], v2 offset0:5 offset1:6
	ds_read2_b64 v[26:29], v2 offset0:7 offset1:8
	ds_read2_b64 v[22:25], v2 offset0:9 offset1:10
	ds_read2_b64 v[18:21], v2 offset0:11 offset1:12
	ds_read2_b64 v[14:17], v2 offset0:13 offset1:14
	ds_read2_b64 v[10:13], v2 offset0:15 offset1:16
	ds_read2_b64 v[6:9], v2 offset0:17 offset1:18
	ds_read2_b64 v[2:5], v2 offset0:19 offset1:20
	v_pk_mov_b32 v[42:43], s[58:59], s[58:59] op_sel:[0,1]
	s_and_saveexec_b64 s[4:5], s[2:3]
	s_cbranch_execz .LBB113_135
; %bb.134:
	v_mul_u32_u24_e32 v1, 0xa0, v0
	v_add_u32_e32 v1, v62, v1
	ds_read_b64 v[42:43], v1
.LBB113_135:
	s_or_b64 exec, exec, s[4:5]
	v_cndmask_b32_e64 v1, 0, 1, vcc
	v_cmp_ne_u32_e32 vcc, v60, v61
	v_cmp_ne_u32_e64 s[38:39], v45, v82
	v_cmp_ne_u32_e64 s[40:41], v82, v83
	v_mov_b32_e32 v82, s59
	v_cmp_ne_u32_e64 s[8:9], v59, v56
	v_cmp_ne_u32_e64 s[30:31], v46, v47
	;; [unrolled: 1-line block ×3, first 2 shown]
	s_waitcnt lgkmcnt(9)
	v_cndmask_b32_e32 v47, v39, v82, vcc
	v_mov_b32_e32 v39, s58
	v_cmp_ne_u32_e64 s[2:3], v61, v58
	v_cmp_ne_u32_e64 s[4:5], v58, v59
	v_cndmask_b32_e64 v110, 0, 1, s[8:9]
	v_cmp_ne_u32_e64 s[10:11], v56, v57
	v_cmp_ne_u32_e64 s[12:13], v57, v54
	;; [unrolled: 1-line block ×11, first 2 shown]
	s_waitcnt lgkmcnt(8)
	v_cndmask_b32_e64 v53, v37, v82, s[8:9]
	v_cndmask_b32_e64 v52, v36, v39, s[8:9]
	v_cmp_ne_u32_e64 s[8:9], v83, v85
	v_cndmask_b32_e64 v106, 0, 1, vcc
	v_cndmask_b32_e64 v107, 0, 1, s[2:3]
	v_cndmask_b32_e64 v109, 0, 1, s[4:5]
	;; [unrolled: 1-line block ×17, first 2 shown]
	v_cndmask_b32_e32 v46, v38, v39, vcc
	v_cndmask_b32_e64 v49, v41, v82, s[2:3]
	v_cndmask_b32_e64 v48, v40, v39, s[2:3]
	v_cndmask_b32_e64 v51, v35, v82, s[4:5]
	v_cndmask_b32_e64 v50, v34, v39, s[4:5]
	s_waitcnt lgkmcnt(7)
	v_cndmask_b32_e64 v55, v31, v82, s[10:11]
	v_cndmask_b32_e64 v54, v30, v39, s[10:11]
	v_cndmask_b32_e64 v57, v33, v82, s[12:13]
	v_cndmask_b32_e64 v56, v32, v39, s[12:13]
	s_waitcnt lgkmcnt(6)
	;; [unrolled: 5-line block ×8, first 2 shown]
	v_cndmask_b32_e64 v45, v3, v82, s[40:41]
	v_cndmask_b32_e64 v44, v2, v39, s[40:41]
	;; [unrolled: 1-line block ×4, first 2 shown]
	s_mov_b64 s[10:11], -1
                                        ; implicit-def: $sgpr7
                                        ; implicit-def: $sgpr4_sgpr5
.LBB113_136:
	s_waitcnt lgkmcnt(11)
	v_pk_mov_b32 v[82:83], s[4:5], s[4:5] op_sel:[0,1]
	v_mov_b32_e32 v125, s7
	s_and_saveexec_b64 s[2:3], s[10:11]
; %bb.137:
	v_cndmask_b32_e64 v125, 0, 1, s[8:9]
	v_pk_mov_b32 v[82:83], v[2:3], v[2:3] op_sel:[0,1]
; %bb.138:
	s_or_b64 exec, exec, s[2:3]
	v_or_b32_e32 v2, v125, v108
	s_cmp_lg_u32 s6, 0
	v_or_b32_e32 v127, v2, v124
	v_mbcnt_lo_u32_b32 v126, -1, 0
	s_waitcnt lgkmcnt(0)
	; wave barrier
	s_waitcnt lgkmcnt(0)
	s_cbranch_scc0 .LBB113_197
; %bb.139:
	v_mov_b32_e32 v2, 0
	v_cmp_eq_u16_sdwa s[40:41], v106, v2 src0_sel:BYTE_0 src1_sel:DWORD
	v_cndmask_b32_e64 v4, 0, v42, s[40:41]
	v_cndmask_b32_e64 v3, 0, v43, s[40:41]
	v_add_co_u32_e32 v4, vcc, v4, v46
	v_cmp_eq_u16_sdwa s[38:39], v107, v2 src0_sel:BYTE_0 src1_sel:DWORD
	v_addc_co_u32_e32 v3, vcc, v3, v47, vcc
	v_cndmask_b32_e64 v4, 0, v4, s[38:39]
	v_cndmask_b32_e64 v3, 0, v3, s[38:39]
	v_add_co_u32_e32 v4, vcc, v4, v48
	v_cmp_eq_u16_sdwa s[36:37], v109, v2 src0_sel:BYTE_0 src1_sel:DWORD
	v_addc_co_u32_e32 v3, vcc, v3, v49, vcc
	;; [unrolled: 5-line block ×18, first 2 shown]
	v_cndmask_b32_e64 v4, 0, v4, s[2:3]
	v_cndmask_b32_e64 v3, 0, v3, s[2:3]
	v_add_co_u32_e32 v4, vcc, v4, v44
	v_addc_co_u32_e32 v3, vcc, v3, v45, vcc
	v_cmp_eq_u16_sdwa vcc, v125, v2 src0_sel:BYTE_0 src1_sel:DWORD
	v_cndmask_b32_e32 v2, 0, v4, vcc
	v_or_b32_e32 v4, v127, v123
	v_or_b32_e32 v4, v4, v122
	;; [unrolled: 1-line block ×17, first 2 shown]
	v_cndmask_b32_e32 v3, 0, v3, vcc
	v_add_co_u32_e32 v2, vcc, v2, v82
	v_or_b32_e32 v4, v4, v1
	v_mbcnt_hi_u32_b32 v5, -1, v126
	v_addc_co_u32_e32 v3, vcc, v3, v83, vcc
	v_and_b32_e32 v4, 1, v4
	v_and_b32_e32 v7, 15, v5
	v_cmp_eq_u32_e32 vcc, 1, v4
	v_mov_b32_dpp v8, v2 row_shr:1 row_mask:0xf bank_mask:0xf
	v_mov_b32_dpp v9, v3 row_shr:1 row_mask:0xf bank_mask:0xf
	;; [unrolled: 1-line block ×3, first 2 shown]
	v_cmp_ne_u32_e64 s[42:43], 0, v7
	v_mov_b32_e32 v6, v4
	s_and_saveexec_b64 s[46:47], s[42:43]
; %bb.140:
	v_and_b32_e32 v6, 1, v10
	v_cndmask_b32_e64 v8, v8, 0, vcc
	v_or_b32_e32 v4, v6, v4
	v_cndmask_b32_e64 v6, v9, 0, vcc
	v_add_co_u32_e32 v2, vcc, v8, v2
	v_addc_co_u32_e32 v3, vcc, v6, v3, vcc
	v_and_b32_e32 v6, 0xffff, v4
; %bb.141:
	s_or_b64 exec, exec, s[46:47]
	v_mov_b32_dpp v8, v2 row_shr:2 row_mask:0xf bank_mask:0xf
	v_mov_b32_dpp v9, v3 row_shr:2 row_mask:0xf bank_mask:0xf
	v_mov_b32_dpp v10, v6 row_shr:2 row_mask:0xf bank_mask:0xf
	v_cmp_lt_u32_e32 vcc, 1, v7
	s_and_saveexec_b64 s[46:47], vcc
	s_cbranch_execz .LBB113_143
; %bb.142:
	v_and_b32_e32 v6, 1, v4
	v_cmp_eq_u32_e32 vcc, 1, v6
	v_and_b32_e32 v6, 1, v10
	v_cmp_eq_u32_e64 s[42:43], 1, v6
	s_or_b64 s[42:43], vcc, s[42:43]
	v_cmp_eq_u16_e32 vcc, 0, v4
	v_cndmask_b32_e32 v6, 0, v8, vcc
	v_cndmask_b32_e64 v10, 0, 1, s[42:43]
	v_cndmask_b32_e32 v4, 0, v9, vcc
	v_add_co_u32_e32 v2, vcc, v6, v2
	v_addc_co_u32_e32 v3, vcc, v4, v3, vcc
	v_cndmask_b32_e64 v6, 0, 1, s[42:43]
	v_mov_b32_e32 v4, v10
.LBB113_143:
	s_or_b64 exec, exec, s[46:47]
	v_mov_b32_dpp v8, v2 row_shr:4 row_mask:0xf bank_mask:0xf
	v_mov_b32_dpp v9, v3 row_shr:4 row_mask:0xf bank_mask:0xf
	v_mov_b32_dpp v10, v6 row_shr:4 row_mask:0xf bank_mask:0xf
	v_cmp_lt_u32_e32 vcc, 3, v7
	s_and_saveexec_b64 s[46:47], vcc
	s_cbranch_execz .LBB113_145
; %bb.144:
	v_and_b32_e32 v6, 1, v4
	v_cmp_eq_u32_e32 vcc, 1, v6
	v_and_b32_e32 v6, 1, v10
	v_cmp_eq_u32_e64 s[42:43], 1, v6
	s_or_b64 s[42:43], vcc, s[42:43]
	v_cmp_eq_u16_e32 vcc, 0, v4
	v_cndmask_b32_e32 v6, 0, v8, vcc
	v_cndmask_b32_e64 v10, 0, 1, s[42:43]
	v_cndmask_b32_e32 v4, 0, v9, vcc
	v_add_co_u32_e32 v2, vcc, v6, v2
	v_addc_co_u32_e32 v3, vcc, v4, v3, vcc
	v_cndmask_b32_e64 v6, 0, 1, s[42:43]
	v_mov_b32_e32 v4, v10
.LBB113_145:
	s_or_b64 exec, exec, s[46:47]
	v_mov_b32_dpp v8, v2 row_shr:8 row_mask:0xf bank_mask:0xf
	v_mov_b32_dpp v9, v3 row_shr:8 row_mask:0xf bank_mask:0xf
	v_mov_b32_dpp v10, v6 row_shr:8 row_mask:0xf bank_mask:0xf
	v_cmp_lt_u32_e32 vcc, 7, v7
	s_and_saveexec_b64 s[46:47], vcc
	s_cbranch_execz .LBB113_147
; %bb.146:
	v_and_b32_e32 v6, 1, v4
	v_cmp_eq_u32_e32 vcc, 1, v6
	v_and_b32_e32 v6, 1, v10
	v_cmp_eq_u32_e64 s[42:43], 1, v6
	s_or_b64 s[42:43], vcc, s[42:43]
	v_cmp_eq_u16_e32 vcc, 0, v4
	v_cndmask_b32_e32 v6, 0, v8, vcc
	v_cndmask_b32_e64 v7, 0, 1, s[42:43]
	v_cndmask_b32_e32 v4, 0, v9, vcc
	v_add_co_u32_e32 v2, vcc, v6, v2
	v_addc_co_u32_e32 v3, vcc, v4, v3, vcc
	v_cndmask_b32_e64 v6, 0, 1, s[42:43]
	v_mov_b32_e32 v4, v7
.LBB113_147:
	s_or_b64 exec, exec, s[46:47]
	v_and_b32_e32 v10, 16, v5
	v_mov_b32_dpp v7, v2 row_bcast:15 row_mask:0xf bank_mask:0xf
	v_mov_b32_dpp v8, v3 row_bcast:15 row_mask:0xf bank_mask:0xf
	;; [unrolled: 1-line block ×3, first 2 shown]
	v_cmp_ne_u32_e32 vcc, 0, v10
	s_and_saveexec_b64 s[46:47], vcc
	s_cbranch_execz .LBB113_149
; %bb.148:
	v_and_b32_e32 v6, 1, v4
	v_cmp_eq_u32_e32 vcc, 1, v6
	v_and_b32_e32 v6, 1, v9
	v_cmp_eq_u32_e64 s[42:43], 1, v6
	s_or_b64 s[42:43], vcc, s[42:43]
	v_cmp_eq_u16_e32 vcc, 0, v4
	v_cndmask_b32_e32 v6, 0, v7, vcc
	v_cndmask_b32_e64 v9, 0, 1, s[42:43]
	v_cndmask_b32_e32 v4, 0, v8, vcc
	v_add_co_u32_e32 v2, vcc, v6, v2
	v_addc_co_u32_e32 v3, vcc, v4, v3, vcc
	v_cndmask_b32_e64 v6, 0, 1, s[42:43]
	v_mov_b32_e32 v4, v9
.LBB113_149:
	s_or_b64 exec, exec, s[46:47]
	v_mov_b32_dpp v7, v2 row_bcast:31 row_mask:0xf bank_mask:0xf
	v_mov_b32_dpp v8, v3 row_bcast:31 row_mask:0xf bank_mask:0xf
	;; [unrolled: 1-line block ×3, first 2 shown]
	v_cmp_lt_u32_e32 vcc, 31, v5
	s_and_saveexec_b64 s[46:47], vcc
	s_cbranch_execz .LBB113_151
; %bb.150:
	v_and_b32_e32 v9, 1, v4
	v_and_b32_e32 v6, 1, v6
	v_cmp_eq_u32_e32 vcc, 1, v9
	v_cmp_eq_u32_e64 s[42:43], 1, v6
	s_or_b64 s[42:43], vcc, s[42:43]
	v_cmp_eq_u16_e32 vcc, 0, v4
	v_cndmask_b32_e32 v7, 0, v7, vcc
	v_cndmask_b32_e64 v6, 0, 1, s[42:43]
	v_cndmask_b32_e32 v4, 0, v8, vcc
	v_add_co_u32_e32 v2, vcc, v7, v2
	v_addc_co_u32_e32 v3, vcc, v4, v3, vcc
	v_mov_b32_e32 v4, v6
.LBB113_151:
	s_or_b64 exec, exec, s[46:47]
	v_cmp_eq_u32_e32 vcc, 63, v0
	s_and_saveexec_b64 s[42:43], vcc
	s_cbranch_execz .LBB113_153
; %bb.152:
	v_mov_b32_e32 v6, 0
	ds_write_b64 v6, v[2:3]
	ds_write_b8 v6, v4 offset:8
.LBB113_153:
	s_or_b64 exec, exec, s[42:43]
	v_add_u32_e32 v6, -1, v5
	v_and_b32_e32 v7, 64, v5
	v_cmp_lt_i32_e32 vcc, v6, v7
	v_cndmask_b32_e32 v6, v6, v5, vcc
	v_lshlrev_b32_e32 v6, 2, v6
	ds_bpermute_b32 v12, v6, v2
	v_and_b32_e32 v2, 0xffff, v4
	ds_bpermute_b32 v13, v6, v3
	ds_bpermute_b32 v14, v6, v2
	v_cmp_gt_u32_e32 vcc, 64, v0
	s_waitcnt lgkmcnt(0)
	; wave barrier
	s_waitcnt lgkmcnt(0)
	s_and_saveexec_b64 s[64:65], vcc
	s_cbranch_execz .LBB113_196
; %bb.154:
	v_mov_b32_e32 v7, 0
	ds_read_b64 v[2:3], v7
	ds_read_u8 v15, v7 offset:8
	s_mov_b32 s67, 0
	v_cmp_eq_u32_e64 s[42:43], 0, v5
	s_and_saveexec_b64 s[46:47], s[42:43]
	s_cbranch_execz .LBB113_156
; %bb.155:
	s_add_i32 s66, s6, 64
	s_lshl_b64 s[68:69], s[66:67], 4
	s_add_u32 s68, s48, s68
	s_addc_u32 s69, s49, s69
	v_mov_b32_e32 v4, s66
	v_mov_b32_e32 v6, 1
	s_waitcnt lgkmcnt(1)
	global_store_dwordx2 v7, v[2:3], s[68:69]
	s_waitcnt lgkmcnt(0)
	global_store_byte v7, v15, s[68:69] offset:8
	s_waitcnt vmcnt(0)
	buffer_wbinvl1_vol
	global_store_byte v4, v6, s[52:53]
.LBB113_156:
	s_or_b64 exec, exec, s[46:47]
	v_xad_u32 v4, v5, -1, s6
	v_add_u32_e32 v6, 64, v4
	global_load_ubyte v16, v6, s[52:53] glc
	s_waitcnt vmcnt(0)
	v_cmp_eq_u16_e32 vcc, 0, v16
	s_and_saveexec_b64 s[46:47], vcc
	s_cbranch_execz .LBB113_160
; %bb.157:
	v_mov_b32_e32 v9, s53
	v_add_co_u32_e32 v8, vcc, s52, v6
	v_addc_co_u32_e32 v9, vcc, 0, v9, vcc
	s_mov_b64 s[66:67], 0
.LBB113_158:                            ; =>This Inner Loop Header: Depth=1
	global_load_ubyte v16, v[8:9], off glc
	s_waitcnt vmcnt(0)
	v_cmp_ne_u16_e32 vcc, 0, v16
	s_or_b64 s[66:67], vcc, s[66:67]
	s_andn2_b64 exec, exec, s[66:67]
	s_cbranch_execnz .LBB113_158
; %bb.159:
	s_or_b64 exec, exec, s[66:67]
.LBB113_160:
	s_or_b64 exec, exec, s[46:47]
	v_mov_b32_e32 v8, s51
	v_mov_b32_e32 v9, s49
	v_cmp_eq_u16_e32 vcc, 1, v16
	v_cndmask_b32_e32 v8, v8, v9, vcc
	v_mov_b32_e32 v9, s50
	v_mov_b32_e32 v10, s48
	v_cndmask_b32_e32 v9, v9, v10, vcc
	v_lshlrev_b64 v[6:7], 4, v[6:7]
	v_add_co_u32_e32 v6, vcc, v9, v6
	v_addc_co_u32_e32 v7, vcc, v8, v7, vcc
	s_waitcnt lgkmcnt(0)
	buffer_wbinvl1_vol
	global_load_dwordx2 v[10:11], v[6:7], off
	global_load_ubyte v31, v[6:7], off offset:8
	v_cmp_eq_u16_e32 vcc, 2, v16
	v_lshlrev_b64 v[6:7], v5, -1
	v_and_b32_e32 v8, 63, v5
	v_and_b32_e32 v9, vcc_hi, v7
	v_and_b32_e32 v18, vcc_lo, v6
	v_cmp_ne_u32_e32 vcc, 63, v8
	v_addc_co_u32_e32 v17, vcc, 0, v5, vcc
	v_lshlrev_b32_e32 v17, 2, v17
	v_or_b32_e32 v9, 0x80000000, v9
	v_ffbl_b32_e32 v9, v9
	v_add_u32_e32 v9, 32, v9
	v_ffbl_b32_e32 v18, v18
	v_min_u32_e32 v9, v18, v9
	v_add_u32_e32 v18, 1, v5
	v_cmp_le_u32_e32 vcc, v18, v9
	s_waitcnt vmcnt(1)
	ds_bpermute_b32 v20, v17, v10
	s_waitcnt vmcnt(0)
	v_and_b32_e32 v27, 1, v31
	ds_bpermute_b32 v21, v17, v11
	ds_bpermute_b32 v19, v17, v27
	s_and_saveexec_b64 s[46:47], vcc
	s_cbranch_execz .LBB113_162
; %bb.161:
	v_mov_b32_e32 v22, 0
	v_cmp_eq_u16_sdwa vcc, v31, v22 src0_sel:BYTE_0 src1_sel:DWORD
	s_waitcnt lgkmcnt(2)
	v_cndmask_b32_e32 v20, 0, v20, vcc
	s_waitcnt lgkmcnt(0)
	v_and_b32_e32 v19, 1, v19
	v_cndmask_b32_e32 v21, 0, v21, vcc
	v_add_co_u32_e32 v10, vcc, v20, v10
	v_or_b32_e32 v31, v19, v31
	v_addc_co_u32_e32 v11, vcc, v21, v11, vcc
	v_and_b32_e32 v27, 0xff, v31
.LBB113_162:
	s_or_b64 exec, exec, s[46:47]
	v_cmp_gt_u32_e32 vcc, 62, v8
	s_waitcnt lgkmcnt(0)
	v_cndmask_b32_e64 v19, 0, 1, vcc
	v_lshlrev_b32_e32 v19, 1, v19
	v_add_lshl_u32 v19, v19, v5, 2
	ds_bpermute_b32 v22, v19, v10
	ds_bpermute_b32 v23, v19, v11
	ds_bpermute_b32 v21, v19, v27
	v_add_u32_e32 v20, 2, v5
	v_cmp_le_u32_e32 vcc, v20, v9
	s_and_saveexec_b64 s[66:67], vcc
	s_cbranch_execz .LBB113_164
; %bb.163:
	v_mov_b32_e32 v24, 0
	v_cmp_eq_u16_sdwa vcc, v31, v24 src0_sel:BYTE_0 src1_sel:DWORD
	s_waitcnt lgkmcnt(2)
	v_cndmask_b32_e32 v22, 0, v22, vcc
	s_waitcnt lgkmcnt(1)
	v_cndmask_b32_e32 v23, 0, v23, vcc
	v_add_co_u32_e32 v10, vcc, v22, v10
	v_addc_co_u32_e32 v11, vcc, v23, v11, vcc
	v_and_b32_e32 v22, 1, v31
	s_waitcnt lgkmcnt(0)
	v_and_b32_e32 v21, 1, v21
	v_cmp_eq_u32_e32 vcc, 1, v22
	v_cmp_eq_u32_e64 s[46:47], 1, v21
	s_or_b64 s[46:47], vcc, s[46:47]
	v_cndmask_b32_e64 v31, 0, 1, s[46:47]
	v_cndmask_b32_e64 v27, 0, 1, s[46:47]
.LBB113_164:
	s_or_b64 exec, exec, s[66:67]
	v_cmp_gt_u32_e32 vcc, 60, v8
	s_waitcnt lgkmcnt(0)
	v_cndmask_b32_e64 v21, 0, 1, vcc
	v_lshlrev_b32_e32 v21, 2, v21
	v_add_lshl_u32 v21, v21, v5, 2
	ds_bpermute_b32 v24, v21, v10
	ds_bpermute_b32 v25, v21, v11
	ds_bpermute_b32 v23, v21, v27
	v_add_u32_e32 v22, 4, v5
	v_cmp_le_u32_e32 vcc, v22, v9
	s_and_saveexec_b64 s[66:67], vcc
	s_cbranch_execz .LBB113_166
; %bb.165:
	v_mov_b32_e32 v26, 0
	v_cmp_eq_u16_sdwa vcc, v31, v26 src0_sel:BYTE_0 src1_sel:DWORD
	s_waitcnt lgkmcnt(2)
	v_cndmask_b32_e32 v24, 0, v24, vcc
	s_waitcnt lgkmcnt(1)
	v_cndmask_b32_e32 v25, 0, v25, vcc
	v_add_co_u32_e32 v10, vcc, v24, v10
	v_addc_co_u32_e32 v11, vcc, v25, v11, vcc
	v_and_b32_e32 v24, 1, v31
	s_waitcnt lgkmcnt(0)
	v_and_b32_e32 v23, 1, v23
	v_cmp_eq_u32_e32 vcc, 1, v24
	v_cmp_eq_u32_e64 s[46:47], 1, v23
	s_or_b64 s[46:47], vcc, s[46:47]
	v_cndmask_b32_e64 v31, 0, 1, s[46:47]
	v_cndmask_b32_e64 v27, 0, 1, s[46:47]
.LBB113_166:
	;; [unrolled: 31-line block ×3, first 2 shown]
	s_or_b64 exec, exec, s[66:67]
	v_cmp_gt_u32_e32 vcc, 48, v8
	s_waitcnt lgkmcnt(0)
	v_cndmask_b32_e64 v25, 0, 1, vcc
	v_lshlrev_b32_e32 v25, 4, v25
	v_add_lshl_u32 v25, v25, v5, 2
	ds_bpermute_b32 v29, v25, v10
	ds_bpermute_b32 v30, v25, v11
	ds_bpermute_b32 v28, v25, v27
	v_add_u32_e32 v26, 16, v5
	v_cmp_le_u32_e32 vcc, v26, v9
	s_and_saveexec_b64 s[66:67], vcc
	s_cbranch_execz .LBB113_170
; %bb.169:
	v_mov_b32_e32 v27, 0
	v_cmp_eq_u16_sdwa vcc, v31, v27 src0_sel:BYTE_0 src1_sel:DWORD
	s_waitcnt lgkmcnt(2)
	v_cndmask_b32_e32 v29, 0, v29, vcc
	s_waitcnt lgkmcnt(1)
	v_cndmask_b32_e32 v27, 0, v30, vcc
	v_add_co_u32_e32 v10, vcc, v29, v10
	v_addc_co_u32_e32 v11, vcc, v27, v11, vcc
	v_and_b32_e32 v27, 1, v31
	v_cmp_eq_u32_e32 vcc, 1, v27
	s_waitcnt lgkmcnt(0)
	v_and_b32_e32 v27, 1, v28
	v_cmp_eq_u32_e64 s[46:47], 1, v27
	s_or_b64 s[46:47], vcc, s[46:47]
	v_cndmask_b32_e64 v31, 0, 1, s[46:47]
	v_cndmask_b32_e64 v27, 0, 1, s[46:47]
.LBB113_170:
	s_or_b64 exec, exec, s[66:67]
	v_cmp_gt_u32_e32 vcc, 32, v8
	v_cndmask_b32_e64 v8, 0, 1, vcc
	v_lshlrev_b32_e32 v8, 5, v8
	s_waitcnt lgkmcnt(0)
	v_add_lshl_u32 v28, v8, v5, 2
	ds_bpermute_b32 v30, v28, v10
	ds_bpermute_b32 v32, v28, v11
	;; [unrolled: 1-line block ×3, first 2 shown]
	v_add_u32_e32 v29, 32, v5
	v_cmp_le_u32_e32 vcc, v29, v9
	s_and_saveexec_b64 s[66:67], vcc
	s_cbranch_execz .LBB113_172
; %bb.171:
	v_mov_b32_e32 v5, 0
	v_cmp_eq_u16_sdwa vcc, v31, v5 src0_sel:BYTE_0 src1_sel:DWORD
	s_waitcnt lgkmcnt(2)
	v_cndmask_b32_e32 v9, 0, v30, vcc
	s_waitcnt lgkmcnt(1)
	v_cndmask_b32_e32 v5, 0, v32, vcc
	v_add_co_u32_e32 v10, vcc, v9, v10
	v_addc_co_u32_e32 v11, vcc, v5, v11, vcc
	v_and_b32_e32 v5, 1, v31
	v_cmp_eq_u32_e32 vcc, 1, v5
	s_waitcnt lgkmcnt(0)
	v_and_b32_e32 v5, 1, v8
	v_cmp_eq_u32_e64 s[46:47], 1, v5
	s_or_b64 s[46:47], vcc, s[46:47]
	v_cndmask_b32_e64 v31, 0, 1, s[46:47]
.LBB113_172:
	s_or_b64 exec, exec, s[66:67]
	v_mov_b32_e32 v5, 0
	s_waitcnt lgkmcnt(2)
	v_mov_b32_e32 v30, 2
	s_branch .LBB113_174
.LBB113_173:                            ;   in Loop: Header=BB113_174 Depth=1
	s_or_b64 exec, exec, s[68:69]
	v_cmp_eq_u16_sdwa vcc, v27, v5 src0_sel:BYTE_0 src1_sel:DWORD
	v_cndmask_b32_e32 v10, 0, v10, vcc
	v_cndmask_b32_e32 v11, 0, v11, vcc
	v_add_co_u32_e32 v10, vcc, v10, v8
	v_addc_co_u32_e32 v11, vcc, v11, v9, vcc
	v_and_b32_e32 v31, 1, v27
	v_cmp_eq_u32_e32 vcc, 1, v31
	s_or_b64 s[46:47], vcc, s[66:67]
	v_subrev_u32_e32 v4, 64, v4
	v_cndmask_b32_e64 v31, 0, 1, s[46:47]
.LBB113_174:                            ; =>This Loop Header: Depth=1
                                        ;     Child Loop BB113_177 Depth 2
	v_cmp_ne_u16_sdwa s[46:47], v16, v30 src0_sel:BYTE_0 src1_sel:DWORD
	s_waitcnt lgkmcnt(0)
	v_cndmask_b32_e64 v8, 0, 1, s[46:47]
	;;#ASMSTART
	;;#ASMEND
	v_cmp_ne_u32_e32 vcc, 0, v8
	v_mov_b32_e32 v27, v31
	s_cmp_lg_u64 vcc, exec
	v_pk_mov_b32 v[8:9], v[10:11], v[10:11] op_sel:[0,1]
	s_cbranch_scc1 .LBB113_191
; %bb.175:                              ;   in Loop: Header=BB113_174 Depth=1
	global_load_ubyte v16, v4, s[52:53] glc
	s_waitcnt vmcnt(0)
	v_cmp_eq_u16_e32 vcc, 0, v16
	s_and_saveexec_b64 s[46:47], vcc
	s_cbranch_execz .LBB113_179
; %bb.176:                              ;   in Loop: Header=BB113_174 Depth=1
	v_mov_b32_e32 v11, s53
	v_add_co_u32_e32 v10, vcc, s52, v4
	v_addc_co_u32_e32 v11, vcc, 0, v11, vcc
	s_mov_b64 s[66:67], 0
.LBB113_177:                            ;   Parent Loop BB113_174 Depth=1
                                        ; =>  This Inner Loop Header: Depth=2
	global_load_ubyte v16, v[10:11], off glc
	s_waitcnt vmcnt(0)
	v_cmp_ne_u16_e32 vcc, 0, v16
	s_or_b64 s[66:67], vcc, s[66:67]
	s_andn2_b64 exec, exec, s[66:67]
	s_cbranch_execnz .LBB113_177
; %bb.178:                              ;   in Loop: Header=BB113_174 Depth=1
	s_or_b64 exec, exec, s[66:67]
.LBB113_179:                            ;   in Loop: Header=BB113_174 Depth=1
	s_or_b64 exec, exec, s[46:47]
	v_mov_b32_e32 v10, s51
	v_mov_b32_e32 v11, s49
	v_cmp_eq_u16_e32 vcc, 1, v16
	v_cndmask_b32_e32 v31, v10, v11, vcc
	v_mov_b32_e32 v10, s50
	v_mov_b32_e32 v11, s48
	v_cndmask_b32_e32 v32, v10, v11, vcc
	v_lshlrev_b64 v[10:11], 4, v[4:5]
	v_add_co_u32_e32 v32, vcc, v32, v10
	v_addc_co_u32_e32 v33, vcc, v31, v11, vcc
	buffer_wbinvl1_vol
	global_load_dwordx2 v[10:11], v[32:33], off
	global_load_ubyte v31, v[32:33], off offset:8
	v_cmp_eq_u16_e32 vcc, 2, v16
	v_and_b32_e32 v32, vcc_hi, v7
	v_or_b32_e32 v32, 0x80000000, v32
	v_and_b32_e32 v37, vcc_lo, v6
	v_ffbl_b32_e32 v32, v32
	v_add_u32_e32 v32, 32, v32
	v_ffbl_b32_e32 v37, v37
	v_min_u32_e32 v32, v37, v32
	v_cmp_le_u32_e32 vcc, v18, v32
	s_waitcnt vmcnt(1)
	ds_bpermute_b32 v35, v17, v10
	s_waitcnt vmcnt(0)
	v_and_b32_e32 v33, 1, v31
	ds_bpermute_b32 v36, v17, v11
	ds_bpermute_b32 v34, v17, v33
	v_cmp_eq_u32_e64 s[66:67], 1, v33
	s_and_saveexec_b64 s[46:47], vcc
	s_cbranch_execz .LBB113_181
; %bb.180:                              ;   in Loop: Header=BB113_174 Depth=1
	v_cmp_eq_u16_sdwa vcc, v31, v5 src0_sel:BYTE_0 src1_sel:DWORD
	s_waitcnt lgkmcnt(2)
	v_cndmask_b32_e32 v35, 0, v35, vcc
	s_waitcnt lgkmcnt(1)
	v_cndmask_b32_e32 v33, 0, v36, vcc
	v_add_co_u32_e32 v10, vcc, v35, v10
	v_addc_co_u32_e32 v11, vcc, v33, v11, vcc
	s_waitcnt lgkmcnt(0)
	v_and_b32_e32 v33, 1, v34
	v_or_b32_e32 v31, v33, v31
	v_and_b32_e32 v34, 1, v31
	v_cmp_eq_u32_e32 vcc, 1, v34
	s_andn2_b64 s[66:67], s[66:67], exec
	s_and_b64 s[68:69], vcc, exec
	v_and_b32_e32 v33, 0xff, v31
	s_or_b64 s[66:67], s[66:67], s[68:69]
.LBB113_181:                            ;   in Loop: Header=BB113_174 Depth=1
	s_or_b64 exec, exec, s[46:47]
	s_waitcnt lgkmcnt(2)
	ds_bpermute_b32 v35, v19, v10
	s_waitcnt lgkmcnt(2)
	ds_bpermute_b32 v36, v19, v11
	s_waitcnt lgkmcnt(2)
	ds_bpermute_b32 v34, v19, v33
	v_cmp_le_u32_e32 vcc, v20, v32
	s_and_saveexec_b64 s[68:69], vcc
	s_cbranch_execz .LBB113_183
; %bb.182:                              ;   in Loop: Header=BB113_174 Depth=1
	v_cmp_eq_u16_sdwa vcc, v31, v5 src0_sel:BYTE_0 src1_sel:DWORD
	s_waitcnt lgkmcnt(2)
	v_cndmask_b32_e32 v35, 0, v35, vcc
	s_waitcnt lgkmcnt(1)
	v_cndmask_b32_e32 v33, 0, v36, vcc
	v_add_co_u32_e32 v10, vcc, v35, v10
	v_addc_co_u32_e32 v11, vcc, v33, v11, vcc
	v_and_b32_e32 v31, 1, v31
	v_cmp_eq_u32_e32 vcc, 1, v31
	s_waitcnt lgkmcnt(0)
	v_and_b32_e32 v31, 1, v34
	v_cmp_eq_u32_e64 s[46:47], 1, v31
	s_or_b64 s[46:47], vcc, s[46:47]
	v_cndmask_b32_e64 v31, 0, 1, s[46:47]
	v_cndmask_b32_e64 v33, 0, 1, s[46:47]
	s_andn2_b64 s[66:67], s[66:67], exec
	s_and_b64 s[46:47], s[46:47], exec
	s_or_b64 s[66:67], s[66:67], s[46:47]
.LBB113_183:                            ;   in Loop: Header=BB113_174 Depth=1
	s_or_b64 exec, exec, s[68:69]
	s_waitcnt lgkmcnt(2)
	ds_bpermute_b32 v35, v21, v10
	s_waitcnt lgkmcnt(2)
	ds_bpermute_b32 v36, v21, v11
	s_waitcnt lgkmcnt(2)
	ds_bpermute_b32 v34, v21, v33
	v_cmp_le_u32_e32 vcc, v22, v32
	s_and_saveexec_b64 s[68:69], vcc
	s_cbranch_execz .LBB113_185
; %bb.184:                              ;   in Loop: Header=BB113_174 Depth=1
	v_cmp_eq_u16_sdwa vcc, v31, v5 src0_sel:BYTE_0 src1_sel:DWORD
	s_waitcnt lgkmcnt(2)
	v_cndmask_b32_e32 v35, 0, v35, vcc
	s_waitcnt lgkmcnt(1)
	v_cndmask_b32_e32 v33, 0, v36, vcc
	v_add_co_u32_e32 v10, vcc, v35, v10
	v_addc_co_u32_e32 v11, vcc, v33, v11, vcc
	v_and_b32_e32 v31, 1, v31
	v_cmp_eq_u32_e32 vcc, 1, v31
	s_waitcnt lgkmcnt(0)
	v_and_b32_e32 v31, 1, v34
	v_cmp_eq_u32_e64 s[46:47], 1, v31
	s_or_b64 s[46:47], vcc, s[46:47]
	v_cndmask_b32_e64 v31, 0, 1, s[46:47]
	v_cndmask_b32_e64 v33, 0, 1, s[46:47]
	s_andn2_b64 s[66:67], s[66:67], exec
	s_and_b64 s[46:47], s[46:47], exec
	s_or_b64 s[66:67], s[66:67], s[46:47]
.LBB113_185:                            ;   in Loop: Header=BB113_174 Depth=1
	s_or_b64 exec, exec, s[68:69]
	s_waitcnt lgkmcnt(2)
	ds_bpermute_b32 v35, v23, v10
	s_waitcnt lgkmcnt(2)
	ds_bpermute_b32 v36, v23, v11
	s_waitcnt lgkmcnt(2)
	ds_bpermute_b32 v34, v23, v33
	v_cmp_le_u32_e32 vcc, v24, v32
	s_and_saveexec_b64 s[68:69], vcc
	s_cbranch_execz .LBB113_187
; %bb.186:                              ;   in Loop: Header=BB113_174 Depth=1
	v_cmp_eq_u16_sdwa vcc, v31, v5 src0_sel:BYTE_0 src1_sel:DWORD
	s_waitcnt lgkmcnt(2)
	v_cndmask_b32_e32 v35, 0, v35, vcc
	s_waitcnt lgkmcnt(1)
	v_cndmask_b32_e32 v33, 0, v36, vcc
	v_add_co_u32_e32 v10, vcc, v35, v10
	v_addc_co_u32_e32 v11, vcc, v33, v11, vcc
	v_and_b32_e32 v31, 1, v31
	v_cmp_eq_u32_e32 vcc, 1, v31
	s_waitcnt lgkmcnt(0)
	v_and_b32_e32 v31, 1, v34
	v_cmp_eq_u32_e64 s[46:47], 1, v31
	s_or_b64 s[46:47], vcc, s[46:47]
	v_cndmask_b32_e64 v31, 0, 1, s[46:47]
	v_cndmask_b32_e64 v33, 0, 1, s[46:47]
	s_andn2_b64 s[66:67], s[66:67], exec
	s_and_b64 s[46:47], s[46:47], exec
	s_or_b64 s[66:67], s[66:67], s[46:47]
.LBB113_187:                            ;   in Loop: Header=BB113_174 Depth=1
	s_or_b64 exec, exec, s[68:69]
	s_waitcnt lgkmcnt(2)
	ds_bpermute_b32 v35, v25, v10
	s_waitcnt lgkmcnt(2)
	ds_bpermute_b32 v36, v25, v11
	s_waitcnt lgkmcnt(2)
	ds_bpermute_b32 v34, v25, v33
	v_cmp_le_u32_e32 vcc, v26, v32
	s_and_saveexec_b64 s[68:69], vcc
	s_cbranch_execz .LBB113_189
; %bb.188:                              ;   in Loop: Header=BB113_174 Depth=1
	v_cmp_eq_u16_sdwa vcc, v31, v5 src0_sel:BYTE_0 src1_sel:DWORD
	s_waitcnt lgkmcnt(2)
	v_cndmask_b32_e32 v35, 0, v35, vcc
	s_waitcnt lgkmcnt(1)
	v_cndmask_b32_e32 v33, 0, v36, vcc
	v_add_co_u32_e32 v10, vcc, v35, v10
	v_addc_co_u32_e32 v11, vcc, v33, v11, vcc
	v_and_b32_e32 v31, 1, v31
	v_cmp_eq_u32_e32 vcc, 1, v31
	s_waitcnt lgkmcnt(0)
	v_and_b32_e32 v31, 1, v34
	v_cmp_eq_u32_e64 s[46:47], 1, v31
	s_or_b64 s[46:47], vcc, s[46:47]
	v_cndmask_b32_e64 v31, 0, 1, s[46:47]
	v_cndmask_b32_e64 v33, 0, 1, s[46:47]
	s_andn2_b64 s[66:67], s[66:67], exec
	s_and_b64 s[46:47], s[46:47], exec
	s_or_b64 s[66:67], s[66:67], s[46:47]
.LBB113_189:                            ;   in Loop: Header=BB113_174 Depth=1
	s_or_b64 exec, exec, s[68:69]
	s_waitcnt lgkmcnt(0)
	ds_bpermute_b32 v34, v28, v10
	ds_bpermute_b32 v35, v28, v11
	;; [unrolled: 1-line block ×3, first 2 shown]
	v_cmp_le_u32_e32 vcc, v29, v32
	s_and_saveexec_b64 s[68:69], vcc
	s_cbranch_execz .LBB113_173
; %bb.190:                              ;   in Loop: Header=BB113_174 Depth=1
	v_cmp_eq_u16_sdwa vcc, v31, v5 src0_sel:BYTE_0 src1_sel:DWORD
	s_waitcnt lgkmcnt(2)
	v_cndmask_b32_e32 v34, 0, v34, vcc
	s_waitcnt lgkmcnt(1)
	v_cndmask_b32_e32 v32, 0, v35, vcc
	v_add_co_u32_e32 v10, vcc, v34, v10
	v_addc_co_u32_e32 v11, vcc, v32, v11, vcc
	v_and_b32_e32 v31, 1, v31
	v_cmp_eq_u32_e32 vcc, 1, v31
	s_waitcnt lgkmcnt(0)
	v_and_b32_e32 v31, 1, v33
	v_cmp_eq_u32_e64 s[46:47], 1, v31
	s_or_b64 s[46:47], vcc, s[46:47]
	s_andn2_b64 s[66:67], s[66:67], exec
	s_and_b64 s[46:47], s[46:47], exec
	s_or_b64 s[66:67], s[66:67], s[46:47]
	s_branch .LBB113_173
.LBB113_191:                            ;   in Loop: Header=BB113_174 Depth=1
                                        ; implicit-def: $vgpr31
                                        ; implicit-def: $vgpr10_vgpr11
                                        ; implicit-def: $vgpr16
	s_cbranch_execz .LBB113_174
; %bb.192:
	s_and_saveexec_b64 s[46:47], s[42:43]
	s_cbranch_execz .LBB113_194
; %bb.193:
	v_mov_b32_e32 v4, 0
	s_mov_b32 s7, 0
	v_cmp_eq_u16_sdwa vcc, v15, v4 src0_sel:BYTE_0 src1_sel:DWORD
	s_add_i32 s6, s6, 64
	v_cndmask_b32_e32 v6, 0, v8, vcc
	s_lshl_b64 s[42:43], s[6:7], 4
	v_cndmask_b32_e32 v5, 0, v9, vcc
	v_add_co_u32_e32 v2, vcc, v6, v2
	s_add_u32 s42, s50, s42
	v_addc_co_u32_e32 v3, vcc, v5, v3, vcc
	v_or_b32_e32 v5, v15, v27
	s_addc_u32 s43, s51, s43
	v_and_b32_e32 v5, 1, v5
	global_store_dwordx2 v4, v[2:3], s[42:43]
	global_store_byte v4, v5, s[42:43] offset:8
	v_mov_b32_e32 v2, s6
	v_mov_b32_e32 v3, 2
	s_waitcnt vmcnt(0) lgkmcnt(0)
	buffer_wbinvl1_vol
	global_store_byte v2, v3, s[52:53]
.LBB113_194:
	s_or_b64 exec, exec, s[46:47]
	v_cmp_eq_u32_e32 vcc, 0, v0
	s_and_b64 exec, exec, vcc
	s_cbranch_execz .LBB113_196
; %bb.195:
	v_mov_b32_e32 v2, 0
	ds_write_b64 v2, v[8:9]
	ds_write_b8 v2, v27 offset:8
.LBB113_196:
	s_or_b64 exec, exec, s[64:65]
	v_mov_b32_e32 v4, 0
	s_waitcnt lgkmcnt(0)
	; wave barrier
	s_waitcnt lgkmcnt(0)
	ds_read_b64 v[2:3], v4
	v_cmp_eq_u32_sdwa vcc, v14, v4 src0_sel:BYTE_0 src1_sel:DWORD
	s_waitcnt lgkmcnt(0)
	v_cndmask_b32_e32 v6, 0, v2, vcc
	v_cndmask_b32_e32 v5, 0, v3, vcc
	v_add_co_u32_e32 v6, vcc, v12, v6
	v_addc_co_u32_e32 v5, vcc, v13, v5, vcc
	v_cmp_eq_u32_e32 vcc, 0, v0
	v_cndmask_b32_e32 v85, v5, v3, vcc
	v_cndmask_b32_e32 v84, v6, v2, vcc
	v_cmp_eq_u16_sdwa vcc, v1, v4 src0_sel:BYTE_0 src1_sel:DWORD
	v_cndmask_b32_e32 v3, 0, v84, vcc
	v_cndmask_b32_e32 v2, 0, v85, vcc
	v_add_co_u32_e32 v4, vcc, v3, v42
	v_addc_co_u32_e32 v5, vcc, v2, v43, vcc
	v_cndmask_b32_e64 v3, 0, v4, s[40:41]
	v_cndmask_b32_e64 v2, 0, v5, s[40:41]
	v_add_co_u32_e32 v6, vcc, v3, v46
	v_addc_co_u32_e32 v7, vcc, v2, v47, vcc
	v_cndmask_b32_e64 v3, 0, v6, s[38:39]
	v_cndmask_b32_e64 v2, 0, v7, s[38:39]
	;; [unrolled: 4-line block ×19, first 2 shown]
	s_branch .LBB113_217
.LBB113_197:
                                        ; implicit-def: $vgpr84_vgpr85
                                        ; implicit-def: $vgpr104_vgpr105
                                        ; implicit-def: $vgpr102_vgpr103
                                        ; implicit-def: $vgpr100_vgpr101
                                        ; implicit-def: $vgpr98_vgpr99
                                        ; implicit-def: $vgpr96_vgpr97
                                        ; implicit-def: $vgpr94_vgpr95
                                        ; implicit-def: $vgpr92_vgpr93
                                        ; implicit-def: $vgpr90_vgpr91
                                        ; implicit-def: $vgpr88_vgpr89
                                        ; implicit-def: $vgpr86_vgpr87
                                        ; implicit-def: $vgpr38_vgpr39_vgpr40_vgpr41
                                        ; implicit-def: $vgpr34_vgpr35_vgpr36_vgpr37
                                        ; implicit-def: $vgpr30_vgpr31_vgpr32_vgpr33
                                        ; implicit-def: $vgpr26_vgpr27_vgpr28_vgpr29
                                        ; implicit-def: $vgpr22_vgpr23_vgpr24_vgpr25
                                        ; implicit-def: $vgpr18_vgpr19_vgpr20_vgpr21
                                        ; implicit-def: $vgpr14_vgpr15_vgpr16_vgpr17
                                        ; implicit-def: $vgpr10_vgpr11_vgpr12_vgpr13
                                        ; implicit-def: $vgpr6_vgpr7_vgpr8_vgpr9
                                        ; implicit-def: $vgpr2_vgpr3_vgpr4_vgpr5
	s_cbranch_execz .LBB113_217
; %bb.198:
	s_cmp_eq_u64 s[62:63], 0
	s_cbranch_scc1 .LBB113_200
; %bb.199:
	s_load_dwordx2 s[58:59], s[62:63], 0x0
.LBB113_200:
	v_mov_b32_e32 v2, 0
	v_cmp_eq_u16_sdwa s[38:39], v106, v2 src0_sel:BYTE_0 src1_sel:DWORD
	v_cndmask_b32_e64 v4, 0, v42, s[38:39]
	v_cndmask_b32_e64 v3, 0, v43, s[38:39]
	v_add_co_u32_e32 v4, vcc, v4, v46
	v_cmp_eq_u16_sdwa s[36:37], v107, v2 src0_sel:BYTE_0 src1_sel:DWORD
	v_addc_co_u32_e32 v3, vcc, v3, v47, vcc
	v_cndmask_b32_e64 v4, 0, v4, s[36:37]
	v_cndmask_b32_e64 v3, 0, v3, s[36:37]
	v_add_co_u32_e32 v4, vcc, v4, v48
	v_cmp_eq_u16_sdwa s[34:35], v109, v2 src0_sel:BYTE_0 src1_sel:DWORD
	v_addc_co_u32_e32 v3, vcc, v3, v49, vcc
	;; [unrolled: 5-line block ×17, first 2 shown]
	v_cndmask_b32_e64 v4, 0, v4, s[2:3]
	v_cndmask_b32_e64 v3, 0, v3, s[2:3]
	v_add_co_u32_e32 v4, vcc, v4, v80
	v_addc_co_u32_e32 v3, vcc, v3, v81, vcc
	v_cmp_eq_u16_sdwa vcc, v108, v2 src0_sel:BYTE_0 src1_sel:DWORD
	v_cndmask_b32_e32 v4, 0, v4, vcc
	v_cndmask_b32_e32 v3, 0, v3, vcc
	v_add_co_u32_e64 v4, s[40:41], v4, v44
	v_addc_co_u32_e64 v3, s[40:41], v3, v45, s[40:41]
	v_cmp_eq_u16_sdwa s[40:41], v125, v2 src0_sel:BYTE_0 src1_sel:DWORD
	v_cndmask_b32_e64 v2, 0, v4, s[40:41]
	v_or_b32_e32 v4, v127, v123
	v_or_b32_e32 v4, v4, v122
	;; [unrolled: 1-line block ×18, first 2 shown]
	v_cndmask_b32_e64 v3, 0, v3, s[40:41]
	v_add_co_u32_e64 v2, s[40:41], v2, v82
	v_and_b32_e32 v5, 1, v4
	v_mbcnt_hi_u32_b32 v4, -1, v126
	v_addc_co_u32_e64 v3, s[40:41], v3, v83, s[40:41]
	v_and_b32_e32 v7, 15, v4
	v_cmp_eq_u32_e64 s[40:41], 1, v5
	v_mov_b32_dpp v8, v2 row_shr:1 row_mask:0xf bank_mask:0xf
	v_mov_b32_dpp v9, v3 row_shr:1 row_mask:0xf bank_mask:0xf
	;; [unrolled: 1-line block ×3, first 2 shown]
	v_cmp_ne_u32_e64 s[42:43], 0, v7
	v_mov_b32_e32 v6, v5
	s_and_saveexec_b64 s[44:45], s[42:43]
; %bb.201:
	v_and_b32_e32 v6, 1, v10
	v_cndmask_b32_e64 v8, v8, 0, s[40:41]
	v_or_b32_e32 v5, v6, v5
	v_cndmask_b32_e64 v6, v9, 0, s[40:41]
	v_add_co_u32_e64 v2, s[40:41], v8, v2
	v_addc_co_u32_e64 v3, s[40:41], v6, v3, s[40:41]
	v_and_b32_e32 v6, 0xffff, v5
; %bb.202:
	s_or_b64 exec, exec, s[44:45]
	v_mov_b32_dpp v8, v2 row_shr:2 row_mask:0xf bank_mask:0xf
	v_mov_b32_dpp v9, v3 row_shr:2 row_mask:0xf bank_mask:0xf
	v_mov_b32_dpp v10, v6 row_shr:2 row_mask:0xf bank_mask:0xf
	v_cmp_lt_u32_e64 s[40:41], 1, v7
	s_and_saveexec_b64 s[44:45], s[40:41]
	s_cbranch_execz .LBB113_204
; %bb.203:
	v_and_b32_e32 v6, 1, v5
	v_cmp_eq_u32_e64 s[40:41], 1, v6
	v_and_b32_e32 v6, 1, v10
	v_cmp_eq_u32_e64 s[42:43], 1, v6
	s_or_b64 s[42:43], s[40:41], s[42:43]
	v_cmp_eq_u16_e64 s[40:41], 0, v5
	v_cndmask_b32_e64 v6, 0, v8, s[40:41]
	v_cndmask_b32_e64 v10, 0, 1, s[42:43]
	v_cndmask_b32_e64 v5, 0, v9, s[40:41]
	v_add_co_u32_e64 v2, s[40:41], v6, v2
	v_addc_co_u32_e64 v3, s[40:41], v5, v3, s[40:41]
	v_cndmask_b32_e64 v6, 0, 1, s[42:43]
	v_mov_b32_e32 v5, v10
.LBB113_204:
	s_or_b64 exec, exec, s[44:45]
	v_mov_b32_dpp v8, v2 row_shr:4 row_mask:0xf bank_mask:0xf
	v_mov_b32_dpp v9, v3 row_shr:4 row_mask:0xf bank_mask:0xf
	v_mov_b32_dpp v10, v6 row_shr:4 row_mask:0xf bank_mask:0xf
	v_cmp_lt_u32_e64 s[40:41], 3, v7
	s_and_saveexec_b64 s[44:45], s[40:41]
	s_cbranch_execz .LBB113_206
; %bb.205:
	v_and_b32_e32 v6, 1, v5
	v_cmp_eq_u32_e64 s[40:41], 1, v6
	v_and_b32_e32 v6, 1, v10
	v_cmp_eq_u32_e64 s[42:43], 1, v6
	s_or_b64 s[42:43], s[40:41], s[42:43]
	v_cmp_eq_u16_e64 s[40:41], 0, v5
	v_cndmask_b32_e64 v6, 0, v8, s[40:41]
	v_cndmask_b32_e64 v10, 0, 1, s[42:43]
	v_cndmask_b32_e64 v5, 0, v9, s[40:41]
	v_add_co_u32_e64 v2, s[40:41], v6, v2
	v_addc_co_u32_e64 v3, s[40:41], v5, v3, s[40:41]
	v_cndmask_b32_e64 v6, 0, 1, s[42:43]
	v_mov_b32_e32 v5, v10
.LBB113_206:
	;; [unrolled: 22-line block ×3, first 2 shown]
	s_or_b64 exec, exec, s[44:45]
	v_and_b32_e32 v10, 16, v4
	v_mov_b32_dpp v7, v2 row_bcast:15 row_mask:0xf bank_mask:0xf
	v_mov_b32_dpp v8, v3 row_bcast:15 row_mask:0xf bank_mask:0xf
	;; [unrolled: 1-line block ×3, first 2 shown]
	v_cmp_ne_u32_e64 s[40:41], 0, v10
	s_and_saveexec_b64 s[44:45], s[40:41]
	s_cbranch_execz .LBB113_210
; %bb.209:
	v_and_b32_e32 v6, 1, v5
	v_cmp_eq_u32_e64 s[40:41], 1, v6
	v_and_b32_e32 v6, 1, v9
	v_cmp_eq_u32_e64 s[42:43], 1, v6
	s_or_b64 s[42:43], s[40:41], s[42:43]
	v_cmp_eq_u16_e64 s[40:41], 0, v5
	v_cndmask_b32_e64 v6, 0, v7, s[40:41]
	v_cndmask_b32_e64 v9, 0, 1, s[42:43]
	;; [unrolled: 1-line block ×3, first 2 shown]
	v_add_co_u32_e64 v2, s[40:41], v6, v2
	v_addc_co_u32_e64 v3, s[40:41], v5, v3, s[40:41]
	v_cndmask_b32_e64 v6, 0, 1, s[42:43]
	v_mov_b32_e32 v5, v9
.LBB113_210:
	s_or_b64 exec, exec, s[44:45]
	v_mov_b32_dpp v7, v2 row_bcast:31 row_mask:0xf bank_mask:0xf
	v_mov_b32_dpp v8, v3 row_bcast:31 row_mask:0xf bank_mask:0xf
	;; [unrolled: 1-line block ×3, first 2 shown]
	v_cmp_lt_u32_e64 s[40:41], 31, v4
	s_and_saveexec_b64 s[44:45], s[40:41]
	s_cbranch_execz .LBB113_212
; %bb.211:
	v_and_b32_e32 v9, 1, v5
	v_and_b32_e32 v6, 1, v6
	v_cmp_eq_u32_e64 s[40:41], 1, v9
	v_cmp_eq_u32_e64 s[42:43], 1, v6
	s_or_b64 s[40:41], s[40:41], s[42:43]
	v_cndmask_b32_e64 v6, 0, 1, s[40:41]
	v_cmp_eq_u16_e64 s[40:41], 0, v5
	v_cndmask_b32_e64 v7, 0, v7, s[40:41]
	v_cndmask_b32_e64 v5, 0, v8, s[40:41]
	v_add_co_u32_e64 v2, s[40:41], v7, v2
	v_addc_co_u32_e64 v3, s[40:41], v5, v3, s[40:41]
	v_mov_b32_e32 v5, v6
.LBB113_212:
	s_or_b64 exec, exec, s[44:45]
	v_cmp_eq_u32_e64 s[40:41], 63, v0
	s_and_saveexec_b64 s[42:43], s[40:41]
	s_cbranch_execz .LBB113_214
; %bb.213:
	v_mov_b32_e32 v6, 0
	ds_write_b64 v6, v[2:3]
	ds_write_b8 v6, v5 offset:8
.LBB113_214:
	s_or_b64 exec, exec, s[42:43]
	v_cmp_eq_u16_e64 s[40:41], 0, v5
	s_waitcnt lgkmcnt(0)
	v_mov_b32_e32 v7, s58
	v_mov_b32_e32 v6, s59
	v_cndmask_b32_e64 v8, 0, v7, s[40:41]
	v_cndmask_b32_e64 v5, 0, v6, s[40:41]
	v_add_co_u32_e64 v2, s[40:41], v8, v2
	v_addc_co_u32_e64 v3, s[40:41], v5, v3, s[40:41]
	v_add_u32_e32 v5, -1, v4
	v_and_b32_e32 v8, 64, v4
	v_cmp_lt_i32_e64 s[40:41], v5, v8
	v_cndmask_b32_e64 v5, v5, v4, s[40:41]
	v_lshlrev_b32_e32 v5, 2, v5
	ds_bpermute_b32 v2, v5, v2
	ds_bpermute_b32 v3, v5, v3
	v_cmp_eq_u32_e64 s[42:43], 0, v4
	v_cmp_eq_u32_e64 s[40:41], 0, v0
	s_or_b64 s[42:43], s[40:41], s[42:43]
	s_waitcnt lgkmcnt(1)
	v_cndmask_b32_e64 v84, v2, v7, s[42:43]
	v_mov_b32_e32 v2, 0
	s_waitcnt lgkmcnt(0)
	v_cndmask_b32_e64 v85, v3, v6, s[42:43]
	v_cmp_eq_u16_sdwa s[42:43], v1, v2 src0_sel:BYTE_0 src1_sel:DWORD
	v_cndmask_b32_e64 v3, 0, v84, s[42:43]
	v_cndmask_b32_e64 v1, 0, v85, s[42:43]
	v_add_co_u32_e64 v4, s[42:43], v3, v42
	v_addc_co_u32_e64 v5, s[42:43], v1, v43, s[42:43]
	v_cndmask_b32_e64 v3, 0, v4, s[38:39]
	v_cndmask_b32_e64 v1, 0, v5, s[38:39]
	v_add_co_u32_e64 v6, s[38:39], v3, v46
	v_addc_co_u32_e64 v7, s[38:39], v1, v47, s[38:39]
	;; [unrolled: 4-line block ×19, first 2 shown]
	v_cndmask_b32_e32 v105, 0, v103, vcc
	v_cndmask_b32_e32 v104, 0, v102, vcc
	s_waitcnt lgkmcnt(0)
	; wave barrier
	s_and_saveexec_b64 s[2:3], s[40:41]
	s_cbranch_execz .LBB113_216
; %bb.215:
	ds_read_u8 v1, v2 offset:8
	ds_read_b64 v[8:9], v2
	v_pk_mov_b32 v[84:85], s[58:59], s[58:59] op_sel:[0,1]
	s_waitcnt lgkmcnt(1)
	v_cmp_eq_u16_e32 vcc, 0, v1
	s_and_b64 s[4:5], vcc, exec
	s_cselect_b32 s4, s59, 0
	s_cselect_b32 s5, s58, 0
	v_mov_b32_e32 v3, s4
	s_waitcnt lgkmcnt(0)
	v_add_co_u32_e32 v8, vcc, s5, v8
	v_addc_co_u32_e32 v9, vcc, v3, v9, vcc
	global_store_dwordx2 v2, v[8:9], s[50:51] offset:1024
	global_store_byte v2, v1, s[50:51] offset:1032
	v_mov_b32_e32 v1, 2
	s_waitcnt vmcnt(0)
	buffer_wbinvl1_vol
	global_store_byte v2, v1, s[52:53] offset:64
.LBB113_216:
	s_or_b64 exec, exec, s[2:3]
.LBB113_217:
	v_add_co_u32_e32 v2, vcc, v104, v44
	v_addc_co_u32_e32 v3, vcc, v105, v45, vcc
	s_add_u32 s2, s56, s60
	s_addc_u32 s3, s57, s61
	s_and_b64 vcc, exec, s[0:1]
	v_lshlrev_b32_e32 v12, 3, v0
	s_cbranch_vccz .LBB113_259
; %bb.218:
	s_movk_i32 s0, 0xa8
	v_mul_i32_i24_e32 v16, 0xffffff60, v0
	v_mul_u32_u24_e32 v13, 0xa8, v0
	v_mad_u32_u24 v8, v0, s0, v16
	s_waitcnt lgkmcnt(0)
	; wave barrier
	ds_write2_b64 v13, v[84:85], v[4:5] offset1:1
	ds_write2_b64 v13, v[6:7], v[86:87] offset0:2 offset1:3
	ds_write2_b64 v13, v[10:11], v[88:89] offset0:4 offset1:5
	;; [unrolled: 1-line block ×9, first 2 shown]
	ds_write_b64 v13, v[2:3] offset:160
	s_waitcnt lgkmcnt(0)
	; wave barrier
	s_waitcnt lgkmcnt(0)
	ds_read2st64_b64 v[76:79], v8 offset0:1 offset1:2
	ds_read2st64_b64 v[72:75], v8 offset0:3 offset1:4
	ds_read2st64_b64 v[68:71], v8 offset0:5 offset1:6
	ds_read2st64_b64 v[64:67], v8 offset0:7 offset1:8
	ds_read2st64_b64 v[60:63], v8 offset0:9 offset1:10
	ds_read2st64_b64 v[56:59], v8 offset0:11 offset1:12
	ds_read2st64_b64 v[52:55], v8 offset0:13 offset1:14
	ds_read2st64_b64 v[48:51], v8 offset0:15 offset1:16
	ds_read2st64_b64 v[44:47], v8 offset0:17 offset1:18
	ds_read2st64_b64 v[40:43], v8 offset0:19 offset1:20
	v_mov_b32_e32 v9, s3
	v_add_co_u32_e32 v8, vcc, s2, v12
	s_add_i32 s33, s33, s54
	v_addc_co_u32_e32 v9, vcc, 0, v9, vcc
	v_mov_b32_e32 v1, 0
	v_cmp_gt_u32_e32 vcc, s33, v0
	s_and_saveexec_b64 s[0:1], vcc
	s_cbranch_execz .LBB113_220
; %bb.219:
	v_add_u32_e32 v13, v13, v16
	ds_read_b64 v[16:17], v13
	s_waitcnt lgkmcnt(0)
	global_store_dwordx2 v[8:9], v[16:17], off
.LBB113_220:
	s_or_b64 exec, exec, s[0:1]
	v_or_b32_e32 v13, 64, v0
	v_cmp_gt_u32_e32 vcc, s33, v13
	s_and_saveexec_b64 s[0:1], vcc
	s_cbranch_execz .LBB113_222
; %bb.221:
	s_waitcnt lgkmcnt(9)
	global_store_dwordx2 v[8:9], v[76:77], off offset:512
.LBB113_222:
	s_or_b64 exec, exec, s[0:1]
	v_or_b32_e32 v13, 0x80, v0
	v_cmp_gt_u32_e32 vcc, s33, v13
	s_and_saveexec_b64 s[0:1], vcc
	s_cbranch_execz .LBB113_224
; %bb.223:
	s_waitcnt lgkmcnt(9)
	global_store_dwordx2 v[8:9], v[78:79], off offset:1024
.LBB113_224:
	;; [unrolled: 9-line block ×7, first 2 shown]
	s_or_b64 exec, exec, s[0:1]
	v_or_b32_e32 v13, 0x200, v0
	v_cmp_gt_u32_e32 vcc, s33, v13
	s_and_saveexec_b64 s[0:1], vcc
	s_cbranch_execz .LBB113_236
; %bb.235:
	v_add_co_u32_e32 v16, vcc, 0x1000, v8
	v_addc_co_u32_e32 v17, vcc, 0, v9, vcc
	s_waitcnt lgkmcnt(6)
	global_store_dwordx2 v[16:17], v[66:67], off
.LBB113_236:
	s_or_b64 exec, exec, s[0:1]
	v_or_b32_e32 v13, 0x240, v0
	v_cmp_gt_u32_e32 vcc, s33, v13
	s_and_saveexec_b64 s[0:1], vcc
	s_cbranch_execz .LBB113_238
; %bb.237:
	v_add_co_u32_e32 v16, vcc, 0x1000, v8
	v_addc_co_u32_e32 v17, vcc, 0, v9, vcc
	s_waitcnt lgkmcnt(5)
	global_store_dwordx2 v[16:17], v[60:61], off offset:512
.LBB113_238:
	s_or_b64 exec, exec, s[0:1]
	v_or_b32_e32 v13, 0x280, v0
	v_cmp_gt_u32_e32 vcc, s33, v13
	s_and_saveexec_b64 s[0:1], vcc
	s_cbranch_execz .LBB113_240
; %bb.239:
	v_add_co_u32_e32 v16, vcc, 0x1000, v8
	v_addc_co_u32_e32 v17, vcc, 0, v9, vcc
	s_waitcnt lgkmcnt(5)
	global_store_dwordx2 v[16:17], v[62:63], off offset:1024
.LBB113_240:
	;; [unrolled: 11-line block ×7, first 2 shown]
	s_or_b64 exec, exec, s[0:1]
	v_or_b32_e32 v13, 0x400, v0
	v_cmp_gt_u32_e32 vcc, s33, v13
	s_and_saveexec_b64 s[0:1], vcc
	s_cbranch_execz .LBB113_252
; %bb.251:
	v_add_co_u32_e32 v16, vcc, 0x2000, v8
	v_addc_co_u32_e32 v17, vcc, 0, v9, vcc
	s_waitcnt lgkmcnt(2)
	global_store_dwordx2 v[16:17], v[50:51], off
.LBB113_252:
	s_or_b64 exec, exec, s[0:1]
	v_or_b32_e32 v13, 0x440, v0
	v_cmp_gt_u32_e32 vcc, s33, v13
	s_and_saveexec_b64 s[0:1], vcc
	s_cbranch_execz .LBB113_254
; %bb.253:
	v_add_co_u32_e32 v16, vcc, 0x2000, v8
	v_addc_co_u32_e32 v17, vcc, 0, v9, vcc
	s_waitcnt lgkmcnt(1)
	global_store_dwordx2 v[16:17], v[44:45], off offset:512
.LBB113_254:
	s_or_b64 exec, exec, s[0:1]
	v_or_b32_e32 v13, 0x480, v0
	v_cmp_gt_u32_e32 vcc, s33, v13
	s_and_saveexec_b64 s[0:1], vcc
	s_cbranch_execz .LBB113_256
; %bb.255:
	v_add_co_u32_e32 v16, vcc, 0x2000, v8
	v_addc_co_u32_e32 v17, vcc, 0, v9, vcc
	s_waitcnt lgkmcnt(1)
	global_store_dwordx2 v[16:17], v[46:47], off offset:1024
.LBB113_256:
	;; [unrolled: 11-line block ×3, first 2 shown]
	s_or_b64 exec, exec, s[0:1]
	v_or_b32_e32 v8, 0x500, v0
	v_cmp_gt_u32_e64 s[0:1], s33, v8
	s_branch .LBB113_261
.LBB113_259:
	s_mov_b64 s[0:1], 0
                                        ; implicit-def: $vgpr42_vgpr43
	s_cbranch_execz .LBB113_261
; %bb.260:
	v_mul_u32_u24_e32 v1, 0xa8, v0
	s_waitcnt lgkmcnt(0)
	; wave barrier
	s_waitcnt lgkmcnt(0)
	s_movk_i32 s4, 0xa8
	ds_write2_b64 v1, v[84:85], v[4:5] offset1:1
	ds_write2_b64 v1, v[6:7], v[86:87] offset0:2 offset1:3
	ds_write2_b64 v1, v[10:11], v[88:89] offset0:4 offset1:5
	;; [unrolled: 1-line block ×9, first 2 shown]
	ds_write_b64 v1, v[2:3] offset:160
	v_mul_i32_i24_e32 v2, 0xffffff60, v0
	v_mad_u32_u24 v10, v0, s4, v2
	s_waitcnt lgkmcnt(0)
	; wave barrier
	s_waitcnt lgkmcnt(0)
	ds_read2st64_b64 v[2:5], v10 offset1:1
	ds_read2st64_b64 v[6:9], v10 offset0:2 offset1:3
	ds_read2st64_b64 v[14:17], v10 offset0:4 offset1:5
	;; [unrolled: 1-line block ×9, first 2 shown]
	ds_read_b64 v[42:43], v10 offset:10240
	v_mov_b32_e32 v10, s3
	v_add_co_u32_e32 v11, vcc, s2, v12
	v_addc_co_u32_e32 v10, vcc, 0, v10, vcc
	s_movk_i32 s4, 0x1000
	s_waitcnt lgkmcnt(10)
	global_store_dwordx2 v12, v[2:3], s[2:3]
	global_store_dwordx2 v12, v[4:5], s[2:3] offset:512
	s_waitcnt lgkmcnt(9)
	global_store_dwordx2 v12, v[6:7], s[2:3] offset:1024
	global_store_dwordx2 v12, v[8:9], s[2:3] offset:1536
	s_waitcnt lgkmcnt(8)
	global_store_dwordx2 v12, v[14:15], s[2:3] offset:2048
	;; [unrolled: 3-line block ×3, first 2 shown]
	global_store_dwordx2 v12, v[20:21], s[2:3] offset:3584
	v_add_co_u32_e32 v2, vcc, s4, v11
	v_addc_co_u32_e32 v3, vcc, 0, v10, vcc
	s_waitcnt lgkmcnt(6)
	global_store_dwordx2 v[2:3], v[22:23], off
	global_store_dwordx2 v[2:3], v[24:25], off offset:512
	s_waitcnt lgkmcnt(5)
	global_store_dwordx2 v[2:3], v[26:27], off offset:1024
	global_store_dwordx2 v[2:3], v[28:29], off offset:1536
	s_waitcnt lgkmcnt(4)
	global_store_dwordx2 v[2:3], v[30:31], off offset:2048
	;; [unrolled: 3-line block ×3, first 2 shown]
	global_store_dwordx2 v[2:3], v[36:37], off offset:3584
	v_add_co_u32_e32 v2, vcc, 0x2000, v11
	v_mov_b32_e32 v1, 0
	v_addc_co_u32_e32 v3, vcc, 0, v10, vcc
	s_or_b64 s[0:1], s[0:1], exec
	s_waitcnt lgkmcnt(2)
	global_store_dwordx2 v[2:3], v[38:39], off
	global_store_dwordx2 v[2:3], v[40:41], off offset:512
	s_waitcnt lgkmcnt(1)
	global_store_dwordx2 v[2:3], v[44:45], off offset:1024
	global_store_dwordx2 v[2:3], v[46:47], off offset:1536
.LBB113_261:
	s_and_saveexec_b64 s[4:5], s[0:1]
	s_cbranch_execz .LBB113_263
; %bb.262:
	v_lshlrev_b64 v[0:1], 3, v[0:1]
	v_mov_b32_e32 v2, s3
	v_add_co_u32_e32 v0, vcc, s2, v0
	v_addc_co_u32_e32 v1, vcc, v2, v1, vcc
	v_add_co_u32_e32 v0, vcc, 0x2000, v0
	v_addc_co_u32_e32 v1, vcc, 0, v1, vcc
	s_waitcnt lgkmcnt(0)
	global_store_dwordx2 v[0:1], v[42:43], off offset:2048
	s_endpgm
.LBB113_263:
	s_endpgm
	.section	.rodata,"a",@progbits
	.p2align	6, 0x0
	.amdhsa_kernel _ZN7rocprim6detail25device_scan_by_key_kernelILNS0_25lookback_scan_determinismE0ELb1ENS0_26wrapped_scan_by_key_configINS_14default_configEiyEEPiN6hipcub22TransformInputIteratorIyNS7_6CastOpIyEEPylEESB_yNS7_8EqualityENS7_3SumENS0_19lookback_scan_stateINS_5tupleIJybEEELb0ELb0EEEyEEvT2_T3_T4_T5_T6_T7_T8_mmmPKNSG_IJT9_bEEE
		.amdhsa_group_segment_fixed_size 10752
		.amdhsa_private_segment_fixed_size 0
		.amdhsa_kernarg_size 104
		.amdhsa_user_sgpr_count 6
		.amdhsa_user_sgpr_private_segment_buffer 1
		.amdhsa_user_sgpr_dispatch_ptr 0
		.amdhsa_user_sgpr_queue_ptr 0
		.amdhsa_user_sgpr_kernarg_segment_ptr 1
		.amdhsa_user_sgpr_dispatch_id 0
		.amdhsa_user_sgpr_flat_scratch_init 0
		.amdhsa_user_sgpr_kernarg_preload_length 0
		.amdhsa_user_sgpr_kernarg_preload_offset 0
		.amdhsa_user_sgpr_private_segment_size 0
		.amdhsa_uses_dynamic_stack 0
		.amdhsa_system_sgpr_private_segment_wavefront_offset 0
		.amdhsa_system_sgpr_workgroup_id_x 1
		.amdhsa_system_sgpr_workgroup_id_y 0
		.amdhsa_system_sgpr_workgroup_id_z 0
		.amdhsa_system_sgpr_workgroup_info 0
		.amdhsa_system_vgpr_workitem_id 0
		.amdhsa_next_free_vgpr 128
		.amdhsa_next_free_sgpr 74
		.amdhsa_accum_offset 128
		.amdhsa_reserve_vcc 1
		.amdhsa_reserve_flat_scratch 0
		.amdhsa_float_round_mode_32 0
		.amdhsa_float_round_mode_16_64 0
		.amdhsa_float_denorm_mode_32 3
		.amdhsa_float_denorm_mode_16_64 3
		.amdhsa_dx10_clamp 1
		.amdhsa_ieee_mode 1
		.amdhsa_fp16_overflow 0
		.amdhsa_tg_split 0
		.amdhsa_exception_fp_ieee_invalid_op 0
		.amdhsa_exception_fp_denorm_src 0
		.amdhsa_exception_fp_ieee_div_zero 0
		.amdhsa_exception_fp_ieee_overflow 0
		.amdhsa_exception_fp_ieee_underflow 0
		.amdhsa_exception_fp_ieee_inexact 0
		.amdhsa_exception_int_div_zero 0
	.end_amdhsa_kernel
	.section	.text._ZN7rocprim6detail25device_scan_by_key_kernelILNS0_25lookback_scan_determinismE0ELb1ENS0_26wrapped_scan_by_key_configINS_14default_configEiyEEPiN6hipcub22TransformInputIteratorIyNS7_6CastOpIyEEPylEESB_yNS7_8EqualityENS7_3SumENS0_19lookback_scan_stateINS_5tupleIJybEEELb0ELb0EEEyEEvT2_T3_T4_T5_T6_T7_T8_mmmPKNSG_IJT9_bEEE,"axG",@progbits,_ZN7rocprim6detail25device_scan_by_key_kernelILNS0_25lookback_scan_determinismE0ELb1ENS0_26wrapped_scan_by_key_configINS_14default_configEiyEEPiN6hipcub22TransformInputIteratorIyNS7_6CastOpIyEEPylEESB_yNS7_8EqualityENS7_3SumENS0_19lookback_scan_stateINS_5tupleIJybEEELb0ELb0EEEyEEvT2_T3_T4_T5_T6_T7_T8_mmmPKNSG_IJT9_bEEE,comdat
.Lfunc_end113:
	.size	_ZN7rocprim6detail25device_scan_by_key_kernelILNS0_25lookback_scan_determinismE0ELb1ENS0_26wrapped_scan_by_key_configINS_14default_configEiyEEPiN6hipcub22TransformInputIteratorIyNS7_6CastOpIyEEPylEESB_yNS7_8EqualityENS7_3SumENS0_19lookback_scan_stateINS_5tupleIJybEEELb0ELb0EEEyEEvT2_T3_T4_T5_T6_T7_T8_mmmPKNSG_IJT9_bEEE, .Lfunc_end113-_ZN7rocprim6detail25device_scan_by_key_kernelILNS0_25lookback_scan_determinismE0ELb1ENS0_26wrapped_scan_by_key_configINS_14default_configEiyEEPiN6hipcub22TransformInputIteratorIyNS7_6CastOpIyEEPylEESB_yNS7_8EqualityENS7_3SumENS0_19lookback_scan_stateINS_5tupleIJybEEELb0ELb0EEEyEEvT2_T3_T4_T5_T6_T7_T8_mmmPKNSG_IJT9_bEEE
                                        ; -- End function
	.section	.AMDGPU.csdata,"",@progbits
; Kernel info:
; codeLenInByte = 16492
; NumSgprs: 78
; NumVgprs: 128
; NumAgprs: 0
; TotalNumVgprs: 128
; ScratchSize: 0
; MemoryBound: 0
; FloatMode: 240
; IeeeMode: 1
; LDSByteSize: 10752 bytes/workgroup (compile time only)
; SGPRBlocks: 9
; VGPRBlocks: 15
; NumSGPRsForWavesPerEU: 78
; NumVGPRsForWavesPerEU: 128
; AccumOffset: 128
; Occupancy: 2
; WaveLimiterHint : 1
; COMPUTE_PGM_RSRC2:SCRATCH_EN: 0
; COMPUTE_PGM_RSRC2:USER_SGPR: 6
; COMPUTE_PGM_RSRC2:TRAP_HANDLER: 0
; COMPUTE_PGM_RSRC2:TGID_X_EN: 1
; COMPUTE_PGM_RSRC2:TGID_Y_EN: 0
; COMPUTE_PGM_RSRC2:TGID_Z_EN: 0
; COMPUTE_PGM_RSRC2:TIDIG_COMP_CNT: 0
; COMPUTE_PGM_RSRC3_GFX90A:ACCUM_OFFSET: 31
; COMPUTE_PGM_RSRC3_GFX90A:TG_SPLIT: 0
	.section	.text._ZN7rocprim6detail25device_scan_by_key_kernelILNS0_25lookback_scan_determinismE0ELb1ENS0_26wrapped_scan_by_key_configINS_14default_configEiyEEPiN6hipcub22TransformInputIteratorIyNS7_6CastOpIyEEPylEESB_yNS7_8EqualityENS7_3MinENS0_19lookback_scan_stateINS_5tupleIJybEEELb1ELb0EEEyEEvT2_T3_T4_T5_T6_T7_T8_mmmPKNSG_IJT9_bEEE,"axG",@progbits,_ZN7rocprim6detail25device_scan_by_key_kernelILNS0_25lookback_scan_determinismE0ELb1ENS0_26wrapped_scan_by_key_configINS_14default_configEiyEEPiN6hipcub22TransformInputIteratorIyNS7_6CastOpIyEEPylEESB_yNS7_8EqualityENS7_3MinENS0_19lookback_scan_stateINS_5tupleIJybEEELb1ELb0EEEyEEvT2_T3_T4_T5_T6_T7_T8_mmmPKNSG_IJT9_bEEE,comdat
	.protected	_ZN7rocprim6detail25device_scan_by_key_kernelILNS0_25lookback_scan_determinismE0ELb1ENS0_26wrapped_scan_by_key_configINS_14default_configEiyEEPiN6hipcub22TransformInputIteratorIyNS7_6CastOpIyEEPylEESB_yNS7_8EqualityENS7_3MinENS0_19lookback_scan_stateINS_5tupleIJybEEELb1ELb0EEEyEEvT2_T3_T4_T5_T6_T7_T8_mmmPKNSG_IJT9_bEEE ; -- Begin function _ZN7rocprim6detail25device_scan_by_key_kernelILNS0_25lookback_scan_determinismE0ELb1ENS0_26wrapped_scan_by_key_configINS_14default_configEiyEEPiN6hipcub22TransformInputIteratorIyNS7_6CastOpIyEEPylEESB_yNS7_8EqualityENS7_3MinENS0_19lookback_scan_stateINS_5tupleIJybEEELb1ELb0EEEyEEvT2_T3_T4_T5_T6_T7_T8_mmmPKNSG_IJT9_bEEE
	.globl	_ZN7rocprim6detail25device_scan_by_key_kernelILNS0_25lookback_scan_determinismE0ELb1ENS0_26wrapped_scan_by_key_configINS_14default_configEiyEEPiN6hipcub22TransformInputIteratorIyNS7_6CastOpIyEEPylEESB_yNS7_8EqualityENS7_3MinENS0_19lookback_scan_stateINS_5tupleIJybEEELb1ELb0EEEyEEvT2_T3_T4_T5_T6_T7_T8_mmmPKNSG_IJT9_bEEE
	.p2align	8
	.type	_ZN7rocprim6detail25device_scan_by_key_kernelILNS0_25lookback_scan_determinismE0ELb1ENS0_26wrapped_scan_by_key_configINS_14default_configEiyEEPiN6hipcub22TransformInputIteratorIyNS7_6CastOpIyEEPylEESB_yNS7_8EqualityENS7_3MinENS0_19lookback_scan_stateINS_5tupleIJybEEELb1ELb0EEEyEEvT2_T3_T4_T5_T6_T7_T8_mmmPKNSG_IJT9_bEEE,@function
_ZN7rocprim6detail25device_scan_by_key_kernelILNS0_25lookback_scan_determinismE0ELb1ENS0_26wrapped_scan_by_key_configINS_14default_configEiyEEPiN6hipcub22TransformInputIteratorIyNS7_6CastOpIyEEPylEESB_yNS7_8EqualityENS7_3MinENS0_19lookback_scan_stateINS_5tupleIJybEEELb1ELb0EEEyEEvT2_T3_T4_T5_T6_T7_T8_mmmPKNSG_IJT9_bEEE: ; @_ZN7rocprim6detail25device_scan_by_key_kernelILNS0_25lookback_scan_determinismE0ELb1ENS0_26wrapped_scan_by_key_configINS_14default_configEiyEEPiN6hipcub22TransformInputIteratorIyNS7_6CastOpIyEEPylEESB_yNS7_8EqualityENS7_3MinENS0_19lookback_scan_stateINS_5tupleIJybEEELb1ELb0EEEyEEvT2_T3_T4_T5_T6_T7_T8_mmmPKNSG_IJT9_bEEE
; %bb.0:
	s_endpgm
	.section	.rodata,"a",@progbits
	.p2align	6, 0x0
	.amdhsa_kernel _ZN7rocprim6detail25device_scan_by_key_kernelILNS0_25lookback_scan_determinismE0ELb1ENS0_26wrapped_scan_by_key_configINS_14default_configEiyEEPiN6hipcub22TransformInputIteratorIyNS7_6CastOpIyEEPylEESB_yNS7_8EqualityENS7_3MinENS0_19lookback_scan_stateINS_5tupleIJybEEELb1ELb0EEEyEEvT2_T3_T4_T5_T6_T7_T8_mmmPKNSG_IJT9_bEEE
		.amdhsa_group_segment_fixed_size 0
		.amdhsa_private_segment_fixed_size 0
		.amdhsa_kernarg_size 104
		.amdhsa_user_sgpr_count 6
		.amdhsa_user_sgpr_private_segment_buffer 1
		.amdhsa_user_sgpr_dispatch_ptr 0
		.amdhsa_user_sgpr_queue_ptr 0
		.amdhsa_user_sgpr_kernarg_segment_ptr 1
		.amdhsa_user_sgpr_dispatch_id 0
		.amdhsa_user_sgpr_flat_scratch_init 0
		.amdhsa_user_sgpr_kernarg_preload_length 0
		.amdhsa_user_sgpr_kernarg_preload_offset 0
		.amdhsa_user_sgpr_private_segment_size 0
		.amdhsa_uses_dynamic_stack 0
		.amdhsa_system_sgpr_private_segment_wavefront_offset 0
		.amdhsa_system_sgpr_workgroup_id_x 1
		.amdhsa_system_sgpr_workgroup_id_y 0
		.amdhsa_system_sgpr_workgroup_id_z 0
		.amdhsa_system_sgpr_workgroup_info 0
		.amdhsa_system_vgpr_workitem_id 0
		.amdhsa_next_free_vgpr 1
		.amdhsa_next_free_sgpr 0
		.amdhsa_accum_offset 4
		.amdhsa_reserve_vcc 0
		.amdhsa_reserve_flat_scratch 0
		.amdhsa_float_round_mode_32 0
		.amdhsa_float_round_mode_16_64 0
		.amdhsa_float_denorm_mode_32 3
		.amdhsa_float_denorm_mode_16_64 3
		.amdhsa_dx10_clamp 1
		.amdhsa_ieee_mode 1
		.amdhsa_fp16_overflow 0
		.amdhsa_tg_split 0
		.amdhsa_exception_fp_ieee_invalid_op 0
		.amdhsa_exception_fp_denorm_src 0
		.amdhsa_exception_fp_ieee_div_zero 0
		.amdhsa_exception_fp_ieee_overflow 0
		.amdhsa_exception_fp_ieee_underflow 0
		.amdhsa_exception_fp_ieee_inexact 0
		.amdhsa_exception_int_div_zero 0
	.end_amdhsa_kernel
	.section	.text._ZN7rocprim6detail25device_scan_by_key_kernelILNS0_25lookback_scan_determinismE0ELb1ENS0_26wrapped_scan_by_key_configINS_14default_configEiyEEPiN6hipcub22TransformInputIteratorIyNS7_6CastOpIyEEPylEESB_yNS7_8EqualityENS7_3MinENS0_19lookback_scan_stateINS_5tupleIJybEEELb1ELb0EEEyEEvT2_T3_T4_T5_T6_T7_T8_mmmPKNSG_IJT9_bEEE,"axG",@progbits,_ZN7rocprim6detail25device_scan_by_key_kernelILNS0_25lookback_scan_determinismE0ELb1ENS0_26wrapped_scan_by_key_configINS_14default_configEiyEEPiN6hipcub22TransformInputIteratorIyNS7_6CastOpIyEEPylEESB_yNS7_8EqualityENS7_3MinENS0_19lookback_scan_stateINS_5tupleIJybEEELb1ELb0EEEyEEvT2_T3_T4_T5_T6_T7_T8_mmmPKNSG_IJT9_bEEE,comdat
.Lfunc_end114:
	.size	_ZN7rocprim6detail25device_scan_by_key_kernelILNS0_25lookback_scan_determinismE0ELb1ENS0_26wrapped_scan_by_key_configINS_14default_configEiyEEPiN6hipcub22TransformInputIteratorIyNS7_6CastOpIyEEPylEESB_yNS7_8EqualityENS7_3MinENS0_19lookback_scan_stateINS_5tupleIJybEEELb1ELb0EEEyEEvT2_T3_T4_T5_T6_T7_T8_mmmPKNSG_IJT9_bEEE, .Lfunc_end114-_ZN7rocprim6detail25device_scan_by_key_kernelILNS0_25lookback_scan_determinismE0ELb1ENS0_26wrapped_scan_by_key_configINS_14default_configEiyEEPiN6hipcub22TransformInputIteratorIyNS7_6CastOpIyEEPylEESB_yNS7_8EqualityENS7_3MinENS0_19lookback_scan_stateINS_5tupleIJybEEELb1ELb0EEEyEEvT2_T3_T4_T5_T6_T7_T8_mmmPKNSG_IJT9_bEEE
                                        ; -- End function
	.section	.AMDGPU.csdata,"",@progbits
; Kernel info:
; codeLenInByte = 4
; NumSgprs: 4
; NumVgprs: 0
; NumAgprs: 0
; TotalNumVgprs: 0
; ScratchSize: 0
; MemoryBound: 0
; FloatMode: 240
; IeeeMode: 1
; LDSByteSize: 0 bytes/workgroup (compile time only)
; SGPRBlocks: 0
; VGPRBlocks: 0
; NumSGPRsForWavesPerEU: 4
; NumVGPRsForWavesPerEU: 1
; AccumOffset: 4
; Occupancy: 8
; WaveLimiterHint : 0
; COMPUTE_PGM_RSRC2:SCRATCH_EN: 0
; COMPUTE_PGM_RSRC2:USER_SGPR: 6
; COMPUTE_PGM_RSRC2:TRAP_HANDLER: 0
; COMPUTE_PGM_RSRC2:TGID_X_EN: 1
; COMPUTE_PGM_RSRC2:TGID_Y_EN: 0
; COMPUTE_PGM_RSRC2:TGID_Z_EN: 0
; COMPUTE_PGM_RSRC2:TIDIG_COMP_CNT: 0
; COMPUTE_PGM_RSRC3_GFX90A:ACCUM_OFFSET: 0
; COMPUTE_PGM_RSRC3_GFX90A:TG_SPLIT: 0
	.section	.text._ZN7rocprim6detail25device_scan_by_key_kernelILNS0_25lookback_scan_determinismE0ELb1ENS0_26wrapped_scan_by_key_configINS_14default_configEiyEEPiN6hipcub22TransformInputIteratorIyNS7_6CastOpIyEEPylEESB_yNS7_8EqualityENS7_3MinENS0_19lookback_scan_stateINS_5tupleIJybEEELb0ELb0EEEyEEvT2_T3_T4_T5_T6_T7_T8_mmmPKNSG_IJT9_bEEE,"axG",@progbits,_ZN7rocprim6detail25device_scan_by_key_kernelILNS0_25lookback_scan_determinismE0ELb1ENS0_26wrapped_scan_by_key_configINS_14default_configEiyEEPiN6hipcub22TransformInputIteratorIyNS7_6CastOpIyEEPylEESB_yNS7_8EqualityENS7_3MinENS0_19lookback_scan_stateINS_5tupleIJybEEELb0ELb0EEEyEEvT2_T3_T4_T5_T6_T7_T8_mmmPKNSG_IJT9_bEEE,comdat
	.protected	_ZN7rocprim6detail25device_scan_by_key_kernelILNS0_25lookback_scan_determinismE0ELb1ENS0_26wrapped_scan_by_key_configINS_14default_configEiyEEPiN6hipcub22TransformInputIteratorIyNS7_6CastOpIyEEPylEESB_yNS7_8EqualityENS7_3MinENS0_19lookback_scan_stateINS_5tupleIJybEEELb0ELb0EEEyEEvT2_T3_T4_T5_T6_T7_T8_mmmPKNSG_IJT9_bEEE ; -- Begin function _ZN7rocprim6detail25device_scan_by_key_kernelILNS0_25lookback_scan_determinismE0ELb1ENS0_26wrapped_scan_by_key_configINS_14default_configEiyEEPiN6hipcub22TransformInputIteratorIyNS7_6CastOpIyEEPylEESB_yNS7_8EqualityENS7_3MinENS0_19lookback_scan_stateINS_5tupleIJybEEELb0ELb0EEEyEEvT2_T3_T4_T5_T6_T7_T8_mmmPKNSG_IJT9_bEEE
	.globl	_ZN7rocprim6detail25device_scan_by_key_kernelILNS0_25lookback_scan_determinismE0ELb1ENS0_26wrapped_scan_by_key_configINS_14default_configEiyEEPiN6hipcub22TransformInputIteratorIyNS7_6CastOpIyEEPylEESB_yNS7_8EqualityENS7_3MinENS0_19lookback_scan_stateINS_5tupleIJybEEELb0ELb0EEEyEEvT2_T3_T4_T5_T6_T7_T8_mmmPKNSG_IJT9_bEEE
	.p2align	8
	.type	_ZN7rocprim6detail25device_scan_by_key_kernelILNS0_25lookback_scan_determinismE0ELb1ENS0_26wrapped_scan_by_key_configINS_14default_configEiyEEPiN6hipcub22TransformInputIteratorIyNS7_6CastOpIyEEPylEESB_yNS7_8EqualityENS7_3MinENS0_19lookback_scan_stateINS_5tupleIJybEEELb0ELb0EEEyEEvT2_T3_T4_T5_T6_T7_T8_mmmPKNSG_IJT9_bEEE,@function
_ZN7rocprim6detail25device_scan_by_key_kernelILNS0_25lookback_scan_determinismE0ELb1ENS0_26wrapped_scan_by_key_configINS_14default_configEiyEEPiN6hipcub22TransformInputIteratorIyNS7_6CastOpIyEEPylEESB_yNS7_8EqualityENS7_3MinENS0_19lookback_scan_stateINS_5tupleIJybEEELb0ELb0EEEyEEvT2_T3_T4_T5_T6_T7_T8_mmmPKNSG_IJT9_bEEE: ; @_ZN7rocprim6detail25device_scan_by_key_kernelILNS0_25lookback_scan_determinismE0ELb1ENS0_26wrapped_scan_by_key_configINS_14default_configEiyEEPiN6hipcub22TransformInputIteratorIyNS7_6CastOpIyEEPylEESB_yNS7_8EqualityENS7_3MinENS0_19lookback_scan_stateINS_5tupleIJybEEELb0ELb0EEEyEEvT2_T3_T4_T5_T6_T7_T8_mmmPKNSG_IJT9_bEEE
; %bb.0:
	s_load_dwordx4 s[0:3], s[4:5], 0x0
	s_load_dwordx4 s[56:59], s[4:5], 0x18
	s_load_dwordx8 s[48:55], s[4:5], 0x30
	s_load_dwordx2 s[62:63], s[4:5], 0x60
	s_load_dwordx4 s[8:11], s[4:5], 0x50
	s_mul_i32 s4, s6, 0x540
	s_mov_b32 s5, 0
	s_lshl_b64 s[12:13], s[4:5], 2
	s_waitcnt lgkmcnt(0)
	s_add_u32 s66, s0, s12
	s_addc_u32 s67, s1, s13
	s_lshl_b64 s[60:61], s[4:5], 3
	s_add_u32 s64, s2, s60
	s_addc_u32 s65, s3, s61
	s_add_u32 s0, s6, s8
	s_addc_u32 s1, 0, s9
	s_add_u32 s4, s10, -1
	s_addc_u32 s5, s11, -1
	v_pk_mov_b32 v[2:3], s[4:5], s[4:5] op_sel:[0,1]
	v_cmp_ge_u64_e64 s[0:1], s[0:1], v[2:3]
	s_mov_b64 s[2:3], -1
	s_and_b64 vcc, exec, s[0:1]
	s_mul_i32 s33, s4, 0xfffffac0
	v_lshlrev_b32_e32 v84, 2, v0
	s_cbranch_vccz .LBB115_65
; %bb.1:
	s_load_dword s7, s[66:67], 0x0
	s_add_i32 s55, s33, s54
	v_mov_b32_e32 v1, s67
	v_add_co_u32_e32 v2, vcc, s66, v84
	v_addc_co_u32_e32 v3, vcc, 0, v1, vcc
	v_cmp_gt_u32_e64 s[2:3], s55, v0
	s_waitcnt lgkmcnt(0)
	v_mov_b32_e32 v1, s7
	s_and_saveexec_b64 s[4:5], s[2:3]
	s_cbranch_execz .LBB115_3
; %bb.2:
	global_load_dword v1, v[2:3], off
.LBB115_3:
	s_or_b64 exec, exec, s[4:5]
	v_or_b32_e32 v4, 64, v0
	v_cmp_gt_u32_e64 s[46:47], s55, v4
	v_mov_b32_e32 v4, s7
	s_and_saveexec_b64 s[4:5], s[46:47]
	s_cbranch_execz .LBB115_5
; %bb.4:
	global_load_dword v4, v[2:3], off offset:256
.LBB115_5:
	s_or_b64 exec, exec, s[4:5]
	v_or_b32_e32 v5, 0x80, v0
	v_cmp_gt_u32_e64 s[12:13], s55, v5
	v_mov_b32_e32 v5, s7
	s_and_saveexec_b64 s[4:5], s[12:13]
	s_cbranch_execz .LBB115_7
; %bb.6:
	global_load_dword v5, v[2:3], off offset:512
.LBB115_7:
	;; [unrolled: 9-line block ×15, first 2 shown]
	s_or_b64 exec, exec, s[4:5]
	v_or_b32_e32 v19, 0x400, v0
	v_cmp_gt_u32_e64 s[4:5], s55, v19
	v_mov_b32_e32 v19, s7
	s_and_saveexec_b64 s[10:11], s[4:5]
	s_cbranch_execz .LBB115_35
; %bb.34:
	v_add_co_u32_e32 v20, vcc, 0x1000, v2
	v_addc_co_u32_e32 v21, vcc, 0, v3, vcc
	global_load_dword v19, v[20:21], off
.LBB115_35:
	s_or_b64 exec, exec, s[10:11]
	v_or_b32_e32 v20, 0x440, v0
	v_cmp_gt_u32_e64 s[10:11], s55, v20
	v_mov_b32_e32 v20, s7
	s_and_saveexec_b64 s[16:17], s[10:11]
	s_cbranch_execz .LBB115_37
; %bb.36:
	v_add_co_u32_e32 v20, vcc, 0x1000, v2
	v_addc_co_u32_e32 v21, vcc, 0, v3, vcc
	global_load_dword v20, v[20:21], off offset:256
.LBB115_37:
	s_or_b64 exec, exec, s[16:17]
	v_or_b32_e32 v21, 0x480, v0
	v_cmp_gt_u32_e64 s[16:17], s55, v21
	v_mov_b32_e32 v21, s7
	s_and_saveexec_b64 s[22:23], s[16:17]
	s_cbranch_execz .LBB115_39
; %bb.38:
	v_add_co_u32_e32 v22, vcc, 0x1000, v2
	v_addc_co_u32_e32 v23, vcc, 0, v3, vcc
	global_load_dword v21, v[22:23], off offset:512
.LBB115_39:
	;; [unrolled: 11-line block ×4, first 2 shown]
	s_or_b64 exec, exec, s[68:69]
	s_movk_i32 s7, 0x50
	s_waitcnt vmcnt(0)
	ds_write2st64_b32 v84, v1, v4 offset1:1
	ds_write2st64_b32 v84, v5, v6 offset0:2 offset1:3
	ds_write2st64_b32 v84, v7, v8 offset0:4 offset1:5
	;; [unrolled: 1-line block ×9, first 2 shown]
	ds_write_b32 v84, v23 offset:5120
	v_mad_u32_u24 v1, v0, s7, v84
	s_waitcnt lgkmcnt(0)
	; wave barrier
	s_waitcnt lgkmcnt(0)
	ds_read_b32 v85, v1
	ds_read2_b32 v[24:25], v1 offset0:1 offset1:2
	ds_read2_b32 v[22:23], v1 offset0:3 offset1:4
	;; [unrolled: 1-line block ×10, first 2 shown]
	s_load_dword s7, s[66:67], 0x0
	s_movk_i32 s68, 0xffb0
	v_mad_i32_i24 v1, v0, s68, v1
	v_cmp_ne_u32_e32 vcc, 63, v0
	s_waitcnt lgkmcnt(0)
	ds_write_b32 v1, v85 offset:5632
	v_mov_b32_e32 v82, s7
	s_waitcnt lgkmcnt(0)
	; wave barrier
	s_waitcnt lgkmcnt(0)
	s_and_saveexec_b64 s[68:69], vcc
	s_cbranch_execz .LBB115_45
; %bb.44:
	ds_read_b32 v82, v84 offset:5636
.LBB115_45:
	s_or_b64 exec, exec, s[68:69]
	v_lshlrev_b32_e32 v2, 3, v0
	v_mov_b32_e32 v3, s65
	v_add_co_u32_e32 v4, vcc, s64, v2
	v_addc_co_u32_e32 v5, vcc, 0, v3, vcc
	s_waitcnt lgkmcnt(0)
	; wave barrier
	s_waitcnt lgkmcnt(0)
                                        ; implicit-def: $vgpr2_vgpr3
	s_and_saveexec_b64 s[68:69], s[2:3]
	s_cbranch_execz .LBB115_66
; %bb.46:
	global_load_dwordx2 v[2:3], v[4:5], off
	s_or_b64 exec, exec, s[68:69]
                                        ; implicit-def: $vgpr26_vgpr27
	s_and_saveexec_b64 s[2:3], s[46:47]
	s_cbranch_execnz .LBB115_67
.LBB115_47:
	s_or_b64 exec, exec, s[2:3]
                                        ; implicit-def: $vgpr28_vgpr29
	s_and_saveexec_b64 s[2:3], s[12:13]
	s_cbranch_execz .LBB115_68
.LBB115_48:
	global_load_dwordx2 v[28:29], v[4:5], off offset:1024
	s_or_b64 exec, exec, s[2:3]
                                        ; implicit-def: $vgpr30_vgpr31
	s_and_saveexec_b64 s[2:3], s[18:19]
	s_cbranch_execnz .LBB115_69
.LBB115_49:
	s_or_b64 exec, exec, s[2:3]
                                        ; implicit-def: $vgpr32_vgpr33
	s_and_saveexec_b64 s[2:3], s[26:27]
	s_cbranch_execz .LBB115_70
.LBB115_50:
	global_load_dwordx2 v[32:33], v[4:5], off offset:2048
	s_or_b64 exec, exec, s[2:3]
                                        ; implicit-def: $vgpr34_vgpr35
	s_and_saveexec_b64 s[2:3], s[30:31]
	s_cbranch_execnz .LBB115_71
.LBB115_51:
	s_or_b64 exec, exec, s[2:3]
                                        ; implicit-def: $vgpr36_vgpr37
	s_and_saveexec_b64 s[2:3], s[36:37]
	s_cbranch_execz .LBB115_72
.LBB115_52:
	global_load_dwordx2 v[36:37], v[4:5], off offset:3072
	s_or_b64 exec, exec, s[2:3]
                                        ; implicit-def: $vgpr38_vgpr39
	s_and_saveexec_b64 s[2:3], s[40:41]
	s_cbranch_execnz .LBB115_73
.LBB115_53:
	s_or_b64 exec, exec, s[2:3]
                                        ; implicit-def: $vgpr40_vgpr41
	s_and_saveexec_b64 s[2:3], s[44:45]
	s_cbranch_execz .LBB115_74
.LBB115_54:
	v_add_co_u32_e32 v40, vcc, 0x1000, v4
	v_addc_co_u32_e32 v41, vcc, 0, v5, vcc
	global_load_dwordx2 v[40:41], v[40:41], off
	s_or_b64 exec, exec, s[2:3]
                                        ; implicit-def: $vgpr42_vgpr43
	s_and_saveexec_b64 s[2:3], s[42:43]
	s_cbranch_execnz .LBB115_75
.LBB115_55:
	s_or_b64 exec, exec, s[2:3]
                                        ; implicit-def: $vgpr44_vgpr45
	s_and_saveexec_b64 s[2:3], s[38:39]
	s_cbranch_execz .LBB115_76
.LBB115_56:
	v_add_co_u32_e32 v44, vcc, 0x1000, v4
	v_addc_co_u32_e32 v45, vcc, 0, v5, vcc
	global_load_dwordx2 v[44:45], v[44:45], off offset:1024
	s_or_b64 exec, exec, s[2:3]
                                        ; implicit-def: $vgpr46_vgpr47
	s_and_saveexec_b64 s[2:3], s[34:35]
	s_cbranch_execnz .LBB115_77
.LBB115_57:
	s_or_b64 exec, exec, s[2:3]
                                        ; implicit-def: $vgpr48_vgpr49
	s_and_saveexec_b64 s[2:3], s[28:29]
	s_cbranch_execz .LBB115_78
.LBB115_58:
	v_add_co_u32_e32 v48, vcc, 0x1000, v4
	v_addc_co_u32_e32 v49, vcc, 0, v5, vcc
	global_load_dwordx2 v[48:49], v[48:49], off offset:2048
	s_or_b64 exec, exec, s[2:3]
                                        ; implicit-def: $vgpr50_vgpr51
	s_and_saveexec_b64 s[2:3], s[20:21]
	s_cbranch_execnz .LBB115_79
.LBB115_59:
	s_or_b64 exec, exec, s[2:3]
                                        ; implicit-def: $vgpr52_vgpr53
	s_and_saveexec_b64 s[2:3], s[14:15]
	s_cbranch_execz .LBB115_80
.LBB115_60:
	v_add_co_u32_e32 v52, vcc, 0x1000, v4
	v_addc_co_u32_e32 v53, vcc, 0, v5, vcc
	global_load_dwordx2 v[52:53], v[52:53], off offset:3072
	s_or_b64 exec, exec, s[2:3]
                                        ; implicit-def: $vgpr54_vgpr55
	s_and_saveexec_b64 s[2:3], s[8:9]
	s_cbranch_execnz .LBB115_81
.LBB115_61:
	s_or_b64 exec, exec, s[2:3]
                                        ; implicit-def: $vgpr56_vgpr57
	s_and_saveexec_b64 s[2:3], s[4:5]
	s_cbranch_execz .LBB115_82
.LBB115_62:
	v_add_co_u32_e32 v56, vcc, 0x2000, v4
	v_addc_co_u32_e32 v57, vcc, 0, v5, vcc
	global_load_dwordx2 v[56:57], v[56:57], off
	s_or_b64 exec, exec, s[2:3]
                                        ; implicit-def: $vgpr58_vgpr59
	s_and_saveexec_b64 s[2:3], s[10:11]
	s_cbranch_execnz .LBB115_83
.LBB115_63:
	s_or_b64 exec, exec, s[2:3]
                                        ; implicit-def: $vgpr60_vgpr61
	s_and_saveexec_b64 s[2:3], s[16:17]
	s_cbranch_execz .LBB115_84
.LBB115_64:
	v_add_co_u32_e32 v60, vcc, 0x2000, v4
	v_addc_co_u32_e32 v61, vcc, 0, v5, vcc
	global_load_dwordx2 v[60:61], v[60:61], off offset:1024
	s_or_b64 exec, exec, s[2:3]
                                        ; implicit-def: $vgpr62_vgpr63
	s_and_saveexec_b64 s[2:3], s[22:23]
	s_cbranch_execz .LBB115_86
	s_branch .LBB115_85
.LBB115_65:
	s_mov_b64 s[10:11], 0
                                        ; implicit-def: $sgpr8_sgpr9
                                        ; implicit-def: $vgpr2_vgpr3
                                        ; implicit-def: $vgpr42_vgpr43
                                        ; implicit-def: $vgpr108
                                        ; implicit-def: $vgpr46_vgpr47
                                        ; implicit-def: $vgpr124
                                        ; implicit-def: $vgpr80_vgpr81
                                        ; implicit-def: $vgpr123
                                        ; implicit-def: $vgpr78_vgpr79
                                        ; implicit-def: $vgpr122
                                        ; implicit-def: $vgpr76_vgpr77
                                        ; implicit-def: $vgpr121
                                        ; implicit-def: $vgpr74_vgpr75
                                        ; implicit-def: $vgpr120
                                        ; implicit-def: $vgpr72_vgpr73
                                        ; implicit-def: $vgpr119
                                        ; implicit-def: $vgpr70_vgpr71
                                        ; implicit-def: $vgpr118
                                        ; implicit-def: $vgpr68_vgpr69
                                        ; implicit-def: $vgpr117
                                        ; implicit-def: $vgpr66_vgpr67
                                        ; implicit-def: $vgpr116
                                        ; implicit-def: $vgpr64_vgpr65
                                        ; implicit-def: $vgpr115
                                        ; implicit-def: $vgpr62_vgpr63
                                        ; implicit-def: $vgpr114
                                        ; implicit-def: $vgpr60_vgpr61
                                        ; implicit-def: $vgpr113
                                        ; implicit-def: $vgpr58_vgpr59
                                        ; implicit-def: $vgpr112
                                        ; implicit-def: $vgpr56_vgpr57
                                        ; implicit-def: $vgpr111
                                        ; implicit-def: $vgpr54_vgpr55
                                        ; implicit-def: $vgpr110
                                        ; implicit-def: $vgpr52_vgpr53
                                        ; implicit-def: $vgpr109
                                        ; implicit-def: $vgpr50_vgpr51
                                        ; implicit-def: $vgpr107
                                        ; implicit-def: $vgpr48_vgpr49
                                        ; implicit-def: $vgpr106
                                        ; implicit-def: $vgpr44_vgpr45
                                        ; implicit-def: $vgpr1
                                        ; implicit-def: $sgpr7
                                        ; implicit-def: $sgpr4_sgpr5
	s_and_b64 vcc, exec, s[2:3]
	s_cbranch_vccz .LBB115_136
	s_branch .LBB115_131
.LBB115_66:
	s_or_b64 exec, exec, s[68:69]
                                        ; implicit-def: $vgpr26_vgpr27
	s_and_saveexec_b64 s[2:3], s[46:47]
	s_cbranch_execz .LBB115_47
.LBB115_67:
	global_load_dwordx2 v[26:27], v[4:5], off offset:512
	s_or_b64 exec, exec, s[2:3]
                                        ; implicit-def: $vgpr28_vgpr29
	s_and_saveexec_b64 s[2:3], s[12:13]
	s_cbranch_execnz .LBB115_48
.LBB115_68:
	s_or_b64 exec, exec, s[2:3]
                                        ; implicit-def: $vgpr30_vgpr31
	s_and_saveexec_b64 s[2:3], s[18:19]
	s_cbranch_execz .LBB115_49
.LBB115_69:
	global_load_dwordx2 v[30:31], v[4:5], off offset:1536
	s_or_b64 exec, exec, s[2:3]
                                        ; implicit-def: $vgpr32_vgpr33
	s_and_saveexec_b64 s[2:3], s[26:27]
	s_cbranch_execnz .LBB115_50
.LBB115_70:
	s_or_b64 exec, exec, s[2:3]
                                        ; implicit-def: $vgpr34_vgpr35
	s_and_saveexec_b64 s[2:3], s[30:31]
	s_cbranch_execz .LBB115_51
.LBB115_71:
	global_load_dwordx2 v[34:35], v[4:5], off offset:2560
	s_or_b64 exec, exec, s[2:3]
                                        ; implicit-def: $vgpr36_vgpr37
	s_and_saveexec_b64 s[2:3], s[36:37]
	s_cbranch_execnz .LBB115_52
.LBB115_72:
	s_or_b64 exec, exec, s[2:3]
                                        ; implicit-def: $vgpr38_vgpr39
	s_and_saveexec_b64 s[2:3], s[40:41]
	s_cbranch_execz .LBB115_53
.LBB115_73:
	global_load_dwordx2 v[38:39], v[4:5], off offset:3584
	s_or_b64 exec, exec, s[2:3]
                                        ; implicit-def: $vgpr40_vgpr41
	s_and_saveexec_b64 s[2:3], s[44:45]
	s_cbranch_execnz .LBB115_54
.LBB115_74:
	s_or_b64 exec, exec, s[2:3]
                                        ; implicit-def: $vgpr42_vgpr43
	s_and_saveexec_b64 s[2:3], s[42:43]
	s_cbranch_execz .LBB115_55
.LBB115_75:
	v_add_co_u32_e32 v42, vcc, 0x1000, v4
	v_addc_co_u32_e32 v43, vcc, 0, v5, vcc
	global_load_dwordx2 v[42:43], v[42:43], off offset:512
	s_or_b64 exec, exec, s[2:3]
                                        ; implicit-def: $vgpr44_vgpr45
	s_and_saveexec_b64 s[2:3], s[38:39]
	s_cbranch_execnz .LBB115_56
.LBB115_76:
	s_or_b64 exec, exec, s[2:3]
                                        ; implicit-def: $vgpr46_vgpr47
	s_and_saveexec_b64 s[2:3], s[34:35]
	s_cbranch_execz .LBB115_57
.LBB115_77:
	v_add_co_u32_e32 v46, vcc, 0x1000, v4
	v_addc_co_u32_e32 v47, vcc, 0, v5, vcc
	global_load_dwordx2 v[46:47], v[46:47], off offset:1536
	s_or_b64 exec, exec, s[2:3]
                                        ; implicit-def: $vgpr48_vgpr49
	s_and_saveexec_b64 s[2:3], s[28:29]
	s_cbranch_execnz .LBB115_58
.LBB115_78:
	s_or_b64 exec, exec, s[2:3]
                                        ; implicit-def: $vgpr50_vgpr51
	s_and_saveexec_b64 s[2:3], s[20:21]
	s_cbranch_execz .LBB115_59
.LBB115_79:
	v_add_co_u32_e32 v50, vcc, 0x1000, v4
	v_addc_co_u32_e32 v51, vcc, 0, v5, vcc
	global_load_dwordx2 v[50:51], v[50:51], off offset:2560
	s_or_b64 exec, exec, s[2:3]
                                        ; implicit-def: $vgpr52_vgpr53
	s_and_saveexec_b64 s[2:3], s[14:15]
	s_cbranch_execnz .LBB115_60
.LBB115_80:
	s_or_b64 exec, exec, s[2:3]
                                        ; implicit-def: $vgpr54_vgpr55
	s_and_saveexec_b64 s[2:3], s[8:9]
	s_cbranch_execz .LBB115_61
.LBB115_81:
	v_add_co_u32_e32 v54, vcc, 0x1000, v4
	v_addc_co_u32_e32 v55, vcc, 0, v5, vcc
	global_load_dwordx2 v[54:55], v[54:55], off offset:3584
	s_or_b64 exec, exec, s[2:3]
                                        ; implicit-def: $vgpr56_vgpr57
	s_and_saveexec_b64 s[2:3], s[4:5]
	s_cbranch_execnz .LBB115_62
.LBB115_82:
	s_or_b64 exec, exec, s[2:3]
                                        ; implicit-def: $vgpr58_vgpr59
	s_and_saveexec_b64 s[2:3], s[10:11]
	s_cbranch_execz .LBB115_63
.LBB115_83:
	v_add_co_u32_e32 v58, vcc, 0x2000, v4
	v_addc_co_u32_e32 v59, vcc, 0, v5, vcc
	global_load_dwordx2 v[58:59], v[58:59], off offset:512
	s_or_b64 exec, exec, s[2:3]
                                        ; implicit-def: $vgpr60_vgpr61
	s_and_saveexec_b64 s[2:3], s[16:17]
	s_cbranch_execnz .LBB115_64
.LBB115_84:
	s_or_b64 exec, exec, s[2:3]
                                        ; implicit-def: $vgpr62_vgpr63
	s_and_saveexec_b64 s[2:3], s[22:23]
	s_cbranch_execz .LBB115_86
.LBB115_85:
	v_add_co_u32_e32 v62, vcc, 0x2000, v4
	v_addc_co_u32_e32 v63, vcc, 0, v5, vcc
	global_load_dwordx2 v[62:63], v[62:63], off offset:1536
.LBB115_86:
	s_or_b64 exec, exec, s[2:3]
	v_mul_u32_u24_e32 v83, 21, v0
                                        ; implicit-def: $vgpr64_vgpr65
	s_and_saveexec_b64 s[2:3], s[24:25]
	s_cbranch_execz .LBB115_88
; %bb.87:
	v_add_co_u32_e32 v4, vcc, 0x2000, v4
	v_addc_co_u32_e32 v5, vcc, 0, v5, vcc
	global_load_dwordx2 v[64:65], v[4:5], off offset:2048
.LBB115_88:
	s_or_b64 exec, exec, s[2:3]
	v_lshl_add_u32 v4, v0, 2, v1
	s_waitcnt vmcnt(0)
	ds_write2st64_b64 v4, v[2:3], v[26:27] offset1:1
	ds_write2st64_b64 v4, v[28:29], v[30:31] offset0:2 offset1:3
	ds_write2st64_b64 v4, v[32:33], v[34:35] offset0:4 offset1:5
	;; [unrolled: 1-line block ×9, first 2 shown]
	ds_write_b64 v4, v[64:65] offset:10240
	v_pk_mov_b32 v[42:43], 0, 0
	v_cmp_gt_u32_e32 vcc, s55, v83
	s_mov_b64 s[10:11], 0
	s_mov_b32 s7, 0
	s_mov_b64 s[2:3], 0
	v_mov_b32_e32 v108, 0
	v_pk_mov_b32 v[46:47], v[42:43], v[42:43] op_sel:[0,1]
	v_mov_b32_e32 v124, 0
	v_pk_mov_b32 v[80:81], v[42:43], v[42:43] op_sel:[0,1]
	;; [unrolled: 2-line block ×19, first 2 shown]
	v_mov_b32_e32 v1, 0
	s_waitcnt lgkmcnt(0)
	; wave barrier
	s_waitcnt lgkmcnt(0)
                                        ; implicit-def: $sgpr8_sgpr9
                                        ; implicit-def: $vgpr2_vgpr3
	s_and_saveexec_b64 s[4:5], vcc
	s_cbranch_execz .LBB115_130
; %bb.89:
	s_movk_i32 s8, 0xa0
	v_mad_u32_u24 v1, v0, s8, v4
	ds_read_b64 v[2:3], v1
	v_cmp_ne_u32_e32 vcc, v85, v24
	v_mov_b32_e32 v26, s59
	v_add_u32_e32 v5, 1, v83
	v_pk_mov_b32 v[46:47], 0, 0
	s_waitcnt lgkmcnt(0)
	v_cndmask_b32_e32 v43, v3, v26, vcc
	v_mov_b32_e32 v3, s58
	v_cndmask_b32_e64 v1, 0, 1, vcc
	v_cndmask_b32_e32 v42, v2, v3, vcc
	v_cmp_gt_u32_e32 vcc, s55, v5
	s_mov_b64 s[12:13], 0
	v_mov_b32_e32 v108, 0
	v_mov_b32_e32 v124, 0
	v_pk_mov_b32 v[80:81], v[46:47], v[46:47] op_sel:[0,1]
	v_mov_b32_e32 v123, 0
	v_pk_mov_b32 v[78:79], v[46:47], v[46:47] op_sel:[0,1]
	;; [unrolled: 2-line block ×18, first 2 shown]
                                        ; implicit-def: $sgpr14_sgpr15
                                        ; implicit-def: $vgpr2_vgpr3
	s_and_saveexec_b64 s[8:9], vcc
	s_cbranch_execz .LBB115_129
; %bb.90:
	v_mul_u32_u24_e32 v2, 0xa0, v0
	v_add_u32_e32 v26, v4, v2
	ds_read2_b64 v[2:5], v26 offset0:1 offset1:2
	v_cmp_ne_u32_e32 vcc, v24, v25
	v_mov_b32_e32 v24, s59
	v_add_u32_e32 v27, 2, v83
	v_pk_mov_b32 v[46:47], 0, 0
	s_waitcnt lgkmcnt(0)
	v_cndmask_b32_e32 v45, v3, v24, vcc
	v_mov_b32_e32 v3, s58
	v_cndmask_b32_e64 v106, 0, 1, vcc
	v_cndmask_b32_e32 v44, v2, v3, vcc
	v_cmp_gt_u32_e32 vcc, s55, v27
	s_mov_b64 s[14:15], 0
	v_mov_b32_e32 v108, 0
	v_mov_b32_e32 v124, 0
	v_pk_mov_b32 v[80:81], v[46:47], v[46:47] op_sel:[0,1]
	v_mov_b32_e32 v123, 0
	v_pk_mov_b32 v[78:79], v[46:47], v[46:47] op_sel:[0,1]
	;; [unrolled: 2-line block ×17, first 2 shown]
                                        ; implicit-def: $sgpr16_sgpr17
                                        ; implicit-def: $vgpr2_vgpr3
	s_and_saveexec_b64 s[10:11], vcc
	s_cbranch_execz .LBB115_128
; %bb.91:
	v_cmp_ne_u32_e32 vcc, v25, v22
	v_mov_b32_e32 v3, s59
	v_add_u32_e32 v2, 3, v83
	v_cndmask_b32_e32 v49, v5, v3, vcc
	v_mov_b32_e32 v3, s58
	v_pk_mov_b32 v[46:47], 0, 0
	v_cndmask_b32_e64 v107, 0, 1, vcc
	v_cndmask_b32_e32 v48, v4, v3, vcc
	v_cmp_gt_u32_e32 vcc, s55, v2
	s_mov_b64 s[16:17], 0
	v_mov_b32_e32 v108, 0
	v_mov_b32_e32 v124, 0
	v_pk_mov_b32 v[80:81], v[46:47], v[46:47] op_sel:[0,1]
	v_mov_b32_e32 v123, 0
	v_pk_mov_b32 v[78:79], v[46:47], v[46:47] op_sel:[0,1]
	;; [unrolled: 2-line block ×16, first 2 shown]
                                        ; implicit-def: $sgpr18_sgpr19
                                        ; implicit-def: $vgpr2_vgpr3
	s_and_saveexec_b64 s[12:13], vcc
	s_cbranch_execz .LBB115_127
; %bb.92:
	ds_read2_b64 v[2:5], v26 offset0:3 offset1:4
	v_cmp_ne_u32_e32 vcc, v22, v23
	v_mov_b32_e32 v22, s59
	v_add_u32_e32 v24, 4, v83
	v_pk_mov_b32 v[46:47], 0, 0
	s_waitcnt lgkmcnt(0)
	v_cndmask_b32_e32 v51, v3, v22, vcc
	v_mov_b32_e32 v3, s58
	v_cndmask_b32_e64 v109, 0, 1, vcc
	v_cndmask_b32_e32 v50, v2, v3, vcc
	v_cmp_gt_u32_e32 vcc, s55, v24
	s_mov_b64 s[18:19], 0
	v_mov_b32_e32 v108, 0
	v_mov_b32_e32 v124, 0
	v_pk_mov_b32 v[80:81], v[46:47], v[46:47] op_sel:[0,1]
	v_mov_b32_e32 v123, 0
	v_pk_mov_b32 v[78:79], v[46:47], v[46:47] op_sel:[0,1]
	;; [unrolled: 2-line block ×15, first 2 shown]
                                        ; implicit-def: $sgpr20_sgpr21
                                        ; implicit-def: $vgpr2_vgpr3
	s_and_saveexec_b64 s[14:15], vcc
	s_cbranch_execz .LBB115_126
; %bb.93:
	v_cmp_ne_u32_e32 vcc, v23, v20
	v_mov_b32_e32 v3, s59
	v_add_u32_e32 v2, 5, v83
	v_cndmask_b32_e32 v53, v5, v3, vcc
	v_mov_b32_e32 v3, s58
	v_pk_mov_b32 v[46:47], 0, 0
	v_cndmask_b32_e64 v110, 0, 1, vcc
	v_cndmask_b32_e32 v52, v4, v3, vcc
	v_cmp_gt_u32_e32 vcc, s55, v2
	s_mov_b64 s[20:21], 0
	v_mov_b32_e32 v108, 0
	v_mov_b32_e32 v124, 0
	v_pk_mov_b32 v[80:81], v[46:47], v[46:47] op_sel:[0,1]
	v_mov_b32_e32 v123, 0
	v_pk_mov_b32 v[78:79], v[46:47], v[46:47] op_sel:[0,1]
	;; [unrolled: 2-line block ×14, first 2 shown]
                                        ; implicit-def: $sgpr22_sgpr23
                                        ; implicit-def: $vgpr2_vgpr3
	s_and_saveexec_b64 s[16:17], vcc
	s_cbranch_execz .LBB115_125
; %bb.94:
	ds_read2_b64 v[2:5], v26 offset0:5 offset1:6
	v_cmp_ne_u32_e32 vcc, v20, v21
	v_mov_b32_e32 v20, s59
	v_add_u32_e32 v22, 6, v83
	v_pk_mov_b32 v[46:47], 0, 0
	s_waitcnt lgkmcnt(0)
	v_cndmask_b32_e32 v55, v3, v20, vcc
	v_mov_b32_e32 v3, s58
	v_cndmask_b32_e64 v111, 0, 1, vcc
	v_cndmask_b32_e32 v54, v2, v3, vcc
	v_cmp_gt_u32_e32 vcc, s55, v22
	s_mov_b64 s[22:23], 0
	v_mov_b32_e32 v108, 0
	v_mov_b32_e32 v124, 0
	v_pk_mov_b32 v[80:81], v[46:47], v[46:47] op_sel:[0,1]
	v_mov_b32_e32 v123, 0
	v_pk_mov_b32 v[78:79], v[46:47], v[46:47] op_sel:[0,1]
	v_mov_b32_e32 v122, 0
	v_pk_mov_b32 v[76:77], v[46:47], v[46:47] op_sel:[0,1]
	v_mov_b32_e32 v121, 0
	v_pk_mov_b32 v[74:75], v[46:47], v[46:47] op_sel:[0,1]
	v_mov_b32_e32 v120, 0
	v_pk_mov_b32 v[72:73], v[46:47], v[46:47] op_sel:[0,1]
	v_mov_b32_e32 v119, 0
	v_pk_mov_b32 v[70:71], v[46:47], v[46:47] op_sel:[0,1]
	v_mov_b32_e32 v118, 0
	v_pk_mov_b32 v[68:69], v[46:47], v[46:47] op_sel:[0,1]
	v_mov_b32_e32 v117, 0
	v_pk_mov_b32 v[66:67], v[46:47], v[46:47] op_sel:[0,1]
	v_mov_b32_e32 v116, 0
	v_pk_mov_b32 v[64:65], v[46:47], v[46:47] op_sel:[0,1]
	v_mov_b32_e32 v115, 0
	v_pk_mov_b32 v[62:63], v[46:47], v[46:47] op_sel:[0,1]
	v_mov_b32_e32 v114, 0
	v_pk_mov_b32 v[60:61], v[46:47], v[46:47] op_sel:[0,1]
	v_mov_b32_e32 v113, 0
	v_pk_mov_b32 v[58:59], v[46:47], v[46:47] op_sel:[0,1]
	v_mov_b32_e32 v112, 0
	v_pk_mov_b32 v[56:57], v[46:47], v[46:47] op_sel:[0,1]
                                        ; implicit-def: $sgpr24_sgpr25
                                        ; implicit-def: $vgpr2_vgpr3
	s_and_saveexec_b64 s[18:19], vcc
	s_cbranch_execz .LBB115_124
; %bb.95:
	v_cmp_ne_u32_e32 vcc, v21, v18
	v_mov_b32_e32 v3, s59
	v_add_u32_e32 v2, 7, v83
	v_cndmask_b32_e32 v57, v5, v3, vcc
	v_mov_b32_e32 v3, s58
	v_pk_mov_b32 v[46:47], 0, 0
	v_cndmask_b32_e64 v112, 0, 1, vcc
	v_cndmask_b32_e32 v56, v4, v3, vcc
	v_cmp_gt_u32_e32 vcc, s55, v2
	s_mov_b64 s[24:25], 0
	v_mov_b32_e32 v108, 0
	v_mov_b32_e32 v124, 0
	v_pk_mov_b32 v[80:81], v[46:47], v[46:47] op_sel:[0,1]
	v_mov_b32_e32 v123, 0
	v_pk_mov_b32 v[78:79], v[46:47], v[46:47] op_sel:[0,1]
	v_mov_b32_e32 v122, 0
	v_pk_mov_b32 v[76:77], v[46:47], v[46:47] op_sel:[0,1]
	v_mov_b32_e32 v121, 0
	v_pk_mov_b32 v[74:75], v[46:47], v[46:47] op_sel:[0,1]
	v_mov_b32_e32 v120, 0
	v_pk_mov_b32 v[72:73], v[46:47], v[46:47] op_sel:[0,1]
	v_mov_b32_e32 v119, 0
	v_pk_mov_b32 v[70:71], v[46:47], v[46:47] op_sel:[0,1]
	v_mov_b32_e32 v118, 0
	v_pk_mov_b32 v[68:69], v[46:47], v[46:47] op_sel:[0,1]
	v_mov_b32_e32 v117, 0
	v_pk_mov_b32 v[66:67], v[46:47], v[46:47] op_sel:[0,1]
	v_mov_b32_e32 v116, 0
	v_pk_mov_b32 v[64:65], v[46:47], v[46:47] op_sel:[0,1]
	v_mov_b32_e32 v115, 0
	v_pk_mov_b32 v[62:63], v[46:47], v[46:47] op_sel:[0,1]
	v_mov_b32_e32 v114, 0
	v_pk_mov_b32 v[60:61], v[46:47], v[46:47] op_sel:[0,1]
	v_mov_b32_e32 v113, 0
	v_pk_mov_b32 v[58:59], v[46:47], v[46:47] op_sel:[0,1]
                                        ; implicit-def: $sgpr26_sgpr27
                                        ; implicit-def: $vgpr2_vgpr3
	s_and_saveexec_b64 s[20:21], vcc
	s_cbranch_execz .LBB115_123
; %bb.96:
	ds_read2_b64 v[2:5], v26 offset0:7 offset1:8
	v_cmp_ne_u32_e32 vcc, v18, v19
	v_mov_b32_e32 v18, s59
	v_add_u32_e32 v20, 8, v83
	v_pk_mov_b32 v[46:47], 0, 0
	s_waitcnt lgkmcnt(0)
	v_cndmask_b32_e32 v59, v3, v18, vcc
	v_mov_b32_e32 v3, s58
	v_cndmask_b32_e64 v113, 0, 1, vcc
	v_cndmask_b32_e32 v58, v2, v3, vcc
	v_cmp_gt_u32_e32 vcc, s55, v20
	s_mov_b64 s[26:27], 0
	v_mov_b32_e32 v108, 0
	v_mov_b32_e32 v124, 0
	v_pk_mov_b32 v[80:81], v[46:47], v[46:47] op_sel:[0,1]
	v_mov_b32_e32 v123, 0
	v_pk_mov_b32 v[78:79], v[46:47], v[46:47] op_sel:[0,1]
	;; [unrolled: 2-line block ×11, first 2 shown]
                                        ; implicit-def: $sgpr28_sgpr29
                                        ; implicit-def: $vgpr2_vgpr3
	s_and_saveexec_b64 s[22:23], vcc
	s_cbranch_execz .LBB115_122
; %bb.97:
	v_cmp_ne_u32_e32 vcc, v19, v16
	v_mov_b32_e32 v3, s59
	v_add_u32_e32 v2, 9, v83
	v_cndmask_b32_e32 v61, v5, v3, vcc
	v_mov_b32_e32 v3, s58
	v_pk_mov_b32 v[46:47], 0, 0
	v_cndmask_b32_e64 v114, 0, 1, vcc
	v_cndmask_b32_e32 v60, v4, v3, vcc
	v_cmp_gt_u32_e32 vcc, s55, v2
	s_mov_b64 s[28:29], 0
	v_mov_b32_e32 v108, 0
	v_mov_b32_e32 v124, 0
	v_pk_mov_b32 v[80:81], v[46:47], v[46:47] op_sel:[0,1]
	v_mov_b32_e32 v123, 0
	v_pk_mov_b32 v[78:79], v[46:47], v[46:47] op_sel:[0,1]
	;; [unrolled: 2-line block ×10, first 2 shown]
                                        ; implicit-def: $sgpr30_sgpr31
                                        ; implicit-def: $vgpr2_vgpr3
	s_and_saveexec_b64 s[24:25], vcc
	s_cbranch_execz .LBB115_121
; %bb.98:
	ds_read2_b64 v[2:5], v26 offset0:9 offset1:10
	v_cmp_ne_u32_e32 vcc, v16, v17
	v_mov_b32_e32 v16, s59
	v_add_u32_e32 v18, 10, v83
	v_pk_mov_b32 v[46:47], 0, 0
	s_waitcnt lgkmcnt(0)
	v_cndmask_b32_e32 v63, v3, v16, vcc
	v_mov_b32_e32 v3, s58
	v_cndmask_b32_e64 v115, 0, 1, vcc
	v_cndmask_b32_e32 v62, v2, v3, vcc
	v_cmp_gt_u32_e32 vcc, s55, v18
	s_mov_b64 s[30:31], 0
	v_mov_b32_e32 v108, 0
	v_mov_b32_e32 v124, 0
	v_pk_mov_b32 v[80:81], v[46:47], v[46:47] op_sel:[0,1]
	v_mov_b32_e32 v123, 0
	v_pk_mov_b32 v[78:79], v[46:47], v[46:47] op_sel:[0,1]
	;; [unrolled: 2-line block ×9, first 2 shown]
                                        ; implicit-def: $sgpr34_sgpr35
                                        ; implicit-def: $vgpr2_vgpr3
	s_and_saveexec_b64 s[26:27], vcc
	s_cbranch_execz .LBB115_120
; %bb.99:
	v_cmp_ne_u32_e32 vcc, v17, v14
	v_mov_b32_e32 v3, s59
	v_add_u32_e32 v2, 11, v83
	v_cndmask_b32_e32 v65, v5, v3, vcc
	v_mov_b32_e32 v3, s58
	v_pk_mov_b32 v[46:47], 0, 0
	v_cndmask_b32_e64 v116, 0, 1, vcc
	v_cndmask_b32_e32 v64, v4, v3, vcc
	v_cmp_gt_u32_e32 vcc, s55, v2
	s_mov_b64 s[34:35], 0
	v_mov_b32_e32 v108, 0
	v_mov_b32_e32 v124, 0
	v_pk_mov_b32 v[80:81], v[46:47], v[46:47] op_sel:[0,1]
	v_mov_b32_e32 v123, 0
	v_pk_mov_b32 v[78:79], v[46:47], v[46:47] op_sel:[0,1]
	v_mov_b32_e32 v122, 0
	v_pk_mov_b32 v[76:77], v[46:47], v[46:47] op_sel:[0,1]
	v_mov_b32_e32 v121, 0
	v_pk_mov_b32 v[74:75], v[46:47], v[46:47] op_sel:[0,1]
	v_mov_b32_e32 v120, 0
	v_pk_mov_b32 v[72:73], v[46:47], v[46:47] op_sel:[0,1]
	v_mov_b32_e32 v119, 0
	v_pk_mov_b32 v[70:71], v[46:47], v[46:47] op_sel:[0,1]
	v_mov_b32_e32 v118, 0
	v_pk_mov_b32 v[68:69], v[46:47], v[46:47] op_sel:[0,1]
	v_mov_b32_e32 v117, 0
	v_pk_mov_b32 v[66:67], v[46:47], v[46:47] op_sel:[0,1]
                                        ; implicit-def: $sgpr36_sgpr37
                                        ; implicit-def: $vgpr2_vgpr3
	s_and_saveexec_b64 s[28:29], vcc
	s_cbranch_execz .LBB115_119
; %bb.100:
	ds_read2_b64 v[2:5], v26 offset0:11 offset1:12
	v_cmp_ne_u32_e32 vcc, v14, v15
	v_mov_b32_e32 v14, s59
	v_add_u32_e32 v16, 12, v83
	v_pk_mov_b32 v[46:47], 0, 0
	s_waitcnt lgkmcnt(0)
	v_cndmask_b32_e32 v67, v3, v14, vcc
	v_mov_b32_e32 v3, s58
	v_cndmask_b32_e64 v117, 0, 1, vcc
	v_cndmask_b32_e32 v66, v2, v3, vcc
	v_cmp_gt_u32_e32 vcc, s55, v16
	s_mov_b64 s[36:37], 0
	v_mov_b32_e32 v108, 0
	v_mov_b32_e32 v124, 0
	v_pk_mov_b32 v[80:81], v[46:47], v[46:47] op_sel:[0,1]
	v_mov_b32_e32 v123, 0
	v_pk_mov_b32 v[78:79], v[46:47], v[46:47] op_sel:[0,1]
	;; [unrolled: 2-line block ×7, first 2 shown]
                                        ; implicit-def: $sgpr38_sgpr39
                                        ; implicit-def: $vgpr2_vgpr3
	s_and_saveexec_b64 s[30:31], vcc
	s_cbranch_execz .LBB115_118
; %bb.101:
	v_cmp_ne_u32_e32 vcc, v15, v12
	v_mov_b32_e32 v3, s59
	v_add_u32_e32 v2, 13, v83
	v_cndmask_b32_e32 v69, v5, v3, vcc
	v_mov_b32_e32 v3, s58
	v_pk_mov_b32 v[46:47], 0, 0
	v_cndmask_b32_e64 v118, 0, 1, vcc
	v_cndmask_b32_e32 v68, v4, v3, vcc
	v_cmp_gt_u32_e32 vcc, s55, v2
	s_mov_b64 s[38:39], 0
	v_mov_b32_e32 v108, 0
	v_mov_b32_e32 v124, 0
	v_pk_mov_b32 v[80:81], v[46:47], v[46:47] op_sel:[0,1]
	v_mov_b32_e32 v123, 0
	v_pk_mov_b32 v[78:79], v[46:47], v[46:47] op_sel:[0,1]
	;; [unrolled: 2-line block ×6, first 2 shown]
                                        ; implicit-def: $sgpr40_sgpr41
                                        ; implicit-def: $vgpr2_vgpr3
	s_and_saveexec_b64 s[34:35], vcc
	s_cbranch_execz .LBB115_117
; %bb.102:
	ds_read2_b64 v[2:5], v26 offset0:13 offset1:14
	v_cmp_ne_u32_e32 vcc, v12, v13
	v_mov_b32_e32 v12, s59
	v_add_u32_e32 v14, 14, v83
	v_pk_mov_b32 v[46:47], 0, 0
	s_waitcnt lgkmcnt(0)
	v_cndmask_b32_e32 v71, v3, v12, vcc
	v_mov_b32_e32 v3, s58
	v_cndmask_b32_e64 v119, 0, 1, vcc
	v_cndmask_b32_e32 v70, v2, v3, vcc
	v_cmp_gt_u32_e32 vcc, s55, v14
	s_mov_b64 s[40:41], 0
	v_mov_b32_e32 v108, 0
	v_mov_b32_e32 v124, 0
	v_pk_mov_b32 v[80:81], v[46:47], v[46:47] op_sel:[0,1]
	v_mov_b32_e32 v123, 0
	v_pk_mov_b32 v[78:79], v[46:47], v[46:47] op_sel:[0,1]
	;; [unrolled: 2-line block ×5, first 2 shown]
                                        ; implicit-def: $sgpr42_sgpr43
                                        ; implicit-def: $vgpr2_vgpr3
	s_and_saveexec_b64 s[36:37], vcc
	s_cbranch_execz .LBB115_116
; %bb.103:
	v_cmp_ne_u32_e32 vcc, v13, v10
	v_mov_b32_e32 v3, s59
	v_add_u32_e32 v2, 15, v83
	v_cndmask_b32_e32 v73, v5, v3, vcc
	v_mov_b32_e32 v3, s58
	v_pk_mov_b32 v[46:47], 0, 0
	v_cndmask_b32_e64 v120, 0, 1, vcc
	v_cndmask_b32_e32 v72, v4, v3, vcc
	v_cmp_gt_u32_e32 vcc, s55, v2
	s_mov_b64 s[42:43], 0
	v_mov_b32_e32 v108, 0
	v_mov_b32_e32 v124, 0
	v_pk_mov_b32 v[80:81], v[46:47], v[46:47] op_sel:[0,1]
	v_mov_b32_e32 v123, 0
	v_pk_mov_b32 v[78:79], v[46:47], v[46:47] op_sel:[0,1]
	v_mov_b32_e32 v122, 0
	v_pk_mov_b32 v[76:77], v[46:47], v[46:47] op_sel:[0,1]
	v_mov_b32_e32 v121, 0
	v_pk_mov_b32 v[74:75], v[46:47], v[46:47] op_sel:[0,1]
                                        ; implicit-def: $sgpr44_sgpr45
                                        ; implicit-def: $vgpr2_vgpr3
	s_and_saveexec_b64 s[38:39], vcc
	s_cbranch_execz .LBB115_115
; %bb.104:
	ds_read2_b64 v[2:5], v26 offset0:15 offset1:16
	v_cmp_ne_u32_e32 vcc, v10, v11
	v_mov_b32_e32 v10, s59
	v_add_u32_e32 v12, 16, v83
	v_pk_mov_b32 v[46:47], 0, 0
	s_waitcnt lgkmcnt(0)
	v_cndmask_b32_e32 v75, v3, v10, vcc
	v_mov_b32_e32 v3, s58
	v_cndmask_b32_e64 v121, 0, 1, vcc
	v_cndmask_b32_e32 v74, v2, v3, vcc
	v_cmp_gt_u32_e32 vcc, s55, v12
	s_mov_b64 s[44:45], 0
	v_mov_b32_e32 v108, 0
	v_mov_b32_e32 v124, 0
	v_pk_mov_b32 v[80:81], v[46:47], v[46:47] op_sel:[0,1]
	v_mov_b32_e32 v123, 0
	v_pk_mov_b32 v[78:79], v[46:47], v[46:47] op_sel:[0,1]
	;; [unrolled: 2-line block ×3, first 2 shown]
                                        ; implicit-def: $sgpr46_sgpr47
                                        ; implicit-def: $vgpr2_vgpr3
	s_and_saveexec_b64 s[40:41], vcc
	s_cbranch_execz .LBB115_114
; %bb.105:
	v_cmp_ne_u32_e32 vcc, v11, v8
	v_mov_b32_e32 v3, s59
	v_add_u32_e32 v2, 17, v83
	v_cndmask_b32_e32 v77, v5, v3, vcc
	v_mov_b32_e32 v3, s58
	v_pk_mov_b32 v[46:47], 0, 0
	v_cndmask_b32_e64 v122, 0, 1, vcc
	v_cndmask_b32_e32 v76, v4, v3, vcc
	v_cmp_gt_u32_e32 vcc, s55, v2
	s_mov_b64 s[46:47], 0
	v_mov_b32_e32 v108, 0
	v_mov_b32_e32 v124, 0
	v_pk_mov_b32 v[80:81], v[46:47], v[46:47] op_sel:[0,1]
	v_mov_b32_e32 v123, 0
	v_pk_mov_b32 v[78:79], v[46:47], v[46:47] op_sel:[0,1]
                                        ; implicit-def: $sgpr68_sgpr69
                                        ; implicit-def: $vgpr2_vgpr3
	s_and_saveexec_b64 s[42:43], vcc
	s_cbranch_execz .LBB115_113
; %bb.106:
	ds_read2_b64 v[2:5], v26 offset0:17 offset1:18
	v_cmp_ne_u32_e32 vcc, v8, v9
	v_mov_b32_e32 v8, s59
	v_add_u32_e32 v10, 18, v83
	v_pk_mov_b32 v[46:47], 0, 0
	s_waitcnt lgkmcnt(0)
	v_cndmask_b32_e32 v79, v3, v8, vcc
	v_mov_b32_e32 v3, s58
	v_cndmask_b32_e64 v123, 0, 1, vcc
	v_cndmask_b32_e32 v78, v2, v3, vcc
	v_cmp_gt_u32_e32 vcc, s55, v10
	s_mov_b64 s[68:69], 0
	v_mov_b32_e32 v108, 0
	v_mov_b32_e32 v124, 0
	v_pk_mov_b32 v[80:81], v[46:47], v[46:47] op_sel:[0,1]
                                        ; implicit-def: $sgpr70_sgpr71
                                        ; implicit-def: $vgpr2_vgpr3
	s_and_saveexec_b64 s[44:45], vcc
	s_cbranch_execz .LBB115_112
; %bb.107:
	v_cmp_ne_u32_e32 vcc, v9, v6
	v_mov_b32_e32 v3, s59
	v_add_u32_e32 v2, 19, v83
	v_cndmask_b32_e32 v81, v5, v3, vcc
	v_mov_b32_e32 v3, s58
	v_cndmask_b32_e64 v124, 0, 1, vcc
	v_cndmask_b32_e32 v80, v4, v3, vcc
	v_cmp_gt_u32_e32 vcc, s55, v2
	v_mov_b32_e32 v108, 0
	v_pk_mov_b32 v[46:47], 0, 0
                                        ; implicit-def: $sgpr70_sgpr71
                                        ; implicit-def: $vgpr2_vgpr3
	s_and_saveexec_b64 s[46:47], vcc
	s_cbranch_execz .LBB115_111
; %bb.108:
	ds_read2_b64 v[2:5], v26 offset0:19 offset1:20
	v_cmp_ne_u32_e32 vcc, v6, v7
	v_mov_b32_e32 v6, s59
	v_add_u32_e32 v8, 20, v83
	v_cndmask_b32_e64 v108, 0, 1, vcc
	s_waitcnt lgkmcnt(0)
	v_cndmask_b32_e32 v47, v3, v6, vcc
	v_mov_b32_e32 v3, s58
	v_cndmask_b32_e32 v46, v2, v3, vcc
	v_cmp_gt_u32_e32 vcc, s55, v8
                                        ; implicit-def: $sgpr70_sgpr71
                                        ; implicit-def: $vgpr2_vgpr3
	s_and_saveexec_b64 s[72:73], vcc
	s_xor_b64 s[72:73], exec, s[72:73]
; %bb.109:
	v_mov_b32_e32 v2, s59
	v_cmp_ne_u32_e32 vcc, v7, v82
	v_cndmask_b32_e32 v3, v5, v2, vcc
	v_mov_b32_e32 v2, s58
	s_mov_b64 s[68:69], exec
	v_cndmask_b32_e32 v2, v4, v2, vcc
	s_and_b64 s[70:71], vcc, exec
; %bb.110:
	s_or_b64 exec, exec, s[72:73]
	s_and_b64 s[70:71], s[70:71], exec
	s_and_b64 s[68:69], s[68:69], exec
.LBB115_111:
	s_or_b64 exec, exec, s[46:47]
	s_and_b64 s[70:71], s[70:71], exec
	s_and_b64 s[46:47], s[68:69], exec
.LBB115_112:
	s_or_b64 exec, exec, s[44:45]
	s_and_b64 s[68:69], s[70:71], exec
	s_and_b64 s[44:45], s[46:47], exec
.LBB115_113:
	s_or_b64 exec, exec, s[42:43]
	s_and_b64 s[46:47], s[68:69], exec
	s_and_b64 s[42:43], s[44:45], exec
.LBB115_114:
	s_or_b64 exec, exec, s[40:41]
	s_and_b64 s[44:45], s[46:47], exec
	s_and_b64 s[40:41], s[42:43], exec
.LBB115_115:
	s_or_b64 exec, exec, s[38:39]
	s_and_b64 s[42:43], s[44:45], exec
	s_and_b64 s[38:39], s[40:41], exec
.LBB115_116:
	s_or_b64 exec, exec, s[36:37]
	s_and_b64 s[40:41], s[42:43], exec
	s_and_b64 s[36:37], s[38:39], exec
.LBB115_117:
	s_or_b64 exec, exec, s[34:35]
	s_and_b64 s[38:39], s[40:41], exec
	s_and_b64 s[34:35], s[36:37], exec
.LBB115_118:
	s_or_b64 exec, exec, s[30:31]
	s_and_b64 s[36:37], s[38:39], exec
	s_and_b64 s[30:31], s[34:35], exec
.LBB115_119:
	s_or_b64 exec, exec, s[28:29]
	s_and_b64 s[34:35], s[36:37], exec
	s_and_b64 s[28:29], s[30:31], exec
.LBB115_120:
	s_or_b64 exec, exec, s[26:27]
	s_and_b64 s[30:31], s[34:35], exec
	s_and_b64 s[26:27], s[28:29], exec
.LBB115_121:
	s_or_b64 exec, exec, s[24:25]
	s_and_b64 s[28:29], s[30:31], exec
	s_and_b64 s[24:25], s[26:27], exec
.LBB115_122:
	s_or_b64 exec, exec, s[22:23]
	s_and_b64 s[26:27], s[28:29], exec
	s_and_b64 s[22:23], s[24:25], exec
.LBB115_123:
	s_or_b64 exec, exec, s[20:21]
	s_and_b64 s[24:25], s[26:27], exec
	s_and_b64 s[20:21], s[22:23], exec
.LBB115_124:
	s_or_b64 exec, exec, s[18:19]
	s_and_b64 s[22:23], s[24:25], exec
	s_and_b64 s[18:19], s[20:21], exec
.LBB115_125:
	s_or_b64 exec, exec, s[16:17]
	s_and_b64 s[20:21], s[22:23], exec
	s_and_b64 s[16:17], s[18:19], exec
.LBB115_126:
	s_or_b64 exec, exec, s[14:15]
	s_and_b64 s[18:19], s[20:21], exec
	s_and_b64 s[14:15], s[16:17], exec
.LBB115_127:
	s_or_b64 exec, exec, s[12:13]
	s_and_b64 s[16:17], s[18:19], exec
	s_and_b64 s[12:13], s[14:15], exec
.LBB115_128:
	s_or_b64 exec, exec, s[10:11]
	s_and_b64 s[14:15], s[16:17], exec
	s_and_b64 s[10:11], s[12:13], exec
.LBB115_129:
	s_or_b64 exec, exec, s[8:9]
	s_and_b64 s[8:9], s[14:15], exec
	s_and_b64 s[10:11], s[10:11], exec
.LBB115_130:
	s_or_b64 exec, exec, s[4:5]
	s_mov_b64 s[4:5], 0
	s_and_b64 vcc, exec, s[2:3]
	s_cbranch_vccz .LBB115_136
.LBB115_131:
	v_mov_b32_e32 v1, s67
	v_add_co_u32_e32 v2, vcc, s66, v84
	v_addc_co_u32_e32 v1, vcc, 0, v1, vcc
	s_movk_i32 s4, 0x1000
	v_add_co_u32_e32 v2, vcc, s4, v2
	v_addc_co_u32_e32 v3, vcc, 0, v1, vcc
	global_load_dword v4, v84, s[66:67]
	global_load_dword v5, v84, s[66:67] offset:256
	global_load_dword v6, v84, s[66:67] offset:512
	;; [unrolled: 1-line block ×15, first 2 shown]
	global_load_dword v1, v[2:3], off
	global_load_dword v20, v[2:3], off offset:256
	global_load_dword v21, v[2:3], off offset:512
	;; [unrolled: 1-line block ×4, first 2 shown]
	s_movk_i32 s2, 0x50
	v_mad_u32_u24 v3, v0, s2, v84
	s_movk_i32 s3, 0xffb0
	v_cmp_ne_u32_e32 vcc, 63, v0
	v_mad_i32_i24 v2, v0, s3, v3
	s_waitcnt vmcnt(19)
	ds_write2st64_b32 v84, v4, v5 offset1:1
	s_waitcnt vmcnt(17)
	ds_write2st64_b32 v84, v6, v7 offset0:2 offset1:3
	s_waitcnt vmcnt(15)
	ds_write2st64_b32 v84, v8, v9 offset0:4 offset1:5
	;; [unrolled: 2-line block ×9, first 2 shown]
	s_waitcnt vmcnt(0)
	ds_write_b32 v84, v23 offset:5120
	s_waitcnt lgkmcnt(0)
	; wave barrier
	s_waitcnt lgkmcnt(0)
	ds_read_b32 v1, v3
	ds_read2_b32 v[60:61], v3 offset0:1 offset1:2
	ds_read2_b32 v[58:59], v3 offset0:3 offset1:4
	;; [unrolled: 1-line block ×7, first 2 shown]
	s_load_dword s2, s[66:67], 0x1500
	ds_read2_b32 v[46:47], v3 offset0:15 offset1:16
	ds_read2_b32 v[44:45], v3 offset0:17 offset1:18
	ds_read2_b32 v[82:83], v3 offset0:19 offset1:20
	s_waitcnt lgkmcnt(0)
	ds_write_b32 v2, v1 offset:5632
	s_waitcnt lgkmcnt(0)
	; wave barrier
	s_waitcnt lgkmcnt(0)
	v_mov_b32_e32 v85, s2
	s_and_saveexec_b64 s[2:3], vcc
	s_cbranch_execz .LBB115_133
; %bb.132:
	ds_read_b32 v85, v84 offset:5636
.LBB115_133:
	s_or_b64 exec, exec, s[2:3]
	v_lshlrev_b32_e32 v3, 3, v0
	v_mov_b32_e32 v4, s65
	v_add_co_u32_e32 v22, vcc, s64, v3
	v_addc_co_u32_e32 v23, vcc, 0, v4, vcc
	v_add_co_u32_e32 v20, vcc, s4, v22
	v_addc_co_u32_e32 v21, vcc, 0, v23, vcc
	s_movk_i32 s2, 0x2000
	v_add_co_u32_e32 v22, vcc, s2, v22
	s_waitcnt lgkmcnt(0)
	; wave barrier
	s_waitcnt lgkmcnt(0)
	global_load_dwordx2 v[4:5], v3, s[64:65]
	global_load_dwordx2 v[6:7], v3, s[64:65] offset:512
	global_load_dwordx2 v[8:9], v3, s[64:65] offset:1024
	;; [unrolled: 1-line block ×7, first 2 shown]
	v_addc_co_u32_e32 v23, vcc, 0, v23, vcc
	global_load_dwordx2 v[24:25], v[20:21], off offset:512
	global_load_dwordx2 v[26:27], v[20:21], off offset:1024
	;; [unrolled: 1-line block ×6, first 2 shown]
	global_load_dwordx2 v[36:37], v[22:23], off offset:-4096
	global_load_dwordx2 v[38:39], v[20:21], off offset:3584
	global_load_dwordx2 v[40:41], v[22:23], off
	global_load_dwordx2 v[42:43], v[22:23], off offset:512
	global_load_dwordx2 v[64:65], v[22:23], off offset:1024
	;; [unrolled: 1-line block ×4, first 2 shown]
	v_lshl_add_u32 v62, v0, 2, v2
	s_movk_i32 s2, 0xa0
	v_mad_u32_u24 v2, v0, s2, v62
	v_cmp_ne_u32_e32 vcc, v1, v60
	v_cmp_eq_u32_e64 s[2:3], v1, v60
	s_waitcnt vmcnt(19)
	ds_write2st64_b64 v62, v[4:5], v[6:7] offset1:1
	s_waitcnt vmcnt(17)
	ds_write2st64_b64 v62, v[8:9], v[10:11] offset0:2 offset1:3
	s_waitcnt vmcnt(15)
	ds_write2st64_b64 v62, v[12:13], v[14:15] offset0:4 offset1:5
	;; [unrolled: 2-line block ×4, first 2 shown]
	ds_write2st64_b64 v62, v[26:27], v[28:29] offset0:10 offset1:11
	ds_write2st64_b64 v62, v[30:31], v[32:33] offset0:12 offset1:13
	s_waitcnt vmcnt(5)
	ds_write2st64_b64 v62, v[34:35], v[38:39] offset0:14 offset1:15
	s_waitcnt vmcnt(3)
	ds_write2st64_b64 v62, v[40:41], v[42:43] offset0:16 offset1:17
	s_waitcnt vmcnt(1)
	ds_write2st64_b64 v62, v[64:65], v[66:67] offset0:18 offset1:19
	s_waitcnt vmcnt(0)
	ds_write_b64 v62, v[68:69] offset:10240
	s_waitcnt lgkmcnt(0)
	; wave barrier
	s_waitcnt lgkmcnt(0)
	ds_read2_b64 v[38:41], v2 offset0:1 offset1:2
	ds_read2_b64 v[34:37], v2 offset0:3 offset1:4
	;; [unrolled: 1-line block ×10, first 2 shown]
	v_pk_mov_b32 v[42:43], s[58:59], s[58:59] op_sel:[0,1]
	s_and_saveexec_b64 s[4:5], s[2:3]
	s_cbranch_execz .LBB115_135
; %bb.134:
	v_mul_u32_u24_e32 v1, 0xa0, v0
	v_add_u32_e32 v1, v62, v1
	ds_read_b64 v[42:43], v1
.LBB115_135:
	s_or_b64 exec, exec, s[4:5]
	v_cndmask_b32_e64 v1, 0, 1, vcc
	v_cmp_ne_u32_e32 vcc, v60, v61
	v_cmp_ne_u32_e64 s[38:39], v45, v82
	v_cmp_ne_u32_e64 s[40:41], v82, v83
	v_mov_b32_e32 v82, s59
	v_cmp_ne_u32_e64 s[8:9], v59, v56
	v_cmp_ne_u32_e64 s[36:37], v44, v45
	s_waitcnt lgkmcnt(9)
	v_cndmask_b32_e32 v45, v39, v82, vcc
	v_mov_b32_e32 v39, s58
	v_cmp_ne_u32_e64 s[2:3], v61, v58
	v_cmp_ne_u32_e64 s[4:5], v58, v59
	v_cndmask_b32_e64 v110, 0, 1, s[8:9]
	v_cmp_ne_u32_e64 s[10:11], v56, v57
	v_cmp_ne_u32_e64 s[12:13], v57, v54
	v_cmp_ne_u32_e64 s[14:15], v54, v55
	v_cmp_ne_u32_e64 s[16:17], v55, v52
	v_cmp_ne_u32_e64 s[18:19], v52, v53
	v_cmp_ne_u32_e64 s[20:21], v53, v50
	v_cmp_ne_u32_e64 s[22:23], v50, v51
	v_cmp_ne_u32_e64 s[24:25], v51, v48
	v_cmp_ne_u32_e64 s[26:27], v48, v49
	v_cmp_ne_u32_e64 s[28:29], v49, v46
	v_cmp_ne_u32_e64 s[30:31], v46, v47
	v_cmp_ne_u32_e64 s[34:35], v47, v44
	s_waitcnt lgkmcnt(8)
	v_cndmask_b32_e64 v53, v37, v82, s[8:9]
	v_cndmask_b32_e64 v52, v36, v39, s[8:9]
	v_cmp_ne_u32_e64 s[8:9], v83, v85
	v_cndmask_b32_e64 v106, 0, 1, vcc
	v_cndmask_b32_e64 v107, 0, 1, s[2:3]
	v_cndmask_b32_e64 v109, 0, 1, s[4:5]
	;; [unrolled: 1-line block ×17, first 2 shown]
	v_cndmask_b32_e32 v44, v38, v39, vcc
	v_cndmask_b32_e64 v49, v41, v82, s[2:3]
	v_cndmask_b32_e64 v48, v40, v39, s[2:3]
	v_cndmask_b32_e64 v51, v35, v82, s[4:5]
	v_cndmask_b32_e64 v50, v34, v39, s[4:5]
	s_waitcnt lgkmcnt(7)
	v_cndmask_b32_e64 v55, v31, v82, s[10:11]
	v_cndmask_b32_e64 v54, v30, v39, s[10:11]
	v_cndmask_b32_e64 v57, v33, v82, s[12:13]
	v_cndmask_b32_e64 v56, v32, v39, s[12:13]
	s_waitcnt lgkmcnt(6)
	;; [unrolled: 5-line block ×8, first 2 shown]
	v_cndmask_b32_e64 v47, v3, v82, s[40:41]
	v_cndmask_b32_e64 v46, v2, v39, s[40:41]
	v_cndmask_b32_e64 v3, v5, v82, s[8:9]
	v_cndmask_b32_e64 v2, v4, v39, s[8:9]
	s_mov_b64 s[10:11], -1
                                        ; implicit-def: $sgpr7
                                        ; implicit-def: $sgpr4_sgpr5
.LBB115_136:
	s_waitcnt lgkmcnt(11)
	v_pk_mov_b32 v[82:83], s[4:5], s[4:5] op_sel:[0,1]
	v_mov_b32_e32 v125, s7
	s_and_saveexec_b64 s[2:3], s[10:11]
; %bb.137:
	v_cndmask_b32_e64 v125, 0, 1, s[8:9]
	v_pk_mov_b32 v[82:83], v[2:3], v[2:3] op_sel:[0,1]
; %bb.138:
	s_or_b64 exec, exec, s[2:3]
	v_or_b32_e32 v2, v125, v108
	s_cmp_lg_u32 s6, 0
	v_cmp_lt_u64_e32 vcc, v[42:43], v[44:45]
	v_or_b32_e32 v127, v2, v124
	v_mbcnt_lo_u32_b32 v126, -1, 0
	s_waitcnt lgkmcnt(0)
	; wave barrier
	s_waitcnt lgkmcnt(0)
	s_cbranch_scc0 .LBB115_197
; %bb.139:
	v_mov_b32_e32 v4, 0
	v_cmp_eq_u16_sdwa s[40:41], v106, v4 src0_sel:BYTE_0 src1_sel:DWORD
	s_and_b64 vcc, s[40:41], vcc
	v_cndmask_b32_e32 v3, v45, v43, vcc
	v_cndmask_b32_e32 v2, v44, v42, vcc
	v_cmp_eq_u16_sdwa s[38:39], v107, v4 src0_sel:BYTE_0 src1_sel:DWORD
	v_cmp_lt_u64_e32 vcc, v[2:3], v[48:49]
	s_and_b64 vcc, s[38:39], vcc
	v_cndmask_b32_e32 v3, v49, v3, vcc
	v_cndmask_b32_e32 v2, v48, v2, vcc
	v_cmp_eq_u16_sdwa s[36:37], v109, v4 src0_sel:BYTE_0 src1_sel:DWORD
	v_cmp_lt_u64_e32 vcc, v[2:3], v[50:51]
	;; [unrolled: 5-line block ×13, first 2 shown]
	s_and_b64 vcc, s[12:13], vcc
	v_cndmask_b32_e32 v3, v73, v3, vcc
	v_cndmask_b32_e32 v2, v72, v2, vcc
	v_cmp_eq_u16_sdwa s[10:11], v121, v4 src0_sel:BYTE_0 src1_sel:DWORD
	v_cmp_eq_u16_sdwa s[8:9], v122, v4 src0_sel:BYTE_0 src1_sel:DWORD
	;; [unrolled: 1-line block ×6, first 2 shown]
	v_or_b32_e32 v4, v127, v123
	v_cmp_lt_u64_e32 vcc, v[2:3], v[74:75]
	v_or_b32_e32 v4, v4, v122
	s_and_b64 vcc, s[10:11], vcc
	v_or_b32_e32 v4, v4, v121
	v_cndmask_b32_e32 v3, v75, v3, vcc
	v_cndmask_b32_e32 v2, v74, v2, vcc
	v_or_b32_e32 v4, v4, v120
	v_cmp_lt_u64_e32 vcc, v[2:3], v[76:77]
	v_or_b32_e32 v4, v4, v119
	s_and_b64 vcc, s[8:9], vcc
	v_or_b32_e32 v4, v4, v118
	v_cndmask_b32_e32 v3, v77, v3, vcc
	v_cndmask_b32_e32 v2, v76, v2, vcc
	;; [unrolled: 7-line block ×5, first 2 shown]
	v_or_b32_e32 v4, v4, v107
	v_cmp_lt_u64_e32 vcc, v[2:3], v[82:83]
	v_or_b32_e32 v4, v4, v106
	s_and_b64 vcc, s[42:43], vcc
	v_or_b32_e32 v4, v4, v1
	v_mbcnt_hi_u32_b32 v7, -1, v126
	v_cndmask_b32_e32 v3, v83, v3, vcc
	v_cndmask_b32_e32 v2, v82, v2, vcc
	v_and_b32_e32 v6, 1, v4
	v_and_b32_e32 v8, 15, v7
	v_cmp_eq_u32_e32 vcc, 1, v6
	v_mov_b32_dpp v4, v2 row_shr:1 row_mask:0xf bank_mask:0xf
	v_mov_b32_dpp v5, v3 row_shr:1 row_mask:0xf bank_mask:0xf
	;; [unrolled: 1-line block ×3, first 2 shown]
	v_cmp_ne_u32_e64 s[42:43], 0, v8
	v_mov_b32_e32 v9, v6
	s_and_saveexec_b64 s[46:47], s[42:43]
; %bb.140:
	v_and_b32_e32 v9, 1, v10
	v_cmp_lt_u64_e64 s[42:43], v[4:5], v[2:3]
	v_or_b32_e32 v6, v9, v6
	v_cndmask_b32_e64 v4, v2, v4, s[42:43]
	v_cndmask_b32_e64 v5, v3, v5, s[42:43]
	v_cndmask_b32_e32 v3, v5, v3, vcc
	v_cndmask_b32_e32 v2, v4, v2, vcc
	v_and_b32_e32 v9, 0xffff, v6
; %bb.141:
	s_or_b64 exec, exec, s[46:47]
	v_mov_b32_dpp v4, v2 row_shr:2 row_mask:0xf bank_mask:0xf
	v_mov_b32_dpp v5, v3 row_shr:2 row_mask:0xf bank_mask:0xf
	v_mov_b32_dpp v10, v9 row_shr:2 row_mask:0xf bank_mask:0xf
	v_cmp_lt_u32_e32 vcc, 1, v8
	s_and_saveexec_b64 s[46:47], vcc
	s_cbranch_execz .LBB115_143
; %bb.142:
	v_and_b32_e32 v9, 1, v6
	v_cmp_eq_u32_e32 vcc, 1, v9
	v_and_b32_e32 v9, 1, v10
	v_cmp_eq_u32_e64 s[42:43], 1, v9
	s_or_b64 s[64:65], vcc, s[42:43]
	v_cmp_eq_u16_e32 vcc, 0, v6
	v_cmp_lt_u64_e64 s[42:43], v[4:5], v[2:3]
	v_cndmask_b32_e64 v10, 0, 1, s[64:65]
	s_and_b64 vcc, vcc, s[42:43]
	v_cndmask_b32_e32 v3, v3, v5, vcc
	v_cndmask_b32_e32 v2, v2, v4, vcc
	v_cndmask_b32_e64 v9, 0, 1, s[64:65]
	v_mov_b32_e32 v6, v10
.LBB115_143:
	s_or_b64 exec, exec, s[46:47]
	v_mov_b32_dpp v4, v2 row_shr:4 row_mask:0xf bank_mask:0xf
	v_mov_b32_dpp v5, v3 row_shr:4 row_mask:0xf bank_mask:0xf
	v_mov_b32_dpp v10, v9 row_shr:4 row_mask:0xf bank_mask:0xf
	v_cmp_lt_u32_e32 vcc, 3, v8
	s_and_saveexec_b64 s[46:47], vcc
	s_cbranch_execz .LBB115_145
; %bb.144:
	v_and_b32_e32 v9, 1, v6
	v_cmp_eq_u32_e32 vcc, 1, v9
	v_and_b32_e32 v9, 1, v10
	v_cmp_eq_u32_e64 s[42:43], 1, v9
	s_or_b64 s[64:65], vcc, s[42:43]
	v_cmp_eq_u16_e32 vcc, 0, v6
	v_cmp_lt_u64_e64 s[42:43], v[4:5], v[2:3]
	v_cndmask_b32_e64 v10, 0, 1, s[64:65]
	s_and_b64 vcc, vcc, s[42:43]
	v_cndmask_b32_e32 v3, v3, v5, vcc
	v_cndmask_b32_e32 v2, v2, v4, vcc
	v_cndmask_b32_e64 v9, 0, 1, s[64:65]
	v_mov_b32_e32 v6, v10
.LBB115_145:
	;; [unrolled: 22-line block ×3, first 2 shown]
	s_or_b64 exec, exec, s[46:47]
	v_and_b32_e32 v10, 16, v7
	v_mov_b32_dpp v4, v2 row_bcast:15 row_mask:0xf bank_mask:0xf
	v_mov_b32_dpp v5, v3 row_bcast:15 row_mask:0xf bank_mask:0xf
	;; [unrolled: 1-line block ×3, first 2 shown]
	v_cmp_ne_u32_e32 vcc, 0, v10
	s_and_saveexec_b64 s[46:47], vcc
	s_cbranch_execz .LBB115_149
; %bb.148:
	v_and_b32_e32 v9, 1, v6
	v_and_b32_e32 v8, 1, v8
	v_cmp_eq_u32_e32 vcc, 1, v9
	v_cmp_eq_u32_e64 s[42:43], 1, v8
	s_or_b64 s[64:65], vcc, s[42:43]
	v_cmp_eq_u16_e32 vcc, 0, v6
	v_cmp_lt_u64_e64 s[42:43], v[4:5], v[2:3]
	v_cndmask_b32_e64 v8, 0, 1, s[64:65]
	s_and_b64 vcc, vcc, s[42:43]
	v_cndmask_b32_e32 v3, v3, v5, vcc
	v_cndmask_b32_e32 v2, v2, v4, vcc
	v_cndmask_b32_e64 v9, 0, 1, s[64:65]
	v_mov_b32_e32 v6, v8
.LBB115_149:
	s_or_b64 exec, exec, s[46:47]
	v_mov_b32_dpp v4, v2 row_bcast:31 row_mask:0xf bank_mask:0xf
	v_mov_b32_dpp v5, v3 row_bcast:31 row_mask:0xf bank_mask:0xf
	;; [unrolled: 1-line block ×3, first 2 shown]
	v_cmp_lt_u32_e32 vcc, 31, v7
	s_and_saveexec_b64 s[46:47], vcc
	s_cbranch_execz .LBB115_151
; %bb.150:
	v_and_b32_e32 v9, 1, v6
	v_and_b32_e32 v8, 1, v8
	v_cmp_eq_u32_e32 vcc, 1, v9
	v_cmp_eq_u32_e64 s[42:43], 1, v8
	s_or_b64 s[42:43], vcc, s[42:43]
	v_cndmask_b32_e64 v8, 0, 1, s[42:43]
	v_cmp_eq_u16_e32 vcc, 0, v6
	v_cmp_lt_u64_e64 s[42:43], v[4:5], v[2:3]
	s_and_b64 vcc, vcc, s[42:43]
	v_cndmask_b32_e32 v3, v3, v5, vcc
	v_cndmask_b32_e32 v2, v2, v4, vcc
	v_mov_b32_e32 v6, v8
.LBB115_151:
	s_or_b64 exec, exec, s[46:47]
	v_cmp_eq_u32_e32 vcc, 63, v0
	s_and_saveexec_b64 s[42:43], vcc
	s_cbranch_execz .LBB115_153
; %bb.152:
	v_mov_b32_e32 v4, 0
	ds_write_b64 v4, v[2:3]
	ds_write_b8 v4, v6 offset:8
.LBB115_153:
	s_or_b64 exec, exec, s[42:43]
	v_add_u32_e32 v4, -1, v7
	v_and_b32_e32 v5, 64, v7
	v_cmp_lt_i32_e32 vcc, v4, v5
	v_cndmask_b32_e32 v4, v4, v7, vcc
	v_lshlrev_b32_e32 v4, 2, v4
	v_and_b32_e32 v5, 0xffff, v6
	ds_bpermute_b32 v2, v4, v2
	ds_bpermute_b32 v3, v4, v3
	;; [unrolled: 1-line block ×3, first 2 shown]
	v_cmp_gt_u32_e32 vcc, 64, v0
	s_waitcnt lgkmcnt(0)
	; wave barrier
	s_waitcnt lgkmcnt(0)
	s_and_saveexec_b64 s[64:65], vcc
	s_cbranch_execz .LBB115_196
; %bb.154:
	v_mov_b32_e32 v9, 0
	ds_read_b64 v[4:5], v9
	ds_read_u8 v17, v9 offset:8
	s_mov_b32 s67, 0
	v_cmp_eq_u32_e64 s[42:43], 0, v7
	s_and_saveexec_b64 s[46:47], s[42:43]
	s_cbranch_execz .LBB115_156
; %bb.155:
	s_add_i32 s66, s6, 64
	s_lshl_b64 s[68:69], s[66:67], 4
	s_add_u32 s68, s48, s68
	s_addc_u32 s69, s49, s69
	v_mov_b32_e32 v6, s66
	v_mov_b32_e32 v8, 1
	s_waitcnt lgkmcnt(1)
	global_store_dwordx2 v9, v[4:5], s[68:69]
	s_waitcnt lgkmcnt(0)
	global_store_byte v9, v17, s[68:69] offset:8
	s_waitcnt vmcnt(0)
	buffer_wbinvl1_vol
	global_store_byte v6, v8, s[52:53]
.LBB115_156:
	s_or_b64 exec, exec, s[46:47]
	v_xad_u32 v6, v7, -1, s6
	v_add_u32_e32 v8, 64, v6
	global_load_ubyte v18, v8, s[52:53] glc
	s_waitcnt vmcnt(0)
	v_cmp_eq_u16_e32 vcc, 0, v18
	s_and_saveexec_b64 s[46:47], vcc
	s_cbranch_execz .LBB115_160
; %bb.157:
	v_mov_b32_e32 v11, s53
	v_add_co_u32_e32 v10, vcc, s52, v8
	v_addc_co_u32_e32 v11, vcc, 0, v11, vcc
	s_mov_b64 s[66:67], 0
.LBB115_158:                            ; =>This Inner Loop Header: Depth=1
	global_load_ubyte v18, v[10:11], off glc
	s_waitcnt vmcnt(0)
	v_cmp_ne_u16_e32 vcc, 0, v18
	s_or_b64 s[66:67], vcc, s[66:67]
	s_andn2_b64 exec, exec, s[66:67]
	s_cbranch_execnz .LBB115_158
; %bb.159:
	s_or_b64 exec, exec, s[66:67]
.LBB115_160:
	s_or_b64 exec, exec, s[46:47]
	v_mov_b32_e32 v10, s51
	v_mov_b32_e32 v11, s49
	v_cmp_eq_u16_e32 vcc, 1, v18
	v_cndmask_b32_e32 v10, v10, v11, vcc
	v_mov_b32_e32 v11, s50
	v_mov_b32_e32 v12, s48
	v_cndmask_b32_e32 v11, v11, v12, vcc
	v_lshlrev_b64 v[8:9], 4, v[8:9]
	v_add_co_u32_e32 v8, vcc, v11, v8
	v_addc_co_u32_e32 v9, vcc, v10, v9, vcc
	s_waitcnt lgkmcnt(0)
	buffer_wbinvl1_vol
	global_load_dwordx2 v[12:13], v[8:9], off
	global_load_ubyte v14, v[8:9], off offset:8
	v_cmp_eq_u16_e32 vcc, 2, v18
	v_lshlrev_b64 v[8:9], v7, -1
	v_and_b32_e32 v15, 63, v7
	v_and_b32_e32 v10, vcc_hi, v9
	v_and_b32_e32 v20, vcc_lo, v8
	v_cmp_ne_u32_e32 vcc, 63, v15
	v_addc_co_u32_e32 v11, vcc, 0, v7, vcc
	v_or_b32_e32 v10, 0x80000000, v10
	v_lshlrev_b32_e32 v19, 2, v11
	v_ffbl_b32_e32 v10, v10
	v_add_u32_e32 v22, 32, v10
	v_ffbl_b32_e32 v20, v20
	v_min_u32_e32 v30, v20, v22
	v_add_u32_e32 v20, 1, v7
	v_cmp_le_u32_e32 vcc, v20, v30
	s_waitcnt vmcnt(1)
	ds_bpermute_b32 v10, v19, v12
	s_waitcnt vmcnt(0)
	v_and_b32_e32 v31, 1, v14
	ds_bpermute_b32 v11, v19, v13
	ds_bpermute_b32 v21, v19, v31
	s_and_saveexec_b64 s[46:47], vcc
	s_cbranch_execz .LBB115_162
; %bb.161:
	v_mov_b32_e32 v22, 0
	v_cmp_eq_u16_sdwa s[66:67], v14, v22 src0_sel:BYTE_0 src1_sel:DWORD
	s_waitcnt lgkmcnt(1)
	v_cmp_lt_u64_e32 vcc, v[10:11], v[12:13]
	s_and_b64 vcc, s[66:67], vcc
	v_cndmask_b32_e32 v12, v12, v10, vcc
	s_waitcnt lgkmcnt(0)
	v_and_b32_e32 v10, 1, v21
	v_or_b32_e32 v14, v10, v14
	v_cndmask_b32_e32 v13, v13, v11, vcc
	v_and_b32_e32 v31, 0xff, v14
.LBB115_162:
	s_or_b64 exec, exec, s[46:47]
	v_cmp_gt_u32_e32 vcc, 62, v15
	s_waitcnt lgkmcnt(2)
	v_cndmask_b32_e64 v10, 0, 1, vcc
	v_lshlrev_b32_e32 v10, 1, v10
	s_waitcnt lgkmcnt(0)
	v_add_lshl_u32 v21, v10, v7, 2
	ds_bpermute_b32 v10, v21, v12
	ds_bpermute_b32 v11, v21, v13
	ds_bpermute_b32 v23, v21, v31
	v_add_u32_e32 v22, 2, v7
	v_cmp_le_u32_e32 vcc, v22, v30
	s_and_saveexec_b64 s[66:67], vcc
	s_cbranch_execz .LBB115_164
; %bb.163:
	v_mov_b32_e32 v24, 0
	v_cmp_eq_u16_sdwa s[46:47], v14, v24 src0_sel:BYTE_0 src1_sel:DWORD
	s_waitcnt lgkmcnt(1)
	v_cmp_lt_u64_e32 vcc, v[10:11], v[12:13]
	s_and_b64 vcc, s[46:47], vcc
	v_cndmask_b32_e32 v12, v12, v10, vcc
	v_and_b32_e32 v10, 1, v14
	v_cndmask_b32_e32 v13, v13, v11, vcc
	v_cmp_eq_u32_e32 vcc, 1, v10
	s_waitcnt lgkmcnt(0)
	v_and_b32_e32 v10, 1, v23
	v_cmp_eq_u32_e64 s[46:47], 1, v10
	s_or_b64 s[46:47], vcc, s[46:47]
	v_cndmask_b32_e64 v14, 0, 1, s[46:47]
	v_cndmask_b32_e64 v31, 0, 1, s[46:47]
.LBB115_164:
	s_or_b64 exec, exec, s[66:67]
	v_cmp_gt_u32_e32 vcc, 60, v15
	s_waitcnt lgkmcnt(2)
	v_cndmask_b32_e64 v10, 0, 1, vcc
	v_lshlrev_b32_e32 v10, 2, v10
	s_waitcnt lgkmcnt(0)
	v_add_lshl_u32 v23, v10, v7, 2
	ds_bpermute_b32 v10, v23, v12
	ds_bpermute_b32 v11, v23, v13
	ds_bpermute_b32 v25, v23, v31
	v_add_u32_e32 v24, 4, v7
	v_cmp_le_u32_e32 vcc, v24, v30
	s_and_saveexec_b64 s[66:67], vcc
	s_cbranch_execz .LBB115_166
; %bb.165:
	v_mov_b32_e32 v26, 0
	v_cmp_eq_u16_sdwa s[46:47], v14, v26 src0_sel:BYTE_0 src1_sel:DWORD
	s_waitcnt lgkmcnt(1)
	v_cmp_lt_u64_e32 vcc, v[10:11], v[12:13]
	s_and_b64 vcc, s[46:47], vcc
	v_cndmask_b32_e32 v12, v12, v10, vcc
	v_and_b32_e32 v10, 1, v14
	v_cndmask_b32_e32 v13, v13, v11, vcc
	v_cmp_eq_u32_e32 vcc, 1, v10
	s_waitcnt lgkmcnt(0)
	v_and_b32_e32 v10, 1, v25
	v_cmp_eq_u32_e64 s[46:47], 1, v10
	s_or_b64 s[46:47], vcc, s[46:47]
	v_cndmask_b32_e64 v14, 0, 1, s[46:47]
	v_cndmask_b32_e64 v31, 0, 1, s[46:47]
.LBB115_166:
	;; [unrolled: 31-line block ×4, first 2 shown]
	s_or_b64 exec, exec, s[66:67]
	v_cmp_gt_u32_e32 vcc, 32, v15
	s_waitcnt lgkmcnt(2)
	v_cndmask_b32_e64 v10, 0, 1, vcc
	v_lshlrev_b32_e32 v10, 5, v10
	s_waitcnt lgkmcnt(0)
	v_add_lshl_u32 v29, v10, v7, 2
	ds_bpermute_b32 v10, v29, v12
	ds_bpermute_b32 v11, v29, v13
	ds_bpermute_b32 v15, v29, v31
	v_add_u32_e32 v31, 32, v7
	v_cmp_le_u32_e32 vcc, v31, v30
	s_and_saveexec_b64 s[66:67], vcc
	s_cbranch_execz .LBB115_172
; %bb.171:
	v_mov_b32_e32 v7, 0
	s_waitcnt lgkmcnt(1)
	v_cmp_lt_u64_e32 vcc, v[10:11], v[12:13]
	v_cmp_eq_u16_sdwa s[46:47], v14, v7 src0_sel:BYTE_0 src1_sel:DWORD
	v_cndmask_b32_e32 v11, v13, v11, vcc
	s_and_b64 vcc, s[46:47], vcc
	v_and_b32_e32 v7, 1, v14
	v_cndmask_b32_e32 v12, v12, v10, vcc
	v_cmp_eq_u32_e32 vcc, 1, v7
	s_waitcnt lgkmcnt(0)
	v_and_b32_e32 v7, 1, v15
	v_cndmask_b32_e64 v13, v13, v11, s[46:47]
	v_cmp_eq_u32_e64 s[46:47], 1, v7
	s_or_b64 s[46:47], vcc, s[46:47]
	v_cndmask_b32_e64 v14, 0, 1, s[46:47]
.LBB115_172:
	s_or_b64 exec, exec, s[66:67]
	v_mov_b32_e32 v7, 0
	v_mov_b32_e32 v32, 2
	s_branch .LBB115_174
.LBB115_173:                            ;   in Loop: Header=BB115_174 Depth=1
	s_or_b64 exec, exec, s[68:69]
	v_cmp_lt_u64_e32 vcc, v[12:13], v[10:11]
	v_cmp_eq_u16_sdwa s[46:47], v30, v7 src0_sel:BYTE_0 src1_sel:DWORD
	v_cndmask_b32_e32 v13, v11, v13, vcc
	s_and_b64 vcc, s[46:47], vcc
	s_waitcnt lgkmcnt(2)
	v_and_b32_e32 v14, 1, v30
	v_cndmask_b32_e32 v12, v10, v12, vcc
	v_cmp_eq_u32_e32 vcc, 1, v14
	v_cndmask_b32_e64 v13, v11, v13, s[46:47]
	s_or_b64 s[46:47], vcc, s[66:67]
	v_subrev_u32_e32 v6, 64, v6
	v_cndmask_b32_e64 v14, 0, 1, s[46:47]
.LBB115_174:                            ; =>This Loop Header: Depth=1
                                        ;     Child Loop BB115_177 Depth 2
	v_cmp_ne_u16_sdwa s[46:47], v18, v32 src0_sel:BYTE_0 src1_sel:DWORD
	s_waitcnt lgkmcnt(2)
	v_cndmask_b32_e64 v10, 0, 1, s[46:47]
	;;#ASMSTART
	;;#ASMEND
	v_cmp_ne_u32_e32 vcc, 0, v10
	v_mov_b32_e32 v30, v14
	s_cmp_lg_u64 vcc, exec
	s_waitcnt lgkmcnt(1)
	v_pk_mov_b32 v[10:11], v[12:13], v[12:13] op_sel:[0,1]
	s_cbranch_scc1 .LBB115_191
; %bb.175:                              ;   in Loop: Header=BB115_174 Depth=1
	global_load_ubyte v18, v6, s[52:53] glc
	s_waitcnt vmcnt(0)
	v_cmp_eq_u16_e32 vcc, 0, v18
	s_and_saveexec_b64 s[46:47], vcc
	s_cbranch_execz .LBB115_179
; %bb.176:                              ;   in Loop: Header=BB115_174 Depth=1
	v_mov_b32_e32 v13, s53
	v_add_co_u32_e32 v12, vcc, s52, v6
	v_addc_co_u32_e32 v13, vcc, 0, v13, vcc
	s_mov_b64 s[66:67], 0
.LBB115_177:                            ;   Parent Loop BB115_174 Depth=1
                                        ; =>  This Inner Loop Header: Depth=2
	global_load_ubyte v18, v[12:13], off glc
	s_waitcnt vmcnt(0)
	v_cmp_ne_u16_e32 vcc, 0, v18
	s_or_b64 s[66:67], vcc, s[66:67]
	s_andn2_b64 exec, exec, s[66:67]
	s_cbranch_execnz .LBB115_177
; %bb.178:                              ;   in Loop: Header=BB115_174 Depth=1
	s_or_b64 exec, exec, s[66:67]
.LBB115_179:                            ;   in Loop: Header=BB115_174 Depth=1
	s_or_b64 exec, exec, s[46:47]
	v_mov_b32_e32 v12, s51
	v_mov_b32_e32 v13, s49
	v_cmp_eq_u16_e32 vcc, 1, v18
	s_waitcnt lgkmcnt(0)
	v_cndmask_b32_e32 v15, v12, v13, vcc
	v_mov_b32_e32 v12, s50
	v_mov_b32_e32 v13, s48
	v_cndmask_b32_e32 v14, v12, v13, vcc
	v_lshlrev_b64 v[12:13], 4, v[6:7]
	v_add_co_u32_e32 v14, vcc, v14, v12
	v_addc_co_u32_e32 v15, vcc, v15, v13, vcc
	buffer_wbinvl1_vol
	global_load_dwordx2 v[12:13], v[14:15], off
	global_load_ubyte v33, v[14:15], off offset:8
	v_cmp_eq_u16_e32 vcc, 2, v18
	v_and_b32_e32 v14, vcc_hi, v9
	v_or_b32_e32 v14, 0x80000000, v14
	v_ffbl_b32_e32 v14, v14
	v_add_u32_e32 v37, 32, v14
	v_and_b32_e32 v34, vcc_lo, v8
	v_ffbl_b32_e32 v34, v34
	v_min_u32_e32 v34, v34, v37
	v_cmp_le_u32_e32 vcc, v20, v34
	s_waitcnt vmcnt(1)
	ds_bpermute_b32 v14, v19, v12
	s_waitcnt vmcnt(0)
	v_and_b32_e32 v35, 1, v33
	ds_bpermute_b32 v15, v19, v13
	ds_bpermute_b32 v36, v19, v35
	v_cmp_eq_u32_e64 s[66:67], 1, v35
	s_and_saveexec_b64 s[46:47], vcc
	s_cbranch_execz .LBB115_181
; %bb.180:                              ;   in Loop: Header=BB115_174 Depth=1
	v_cmp_eq_u16_sdwa s[68:69], v33, v7 src0_sel:BYTE_0 src1_sel:DWORD
	s_waitcnt lgkmcnt(1)
	v_cmp_lt_u64_e32 vcc, v[14:15], v[12:13]
	s_and_b64 vcc, s[68:69], vcc
	v_cndmask_b32_e32 v12, v12, v14, vcc
	s_waitcnt lgkmcnt(0)
	v_and_b32_e32 v14, 1, v36
	v_or_b32_e32 v33, v14, v33
	v_and_b32_e32 v14, 1, v33
	v_cndmask_b32_e32 v13, v13, v15, vcc
	v_cmp_eq_u32_e32 vcc, 1, v14
	s_andn2_b64 s[66:67], s[66:67], exec
	s_and_b64 s[68:69], vcc, exec
	v_and_b32_e32 v35, 0xff, v33
	s_or_b64 s[66:67], s[66:67], s[68:69]
.LBB115_181:                            ;   in Loop: Header=BB115_174 Depth=1
	s_or_b64 exec, exec, s[46:47]
	s_waitcnt lgkmcnt(2)
	ds_bpermute_b32 v14, v21, v12
	s_waitcnt lgkmcnt(2)
	ds_bpermute_b32 v15, v21, v13
	s_waitcnt lgkmcnt(2)
	ds_bpermute_b32 v36, v21, v35
	v_cmp_le_u32_e32 vcc, v22, v34
	s_and_saveexec_b64 s[68:69], vcc
	s_cbranch_execz .LBB115_183
; %bb.182:                              ;   in Loop: Header=BB115_174 Depth=1
	v_cmp_eq_u16_sdwa s[46:47], v33, v7 src0_sel:BYTE_0 src1_sel:DWORD
	s_waitcnt lgkmcnt(1)
	v_cmp_lt_u64_e32 vcc, v[14:15], v[12:13]
	s_and_b64 vcc, s[46:47], vcc
	v_cndmask_b32_e32 v12, v12, v14, vcc
	v_and_b32_e32 v14, 1, v33
	v_cndmask_b32_e32 v13, v13, v15, vcc
	v_cmp_eq_u32_e32 vcc, 1, v14
	s_waitcnt lgkmcnt(0)
	v_and_b32_e32 v14, 1, v36
	v_cmp_eq_u32_e64 s[46:47], 1, v14
	s_or_b64 s[46:47], vcc, s[46:47]
	v_cndmask_b32_e64 v33, 0, 1, s[46:47]
	v_cndmask_b32_e64 v35, 0, 1, s[46:47]
	s_andn2_b64 s[66:67], s[66:67], exec
	s_and_b64 s[46:47], s[46:47], exec
	s_or_b64 s[66:67], s[66:67], s[46:47]
.LBB115_183:                            ;   in Loop: Header=BB115_174 Depth=1
	s_or_b64 exec, exec, s[68:69]
	s_waitcnt lgkmcnt(2)
	ds_bpermute_b32 v14, v23, v12
	s_waitcnt lgkmcnt(2)
	ds_bpermute_b32 v15, v23, v13
	s_waitcnt lgkmcnt(2)
	ds_bpermute_b32 v36, v23, v35
	v_cmp_le_u32_e32 vcc, v24, v34
	s_and_saveexec_b64 s[68:69], vcc
	s_cbranch_execz .LBB115_185
; %bb.184:                              ;   in Loop: Header=BB115_174 Depth=1
	v_cmp_eq_u16_sdwa s[46:47], v33, v7 src0_sel:BYTE_0 src1_sel:DWORD
	s_waitcnt lgkmcnt(1)
	v_cmp_lt_u64_e32 vcc, v[14:15], v[12:13]
	s_and_b64 vcc, s[46:47], vcc
	v_cndmask_b32_e32 v12, v12, v14, vcc
	v_and_b32_e32 v14, 1, v33
	v_cndmask_b32_e32 v13, v13, v15, vcc
	v_cmp_eq_u32_e32 vcc, 1, v14
	s_waitcnt lgkmcnt(0)
	v_and_b32_e32 v14, 1, v36
	v_cmp_eq_u32_e64 s[46:47], 1, v14
	s_or_b64 s[46:47], vcc, s[46:47]
	v_cndmask_b32_e64 v33, 0, 1, s[46:47]
	v_cndmask_b32_e64 v35, 0, 1, s[46:47]
	s_andn2_b64 s[66:67], s[66:67], exec
	s_and_b64 s[46:47], s[46:47], exec
	s_or_b64 s[66:67], s[66:67], s[46:47]
.LBB115_185:                            ;   in Loop: Header=BB115_174 Depth=1
	;; [unrolled: 29-line block ×4, first 2 shown]
	s_or_b64 exec, exec, s[68:69]
	s_waitcnt lgkmcnt(2)
	ds_bpermute_b32 v14, v29, v12
	s_waitcnt lgkmcnt(2)
	ds_bpermute_b32 v15, v29, v13
	ds_bpermute_b32 v35, v29, v35
	v_cmp_le_u32_e32 vcc, v31, v34
	s_and_saveexec_b64 s[68:69], vcc
	s_cbranch_execz .LBB115_173
; %bb.190:                              ;   in Loop: Header=BB115_174 Depth=1
	s_waitcnt lgkmcnt(1)
	v_cmp_lt_u64_e32 vcc, v[14:15], v[12:13]
	v_cmp_eq_u16_sdwa s[46:47], v33, v7 src0_sel:BYTE_0 src1_sel:DWORD
	v_cndmask_b32_e32 v15, v13, v15, vcc
	s_and_b64 vcc, s[46:47], vcc
	v_cndmask_b32_e32 v12, v12, v14, vcc
	v_and_b32_e32 v14, 1, v33
	v_cmp_eq_u32_e32 vcc, 1, v14
	s_waitcnt lgkmcnt(0)
	v_and_b32_e32 v14, 1, v35
	v_cndmask_b32_e64 v13, v13, v15, s[46:47]
	v_cmp_eq_u32_e64 s[46:47], 1, v14
	s_or_b64 s[46:47], vcc, s[46:47]
	s_andn2_b64 s[66:67], s[66:67], exec
	s_and_b64 s[46:47], s[46:47], exec
	s_or_b64 s[66:67], s[66:67], s[46:47]
	s_branch .LBB115_173
.LBB115_191:                            ;   in Loop: Header=BB115_174 Depth=1
                                        ; implicit-def: $vgpr14
                                        ; implicit-def: $vgpr12_vgpr13
                                        ; implicit-def: $vgpr18
	s_cbranch_execz .LBB115_174
; %bb.192:
	s_and_saveexec_b64 s[46:47], s[42:43]
	s_cbranch_execz .LBB115_194
; %bb.193:
	v_mov_b32_e32 v6, 0
	v_cmp_lt_u64_e32 vcc, v[10:11], v[4:5]
	s_mov_b32 s7, 0
	v_cndmask_b32_e32 v7, v5, v11, vcc
	v_cmp_eq_u16_sdwa s[42:43], v17, v6 src0_sel:BYTE_0 src1_sel:DWORD
	s_add_i32 s6, s6, 64
	v_cndmask_b32_e64 v5, v5, v7, s[42:43]
	s_and_b64 vcc, s[42:43], vcc
	s_lshl_b64 s[42:43], s[6:7], 4
	s_add_u32 s42, s50, s42
	v_cndmask_b32_e32 v4, v4, v10, vcc
	v_or_b32_e32 v7, v17, v30
	s_addc_u32 s43, s51, s43
	v_and_b32_e32 v7, 1, v7
	global_store_dwordx2 v6, v[4:5], s[42:43]
	global_store_byte v6, v7, s[42:43] offset:8
	v_mov_b32_e32 v4, s6
	v_mov_b32_e32 v5, 2
	s_waitcnt vmcnt(0) lgkmcnt(0)
	buffer_wbinvl1_vol
	global_store_byte v4, v5, s[52:53]
.LBB115_194:
	s_or_b64 exec, exec, s[46:47]
	v_cmp_eq_u32_e32 vcc, 0, v0
	s_and_b64 exec, exec, vcc
	s_cbranch_execz .LBB115_196
; %bb.195:
	v_mov_b32_e32 v4, 0
	ds_write_b64 v4, v[10:11]
	ds_write_b8 v4, v30 offset:8
.LBB115_196:
	s_or_b64 exec, exec, s[64:65]
	v_mov_b32_e32 v6, 0
	s_waitcnt lgkmcnt(0)
	; wave barrier
	s_waitcnt lgkmcnt(0)
	ds_read_b64 v[4:5], v6
	v_cmp_eq_u32_sdwa s[6:7], v16, v6 src0_sel:BYTE_0 src1_sel:DWORD
	s_waitcnt lgkmcnt(0)
	v_cmp_lt_u64_e32 vcc, v[4:5], v[2:3]
	s_and_b64 vcc, s[6:7], vcc
	v_cmp_eq_u32_e64 s[6:7], 0, v0
	v_cndmask_b32_e32 v3, v3, v5, vcc
	s_or_b64 vcc, s[6:7], vcc
	v_cndmask_b32_e64 v85, v3, v5, s[6:7]
	v_cndmask_b32_e32 v84, v2, v4, vcc
	v_cmp_lt_u64_e32 vcc, v[84:85], v[42:43]
	v_cmp_eq_u16_sdwa s[6:7], v1, v6 src0_sel:BYTE_0 src1_sel:DWORD
	v_cndmask_b32_e32 v2, v43, v85, vcc
	s_and_b64 vcc, s[6:7], vcc
	v_cndmask_b32_e64 v5, v43, v2, s[6:7]
	v_cndmask_b32_e32 v4, v42, v84, vcc
	v_cmp_lt_u64_e32 vcc, v[4:5], v[44:45]
	v_cndmask_b32_e32 v2, v45, v5, vcc
	s_and_b64 vcc, s[40:41], vcc
	v_cndmask_b32_e64 v7, v45, v2, s[40:41]
	v_cndmask_b32_e32 v6, v44, v4, vcc
	v_cmp_lt_u64_e32 vcc, v[6:7], v[48:49]
	;; [unrolled: 5-line block ×19, first 2 shown]
	v_cndmask_b32_e32 v2, v47, v103, vcc
	s_and_b64 vcc, s[2:3], vcc
	v_cndmask_b32_e64 v105, v47, v2, s[2:3]
	v_cndmask_b32_e32 v104, v46, v102, vcc
	s_branch .LBB115_217
.LBB115_197:
                                        ; implicit-def: $vgpr84_vgpr85
                                        ; implicit-def: $vgpr104_vgpr105
                                        ; implicit-def: $vgpr102_vgpr103
                                        ; implicit-def: $vgpr100_vgpr101
                                        ; implicit-def: $vgpr98_vgpr99
                                        ; implicit-def: $vgpr96_vgpr97
                                        ; implicit-def: $vgpr94_vgpr95
                                        ; implicit-def: $vgpr92_vgpr93
                                        ; implicit-def: $vgpr90_vgpr91
                                        ; implicit-def: $vgpr88_vgpr89
                                        ; implicit-def: $vgpr86_vgpr87
                                        ; implicit-def: $vgpr38_vgpr39_vgpr40_vgpr41
                                        ; implicit-def: $vgpr34_vgpr35_vgpr36_vgpr37
                                        ; implicit-def: $vgpr30_vgpr31_vgpr32_vgpr33
                                        ; implicit-def: $vgpr26_vgpr27_vgpr28_vgpr29
                                        ; implicit-def: $vgpr22_vgpr23_vgpr24_vgpr25
                                        ; implicit-def: $vgpr18_vgpr19_vgpr20_vgpr21
                                        ; implicit-def: $vgpr14_vgpr15_vgpr16_vgpr17
                                        ; implicit-def: $vgpr10_vgpr11_vgpr12_vgpr13
                                        ; implicit-def: $vgpr6_vgpr7_vgpr8_vgpr9
                                        ; implicit-def: $vgpr2_vgpr3_vgpr4_vgpr5
	s_cbranch_execz .LBB115_217
; %bb.198:
	s_cmp_eq_u64 s[62:63], 0
	s_cbranch_scc1 .LBB115_200
; %bb.199:
	s_load_dwordx2 s[58:59], s[62:63], 0x0
.LBB115_200:
	v_mov_b32_e32 v4, 0
	v_cmp_eq_u16_sdwa vcc, v106, v4 src0_sel:BYTE_0 src1_sel:DWORD
	v_cmp_lt_u64_e64 s[2:3], v[42:43], v[44:45]
	s_and_b64 s[2:3], vcc, s[2:3]
	v_cndmask_b32_e64 v3, v45, v43, s[2:3]
	v_cndmask_b32_e64 v2, v44, v42, s[2:3]
	v_cmp_eq_u16_sdwa s[2:3], v107, v4 src0_sel:BYTE_0 src1_sel:DWORD
	v_cmp_lt_u64_e64 s[4:5], v[2:3], v[48:49]
	s_and_b64 s[4:5], s[2:3], s[4:5]
	v_cndmask_b32_e64 v3, v49, v3, s[4:5]
	v_cndmask_b32_e64 v2, v48, v2, s[4:5]
	v_cmp_eq_u16_sdwa s[4:5], v109, v4 src0_sel:BYTE_0 src1_sel:DWORD
	v_cmp_lt_u64_e64 s[6:7], v[2:3], v[50:51]
	s_and_b64 s[6:7], s[4:5], s[6:7]
	v_cndmask_b32_e64 v3, v51, v3, s[6:7]
	v_cndmask_b32_e64 v2, v50, v2, s[6:7]
	v_cmp_eq_u16_sdwa s[6:7], v110, v4 src0_sel:BYTE_0 src1_sel:DWORD
	v_cmp_lt_u64_e64 s[8:9], v[2:3], v[52:53]
	s_and_b64 s[8:9], s[6:7], s[8:9]
	v_cndmask_b32_e64 v3, v53, v3, s[8:9]
	v_cndmask_b32_e64 v2, v52, v2, s[8:9]
	v_cmp_eq_u16_sdwa s[8:9], v111, v4 src0_sel:BYTE_0 src1_sel:DWORD
	v_cmp_lt_u64_e64 s[10:11], v[2:3], v[54:55]
	s_and_b64 s[10:11], s[8:9], s[10:11]
	v_cndmask_b32_e64 v3, v55, v3, s[10:11]
	v_cndmask_b32_e64 v2, v54, v2, s[10:11]
	v_cmp_eq_u16_sdwa s[10:11], v112, v4 src0_sel:BYTE_0 src1_sel:DWORD
	v_cmp_lt_u64_e64 s[12:13], v[2:3], v[56:57]
	s_and_b64 s[12:13], s[10:11], s[12:13]
	v_cndmask_b32_e64 v3, v57, v3, s[12:13]
	v_cndmask_b32_e64 v2, v56, v2, s[12:13]
	v_cmp_eq_u16_sdwa s[12:13], v113, v4 src0_sel:BYTE_0 src1_sel:DWORD
	v_cmp_lt_u64_e64 s[14:15], v[2:3], v[58:59]
	s_and_b64 s[14:15], s[12:13], s[14:15]
	v_cndmask_b32_e64 v3, v59, v3, s[14:15]
	v_cndmask_b32_e64 v2, v58, v2, s[14:15]
	v_cmp_eq_u16_sdwa s[14:15], v114, v4 src0_sel:BYTE_0 src1_sel:DWORD
	v_cmp_lt_u64_e64 s[16:17], v[2:3], v[60:61]
	s_and_b64 s[16:17], s[14:15], s[16:17]
	v_cndmask_b32_e64 v3, v61, v3, s[16:17]
	v_cndmask_b32_e64 v2, v60, v2, s[16:17]
	v_cmp_eq_u16_sdwa s[16:17], v115, v4 src0_sel:BYTE_0 src1_sel:DWORD
	v_cmp_lt_u64_e64 s[18:19], v[2:3], v[62:63]
	s_and_b64 s[18:19], s[16:17], s[18:19]
	v_cndmask_b32_e64 v3, v63, v3, s[18:19]
	v_cndmask_b32_e64 v2, v62, v2, s[18:19]
	v_cmp_eq_u16_sdwa s[18:19], v116, v4 src0_sel:BYTE_0 src1_sel:DWORD
	v_cmp_lt_u64_e64 s[20:21], v[2:3], v[64:65]
	s_and_b64 s[20:21], s[18:19], s[20:21]
	v_cndmask_b32_e64 v3, v65, v3, s[20:21]
	v_cndmask_b32_e64 v2, v64, v2, s[20:21]
	v_cmp_eq_u16_sdwa s[20:21], v117, v4 src0_sel:BYTE_0 src1_sel:DWORD
	v_cmp_lt_u64_e64 s[22:23], v[2:3], v[66:67]
	s_and_b64 s[22:23], s[20:21], s[22:23]
	v_cndmask_b32_e64 v3, v67, v3, s[22:23]
	v_cndmask_b32_e64 v2, v66, v2, s[22:23]
	v_cmp_eq_u16_sdwa s[22:23], v118, v4 src0_sel:BYTE_0 src1_sel:DWORD
	v_cmp_lt_u64_e64 s[24:25], v[2:3], v[68:69]
	s_and_b64 s[24:25], s[22:23], s[24:25]
	v_cndmask_b32_e64 v3, v69, v3, s[24:25]
	v_cndmask_b32_e64 v2, v68, v2, s[24:25]
	v_cmp_eq_u16_sdwa s[24:25], v119, v4 src0_sel:BYTE_0 src1_sel:DWORD
	v_cmp_lt_u64_e64 s[26:27], v[2:3], v[70:71]
	s_and_b64 s[26:27], s[24:25], s[26:27]
	v_cndmask_b32_e64 v3, v71, v3, s[26:27]
	v_cndmask_b32_e64 v2, v70, v2, s[26:27]
	v_cmp_eq_u16_sdwa s[26:27], v120, v4 src0_sel:BYTE_0 src1_sel:DWORD
	v_cmp_lt_u64_e64 s[28:29], v[2:3], v[72:73]
	s_and_b64 s[28:29], s[26:27], s[28:29]
	v_cndmask_b32_e64 v3, v73, v3, s[28:29]
	v_cndmask_b32_e64 v2, v72, v2, s[28:29]
	v_cmp_eq_u16_sdwa s[28:29], v121, v4 src0_sel:BYTE_0 src1_sel:DWORD
	v_cmp_lt_u64_e64 s[30:31], v[2:3], v[74:75]
	s_and_b64 s[30:31], s[28:29], s[30:31]
	v_cndmask_b32_e64 v3, v75, v3, s[30:31]
	v_cndmask_b32_e64 v2, v74, v2, s[30:31]
	v_cmp_eq_u16_sdwa s[30:31], v122, v4 src0_sel:BYTE_0 src1_sel:DWORD
	v_cmp_lt_u64_e64 s[34:35], v[2:3], v[76:77]
	s_and_b64 s[34:35], s[30:31], s[34:35]
	v_cndmask_b32_e64 v3, v77, v3, s[34:35]
	v_cndmask_b32_e64 v2, v76, v2, s[34:35]
	v_cmp_eq_u16_sdwa s[34:35], v123, v4 src0_sel:BYTE_0 src1_sel:DWORD
	v_cmp_lt_u64_e64 s[36:37], v[2:3], v[78:79]
	s_and_b64 s[36:37], s[34:35], s[36:37]
	v_cndmask_b32_e64 v3, v79, v3, s[36:37]
	v_cndmask_b32_e64 v2, v78, v2, s[36:37]
	v_cmp_eq_u16_sdwa s[36:37], v124, v4 src0_sel:BYTE_0 src1_sel:DWORD
	v_cmp_lt_u64_e64 s[38:39], v[2:3], v[80:81]
	s_and_b64 s[38:39], s[36:37], s[38:39]
	v_cndmask_b32_e64 v3, v81, v3, s[38:39]
	v_cndmask_b32_e64 v2, v80, v2, s[38:39]
	v_cmp_eq_u16_sdwa s[38:39], v108, v4 src0_sel:BYTE_0 src1_sel:DWORD
	v_cmp_eq_u16_sdwa s[42:43], v125, v4 src0_sel:BYTE_0 src1_sel:DWORD
	v_or_b32_e32 v4, v127, v123
	v_or_b32_e32 v4, v4, v122
	;; [unrolled: 1-line block ×13, first 2 shown]
	v_cmp_lt_u64_e64 s[40:41], v[2:3], v[46:47]
	v_or_b32_e32 v4, v4, v110
	s_and_b64 s[40:41], s[38:39], s[40:41]
	v_or_b32_e32 v4, v4, v109
	v_cndmask_b32_e64 v3, v47, v3, s[40:41]
	v_cndmask_b32_e64 v2, v46, v2, s[40:41]
	v_or_b32_e32 v4, v4, v107
	v_cmp_lt_u64_e64 s[40:41], v[2:3], v[82:83]
	v_or_b32_e32 v4, v4, v106
	s_and_b64 s[40:41], s[42:43], s[40:41]
	v_or_b32_e32 v4, v4, v1
	v_mbcnt_hi_u32_b32 v6, -1, v126
	v_cndmask_b32_e64 v3, v83, v3, s[40:41]
	v_cndmask_b32_e64 v2, v82, v2, s[40:41]
	v_and_b32_e32 v7, 1, v4
	v_and_b32_e32 v8, 15, v6
	v_cmp_eq_u32_e64 s[40:41], 1, v7
	v_mov_b32_dpp v4, v2 row_shr:1 row_mask:0xf bank_mask:0xf
	v_mov_b32_dpp v5, v3 row_shr:1 row_mask:0xf bank_mask:0xf
	;; [unrolled: 1-line block ×3, first 2 shown]
	v_cmp_ne_u32_e64 s[42:43], 0, v8
	v_mov_b32_e32 v9, v7
	s_and_saveexec_b64 s[44:45], s[42:43]
; %bb.201:
	v_and_b32_e32 v9, 1, v10
	v_cmp_lt_u64_e64 s[42:43], v[4:5], v[2:3]
	v_or_b32_e32 v7, v9, v7
	v_cndmask_b32_e64 v4, v2, v4, s[42:43]
	v_cndmask_b32_e64 v5, v3, v5, s[42:43]
	;; [unrolled: 1-line block ×4, first 2 shown]
	v_and_b32_e32 v9, 0xffff, v7
; %bb.202:
	s_or_b64 exec, exec, s[44:45]
	v_mov_b32_dpp v4, v2 row_shr:2 row_mask:0xf bank_mask:0xf
	v_mov_b32_dpp v5, v3 row_shr:2 row_mask:0xf bank_mask:0xf
	v_mov_b32_dpp v10, v9 row_shr:2 row_mask:0xf bank_mask:0xf
	v_cmp_lt_u32_e64 s[40:41], 1, v8
	s_and_saveexec_b64 s[44:45], s[40:41]
	s_cbranch_execz .LBB115_204
; %bb.203:
	v_and_b32_e32 v9, 1, v7
	v_cmp_eq_u32_e64 s[40:41], 1, v9
	v_and_b32_e32 v9, 1, v10
	v_cmp_eq_u32_e64 s[42:43], 1, v9
	s_or_b64 s[46:47], s[40:41], s[42:43]
	v_cmp_eq_u16_e64 s[40:41], 0, v7
	v_cmp_lt_u64_e64 s[42:43], v[4:5], v[2:3]
	v_cndmask_b32_e64 v10, 0, 1, s[46:47]
	s_and_b64 s[40:41], s[40:41], s[42:43]
	v_cndmask_b32_e64 v3, v3, v5, s[40:41]
	v_cndmask_b32_e64 v2, v2, v4, s[40:41]
	v_cndmask_b32_e64 v9, 0, 1, s[46:47]
	v_mov_b32_e32 v7, v10
.LBB115_204:
	s_or_b64 exec, exec, s[44:45]
	v_mov_b32_dpp v4, v2 row_shr:4 row_mask:0xf bank_mask:0xf
	v_mov_b32_dpp v5, v3 row_shr:4 row_mask:0xf bank_mask:0xf
	v_mov_b32_dpp v10, v9 row_shr:4 row_mask:0xf bank_mask:0xf
	v_cmp_lt_u32_e64 s[40:41], 3, v8
	s_and_saveexec_b64 s[44:45], s[40:41]
	s_cbranch_execz .LBB115_206
; %bb.205:
	v_and_b32_e32 v9, 1, v7
	v_cmp_eq_u32_e64 s[40:41], 1, v9
	v_and_b32_e32 v9, 1, v10
	v_cmp_eq_u32_e64 s[42:43], 1, v9
	s_or_b64 s[46:47], s[40:41], s[42:43]
	v_cmp_eq_u16_e64 s[40:41], 0, v7
	v_cmp_lt_u64_e64 s[42:43], v[4:5], v[2:3]
	v_cndmask_b32_e64 v10, 0, 1, s[46:47]
	s_and_b64 s[40:41], s[40:41], s[42:43]
	v_cndmask_b32_e64 v3, v3, v5, s[40:41]
	v_cndmask_b32_e64 v2, v2, v4, s[40:41]
	v_cndmask_b32_e64 v9, 0, 1, s[46:47]
	v_mov_b32_e32 v7, v10
.LBB115_206:
	;; [unrolled: 22-line block ×3, first 2 shown]
	s_or_b64 exec, exec, s[44:45]
	v_and_b32_e32 v10, 16, v6
	v_mov_b32_dpp v4, v2 row_bcast:15 row_mask:0xf bank_mask:0xf
	v_mov_b32_dpp v5, v3 row_bcast:15 row_mask:0xf bank_mask:0xf
	;; [unrolled: 1-line block ×3, first 2 shown]
	v_cmp_ne_u32_e64 s[40:41], 0, v10
	s_and_saveexec_b64 s[44:45], s[40:41]
	s_cbranch_execz .LBB115_210
; %bb.209:
	v_and_b32_e32 v9, 1, v7
	v_and_b32_e32 v8, 1, v8
	v_cmp_eq_u32_e64 s[40:41], 1, v9
	v_cmp_eq_u32_e64 s[42:43], 1, v8
	s_or_b64 s[46:47], s[40:41], s[42:43]
	v_cmp_eq_u16_e64 s[40:41], 0, v7
	v_cmp_lt_u64_e64 s[42:43], v[4:5], v[2:3]
	v_cndmask_b32_e64 v8, 0, 1, s[46:47]
	s_and_b64 s[40:41], s[40:41], s[42:43]
	v_cndmask_b32_e64 v3, v3, v5, s[40:41]
	v_cndmask_b32_e64 v2, v2, v4, s[40:41]
	v_cndmask_b32_e64 v9, 0, 1, s[46:47]
	v_mov_b32_e32 v7, v8
.LBB115_210:
	s_or_b64 exec, exec, s[44:45]
	v_mov_b32_dpp v4, v2 row_bcast:31 row_mask:0xf bank_mask:0xf
	v_mov_b32_dpp v5, v3 row_bcast:31 row_mask:0xf bank_mask:0xf
	;; [unrolled: 1-line block ×3, first 2 shown]
	v_cmp_lt_u32_e64 s[40:41], 31, v6
	s_and_saveexec_b64 s[44:45], s[40:41]
	s_cbranch_execz .LBB115_212
; %bb.211:
	v_and_b32_e32 v9, 1, v7
	v_and_b32_e32 v8, 1, v8
	v_cmp_eq_u32_e64 s[40:41], 1, v9
	v_cmp_eq_u32_e64 s[42:43], 1, v8
	s_or_b64 s[40:41], s[40:41], s[42:43]
	v_cndmask_b32_e64 v8, 0, 1, s[40:41]
	v_cmp_lt_u64_e64 s[40:41], v[4:5], v[2:3]
	v_cmp_eq_u16_e64 s[42:43], 0, v7
	v_cndmask_b32_e64 v5, v3, v5, s[40:41]
	s_and_b64 s[40:41], s[42:43], s[40:41]
	v_cndmask_b32_e64 v3, v3, v5, s[42:43]
	v_cndmask_b32_e64 v2, v2, v4, s[40:41]
	v_mov_b32_e32 v7, v8
.LBB115_212:
	s_or_b64 exec, exec, s[44:45]
	v_cmp_eq_u32_e64 s[40:41], 63, v0
	s_and_saveexec_b64 s[42:43], s[40:41]
	s_cbranch_execz .LBB115_214
; %bb.213:
	v_mov_b32_e32 v4, 0
	ds_write_b64 v4, v[2:3]
	ds_write_b8 v4, v7 offset:8
.LBB115_214:
	s_or_b64 exec, exec, s[42:43]
	v_cmp_eq_u16_e64 s[40:41], 0, v7
	s_waitcnt lgkmcnt(0)
	v_cmp_lt_u64_e64 s[42:43], s[58:59], v[2:3]
	v_mov_b32_e32 v4, s59
	s_and_b64 s[40:41], s[40:41], s[42:43]
	v_mov_b32_e32 v5, s58
	v_add_u32_e32 v7, -1, v6
	v_and_b32_e32 v8, 64, v6
	v_cndmask_b32_e64 v3, v3, v4, s[40:41]
	v_cndmask_b32_e64 v2, v2, v5, s[40:41]
	v_cmp_lt_i32_e64 s[40:41], v7, v8
	v_cndmask_b32_e64 v7, v7, v6, s[40:41]
	v_lshlrev_b32_e32 v7, 2, v7
	ds_bpermute_b32 v3, v7, v3
	ds_bpermute_b32 v2, v7, v2
	v_cmp_eq_u32_e64 s[42:43], 0, v6
	v_cmp_eq_u32_e64 s[40:41], 0, v0
	s_or_b64 s[42:43], s[40:41], s[42:43]
	s_waitcnt lgkmcnt(1)
	v_cndmask_b32_e64 v85, v3, v4, s[42:43]
	s_waitcnt lgkmcnt(0)
	v_cndmask_b32_e64 v84, v2, v5, s[42:43]
	v_mov_b32_e32 v2, 0
	v_cmp_lt_u64_e64 s[42:43], v[84:85], v[42:43]
	v_cmp_eq_u16_sdwa s[44:45], v1, v2 src0_sel:BYTE_0 src1_sel:DWORD
	v_cndmask_b32_e64 v3, v43, v85, s[42:43]
	s_and_b64 s[42:43], s[44:45], s[42:43]
	v_cndmask_b32_e64 v5, v43, v3, s[44:45]
	v_cndmask_b32_e64 v4, v42, v84, s[42:43]
	v_cmp_lt_u64_e64 s[42:43], v[4:5], v[44:45]
	v_cndmask_b32_e64 v1, v45, v5, s[42:43]
	v_cndmask_b32_e32 v7, v45, v1, vcc
	s_and_b64 vcc, vcc, s[42:43]
	v_cndmask_b32_e32 v6, v44, v4, vcc
	v_cmp_lt_u64_e32 vcc, v[6:7], v[48:49]
	v_cndmask_b32_e32 v1, v49, v7, vcc
	s_and_b64 vcc, s[2:3], vcc
	v_cndmask_b32_e64 v87, v49, v1, s[2:3]
	v_cndmask_b32_e32 v86, v48, v6, vcc
	v_cmp_lt_u64_e32 vcc, v[86:87], v[50:51]
	v_cndmask_b32_e32 v1, v51, v87, vcc
	s_and_b64 vcc, s[4:5], vcc
	v_cndmask_b32_e64 v11, v51, v1, s[4:5]
	;; [unrolled: 5-line block ×18, first 2 shown]
	v_cndmask_b32_e32 v104, v46, v102, vcc
	s_waitcnt lgkmcnt(0)
	; wave barrier
	s_and_saveexec_b64 s[4:5], s[40:41]
	s_cbranch_execz .LBB115_216
; %bb.215:
	ds_read_b64 v[8:9], v2
	ds_read_u8 v1, v2 offset:8
	v_mov_b32_e32 v3, s59
	v_pk_mov_b32 v[84:85], s[58:59], s[58:59] op_sel:[0,1]
	s_waitcnt lgkmcnt(1)
	v_cmp_lt_u64_e32 vcc, s[58:59], v[8:9]
	v_cndmask_b32_e32 v3, v9, v3, vcc
	s_waitcnt lgkmcnt(0)
	v_cmp_eq_u16_e64 s[2:3], 0, v1
	v_cndmask_b32_e64 v9, v9, v3, s[2:3]
	v_mov_b32_e32 v3, s58
	s_and_b64 vcc, s[2:3], vcc
	v_cndmask_b32_e32 v8, v8, v3, vcc
	global_store_dwordx2 v2, v[8:9], s[50:51] offset:1024
	global_store_byte v2, v1, s[50:51] offset:1032
	v_mov_b32_e32 v1, 2
	s_waitcnt vmcnt(0)
	buffer_wbinvl1_vol
	global_store_byte v2, v1, s[52:53] offset:64
.LBB115_216:
	s_or_b64 exec, exec, s[4:5]
.LBB115_217:
	s_add_u32 s2, s56, s60
	s_addc_u32 s3, s57, s61
	s_and_b64 vcc, exec, s[0:1]
	v_lshlrev_b32_e32 v8, 3, v0
	s_cbranch_vccz .LBB115_259
; %bb.218:
	s_movk_i32 s0, 0xa8
	v_mul_i32_i24_e32 v12, 0xffffff60, v0
	v_mul_u32_u24_e32 v9, 0xa8, v0
	v_mad_u32_u24 v2, v0, s0, v12
	s_waitcnt lgkmcnt(0)
	; wave barrier
	ds_write2_b64 v9, v[84:85], v[4:5] offset1:1
	ds_write2_b64 v9, v[6:7], v[86:87] offset0:2 offset1:3
	ds_write2_b64 v9, v[10:11], v[88:89] offset0:4 offset1:5
	;; [unrolled: 1-line block ×9, first 2 shown]
	ds_write_b64 v9, v[104:105] offset:160
	s_waitcnt lgkmcnt(0)
	; wave barrier
	s_waitcnt lgkmcnt(0)
	ds_read2st64_b64 v[76:79], v2 offset0:1 offset1:2
	ds_read2st64_b64 v[72:75], v2 offset0:3 offset1:4
	;; [unrolled: 1-line block ×10, first 2 shown]
	v_mov_b32_e32 v3, s3
	v_add_co_u32_e32 v2, vcc, s2, v8
	s_add_i32 s33, s33, s54
	v_addc_co_u32_e32 v3, vcc, 0, v3, vcc
	v_mov_b32_e32 v1, 0
	v_cmp_gt_u32_e32 vcc, s33, v0
	s_and_saveexec_b64 s[0:1], vcc
	s_cbranch_execz .LBB115_220
; %bb.219:
	v_add_u32_e32 v9, v9, v12
	ds_read_b64 v[12:13], v9
	s_waitcnt lgkmcnt(0)
	global_store_dwordx2 v[2:3], v[12:13], off
.LBB115_220:
	s_or_b64 exec, exec, s[0:1]
	v_or_b32_e32 v9, 64, v0
	v_cmp_gt_u32_e32 vcc, s33, v9
	s_and_saveexec_b64 s[0:1], vcc
	s_cbranch_execz .LBB115_222
; %bb.221:
	s_waitcnt lgkmcnt(9)
	global_store_dwordx2 v[2:3], v[76:77], off offset:512
.LBB115_222:
	s_or_b64 exec, exec, s[0:1]
	v_or_b32_e32 v9, 0x80, v0
	v_cmp_gt_u32_e32 vcc, s33, v9
	s_and_saveexec_b64 s[0:1], vcc
	s_cbranch_execz .LBB115_224
; %bb.223:
	s_waitcnt lgkmcnt(9)
	global_store_dwordx2 v[2:3], v[78:79], off offset:1024
.LBB115_224:
	;; [unrolled: 9-line block ×7, first 2 shown]
	s_or_b64 exec, exec, s[0:1]
	v_or_b32_e32 v9, 0x200, v0
	v_cmp_gt_u32_e32 vcc, s33, v9
	s_and_saveexec_b64 s[0:1], vcc
	s_cbranch_execz .LBB115_236
; %bb.235:
	v_add_co_u32_e32 v12, vcc, 0x1000, v2
	v_addc_co_u32_e32 v13, vcc, 0, v3, vcc
	s_waitcnt lgkmcnt(6)
	global_store_dwordx2 v[12:13], v[66:67], off
.LBB115_236:
	s_or_b64 exec, exec, s[0:1]
	v_or_b32_e32 v9, 0x240, v0
	v_cmp_gt_u32_e32 vcc, s33, v9
	s_and_saveexec_b64 s[0:1], vcc
	s_cbranch_execz .LBB115_238
; %bb.237:
	v_add_co_u32_e32 v12, vcc, 0x1000, v2
	v_addc_co_u32_e32 v13, vcc, 0, v3, vcc
	s_waitcnt lgkmcnt(5)
	global_store_dwordx2 v[12:13], v[60:61], off offset:512
.LBB115_238:
	s_or_b64 exec, exec, s[0:1]
	v_or_b32_e32 v9, 0x280, v0
	v_cmp_gt_u32_e32 vcc, s33, v9
	s_and_saveexec_b64 s[0:1], vcc
	s_cbranch_execz .LBB115_240
; %bb.239:
	v_add_co_u32_e32 v12, vcc, 0x1000, v2
	v_addc_co_u32_e32 v13, vcc, 0, v3, vcc
	s_waitcnt lgkmcnt(5)
	global_store_dwordx2 v[12:13], v[62:63], off offset:1024
.LBB115_240:
	;; [unrolled: 11-line block ×7, first 2 shown]
	s_or_b64 exec, exec, s[0:1]
	v_or_b32_e32 v9, 0x400, v0
	v_cmp_gt_u32_e32 vcc, s33, v9
	s_and_saveexec_b64 s[0:1], vcc
	s_cbranch_execz .LBB115_252
; %bb.251:
	v_add_co_u32_e32 v12, vcc, 0x2000, v2
	v_addc_co_u32_e32 v13, vcc, 0, v3, vcc
	s_waitcnt lgkmcnt(2)
	global_store_dwordx2 v[12:13], v[50:51], off
.LBB115_252:
	s_or_b64 exec, exec, s[0:1]
	v_or_b32_e32 v9, 0x440, v0
	v_cmp_gt_u32_e32 vcc, s33, v9
	s_and_saveexec_b64 s[0:1], vcc
	s_cbranch_execz .LBB115_254
; %bb.253:
	v_add_co_u32_e32 v12, vcc, 0x2000, v2
	v_addc_co_u32_e32 v13, vcc, 0, v3, vcc
	s_waitcnt lgkmcnt(1)
	global_store_dwordx2 v[12:13], v[44:45], off offset:512
.LBB115_254:
	s_or_b64 exec, exec, s[0:1]
	v_or_b32_e32 v9, 0x480, v0
	v_cmp_gt_u32_e32 vcc, s33, v9
	s_and_saveexec_b64 s[0:1], vcc
	s_cbranch_execz .LBB115_256
; %bb.255:
	v_add_co_u32_e32 v12, vcc, 0x2000, v2
	v_addc_co_u32_e32 v13, vcc, 0, v3, vcc
	s_waitcnt lgkmcnt(1)
	global_store_dwordx2 v[12:13], v[46:47], off offset:1024
.LBB115_256:
	;; [unrolled: 11-line block ×3, first 2 shown]
	s_or_b64 exec, exec, s[0:1]
	v_or_b32_e32 v2, 0x500, v0
	v_cmp_gt_u32_e64 s[0:1], s33, v2
	s_branch .LBB115_261
.LBB115_259:
	s_mov_b64 s[0:1], 0
                                        ; implicit-def: $vgpr42_vgpr43
	s_cbranch_execz .LBB115_261
; %bb.260:
	s_movk_i32 s4, 0xa8
	v_mul_u32_u24_e32 v1, 0xa8, v0
	v_mul_i32_i24_e32 v2, 0xffffff60, v0
	s_waitcnt lgkmcnt(0)
	; wave barrier
	s_waitcnt lgkmcnt(0)
	ds_write2_b64 v1, v[84:85], v[4:5] offset1:1
	ds_write2_b64 v1, v[6:7], v[86:87] offset0:2 offset1:3
	ds_write2_b64 v1, v[10:11], v[88:89] offset0:4 offset1:5
	;; [unrolled: 1-line block ×9, first 2 shown]
	ds_write_b64 v1, v[104:105] offset:160
	v_mad_u32_u24 v6, v0, s4, v2
	s_waitcnt lgkmcnt(0)
	; wave barrier
	s_waitcnt lgkmcnt(0)
	ds_read2st64_b64 v[2:5], v6 offset1:1
	ds_read2st64_b64 v[10:13], v6 offset0:2 offset1:3
	ds_read2st64_b64 v[14:17], v6 offset0:4 offset1:5
	;; [unrolled: 1-line block ×9, first 2 shown]
	ds_read_b64 v[42:43], v6 offset:10240
	v_mov_b32_e32 v6, s3
	v_add_co_u32_e32 v7, vcc, s2, v8
	v_addc_co_u32_e32 v6, vcc, 0, v6, vcc
	s_movk_i32 s4, 0x1000
	s_waitcnt lgkmcnt(10)
	global_store_dwordx2 v8, v[2:3], s[2:3]
	global_store_dwordx2 v8, v[4:5], s[2:3] offset:512
	s_waitcnt lgkmcnt(9)
	global_store_dwordx2 v8, v[10:11], s[2:3] offset:1024
	global_store_dwordx2 v8, v[12:13], s[2:3] offset:1536
	s_waitcnt lgkmcnt(8)
	global_store_dwordx2 v8, v[14:15], s[2:3] offset:2048
	;; [unrolled: 3-line block ×3, first 2 shown]
	global_store_dwordx2 v8, v[20:21], s[2:3] offset:3584
	v_add_co_u32_e32 v2, vcc, s4, v7
	v_addc_co_u32_e32 v3, vcc, 0, v6, vcc
	s_waitcnt lgkmcnt(6)
	global_store_dwordx2 v[2:3], v[22:23], off
	global_store_dwordx2 v[2:3], v[24:25], off offset:512
	s_waitcnt lgkmcnt(5)
	global_store_dwordx2 v[2:3], v[26:27], off offset:1024
	global_store_dwordx2 v[2:3], v[28:29], off offset:1536
	s_waitcnt lgkmcnt(4)
	global_store_dwordx2 v[2:3], v[30:31], off offset:2048
	global_store_dwordx2 v[2:3], v[32:33], off offset:2560
	s_waitcnt lgkmcnt(3)
	global_store_dwordx2 v[2:3], v[34:35], off offset:3072
	global_store_dwordx2 v[2:3], v[36:37], off offset:3584
	v_add_co_u32_e32 v2, vcc, 0x2000, v7
	v_mov_b32_e32 v1, 0
	v_addc_co_u32_e32 v3, vcc, 0, v6, vcc
	s_or_b64 s[0:1], s[0:1], exec
	s_waitcnt lgkmcnt(2)
	global_store_dwordx2 v[2:3], v[38:39], off
	global_store_dwordx2 v[2:3], v[40:41], off offset:512
	s_waitcnt lgkmcnt(1)
	global_store_dwordx2 v[2:3], v[44:45], off offset:1024
	global_store_dwordx2 v[2:3], v[46:47], off offset:1536
.LBB115_261:
	s_and_saveexec_b64 s[4:5], s[0:1]
	s_cbranch_execz .LBB115_263
; %bb.262:
	v_lshlrev_b64 v[0:1], 3, v[0:1]
	v_mov_b32_e32 v2, s3
	v_add_co_u32_e32 v0, vcc, s2, v0
	v_addc_co_u32_e32 v1, vcc, v2, v1, vcc
	v_add_co_u32_e32 v0, vcc, 0x2000, v0
	v_addc_co_u32_e32 v1, vcc, 0, v1, vcc
	s_waitcnt lgkmcnt(0)
	global_store_dwordx2 v[0:1], v[42:43], off offset:2048
	s_endpgm
.LBB115_263:
	s_endpgm
	.section	.rodata,"a",@progbits
	.p2align	6, 0x0
	.amdhsa_kernel _ZN7rocprim6detail25device_scan_by_key_kernelILNS0_25lookback_scan_determinismE0ELb1ENS0_26wrapped_scan_by_key_configINS_14default_configEiyEEPiN6hipcub22TransformInputIteratorIyNS7_6CastOpIyEEPylEESB_yNS7_8EqualityENS7_3MinENS0_19lookback_scan_stateINS_5tupleIJybEEELb0ELb0EEEyEEvT2_T3_T4_T5_T6_T7_T8_mmmPKNSG_IJT9_bEEE
		.amdhsa_group_segment_fixed_size 10752
		.amdhsa_private_segment_fixed_size 0
		.amdhsa_kernarg_size 104
		.amdhsa_user_sgpr_count 6
		.amdhsa_user_sgpr_private_segment_buffer 1
		.amdhsa_user_sgpr_dispatch_ptr 0
		.amdhsa_user_sgpr_queue_ptr 0
		.amdhsa_user_sgpr_kernarg_segment_ptr 1
		.amdhsa_user_sgpr_dispatch_id 0
		.amdhsa_user_sgpr_flat_scratch_init 0
		.amdhsa_user_sgpr_kernarg_preload_length 0
		.amdhsa_user_sgpr_kernarg_preload_offset 0
		.amdhsa_user_sgpr_private_segment_size 0
		.amdhsa_uses_dynamic_stack 0
		.amdhsa_system_sgpr_private_segment_wavefront_offset 0
		.amdhsa_system_sgpr_workgroup_id_x 1
		.amdhsa_system_sgpr_workgroup_id_y 0
		.amdhsa_system_sgpr_workgroup_id_z 0
		.amdhsa_system_sgpr_workgroup_info 0
		.amdhsa_system_vgpr_workitem_id 0
		.amdhsa_next_free_vgpr 128
		.amdhsa_next_free_sgpr 74
		.amdhsa_accum_offset 128
		.amdhsa_reserve_vcc 1
		.amdhsa_reserve_flat_scratch 0
		.amdhsa_float_round_mode_32 0
		.amdhsa_float_round_mode_16_64 0
		.amdhsa_float_denorm_mode_32 3
		.amdhsa_float_denorm_mode_16_64 3
		.amdhsa_dx10_clamp 1
		.amdhsa_ieee_mode 1
		.amdhsa_fp16_overflow 0
		.amdhsa_tg_split 0
		.amdhsa_exception_fp_ieee_invalid_op 0
		.amdhsa_exception_fp_denorm_src 0
		.amdhsa_exception_fp_ieee_div_zero 0
		.amdhsa_exception_fp_ieee_overflow 0
		.amdhsa_exception_fp_ieee_underflow 0
		.amdhsa_exception_fp_ieee_inexact 0
		.amdhsa_exception_int_div_zero 0
	.end_amdhsa_kernel
	.section	.text._ZN7rocprim6detail25device_scan_by_key_kernelILNS0_25lookback_scan_determinismE0ELb1ENS0_26wrapped_scan_by_key_configINS_14default_configEiyEEPiN6hipcub22TransformInputIteratorIyNS7_6CastOpIyEEPylEESB_yNS7_8EqualityENS7_3MinENS0_19lookback_scan_stateINS_5tupleIJybEEELb0ELb0EEEyEEvT2_T3_T4_T5_T6_T7_T8_mmmPKNSG_IJT9_bEEE,"axG",@progbits,_ZN7rocprim6detail25device_scan_by_key_kernelILNS0_25lookback_scan_determinismE0ELb1ENS0_26wrapped_scan_by_key_configINS_14default_configEiyEEPiN6hipcub22TransformInputIteratorIyNS7_6CastOpIyEEPylEESB_yNS7_8EqualityENS7_3MinENS0_19lookback_scan_stateINS_5tupleIJybEEELb0ELb0EEEyEEvT2_T3_T4_T5_T6_T7_T8_mmmPKNSG_IJT9_bEEE,comdat
.Lfunc_end115:
	.size	_ZN7rocprim6detail25device_scan_by_key_kernelILNS0_25lookback_scan_determinismE0ELb1ENS0_26wrapped_scan_by_key_configINS_14default_configEiyEEPiN6hipcub22TransformInputIteratorIyNS7_6CastOpIyEEPylEESB_yNS7_8EqualityENS7_3MinENS0_19lookback_scan_stateINS_5tupleIJybEEELb0ELb0EEEyEEvT2_T3_T4_T5_T6_T7_T8_mmmPKNSG_IJT9_bEEE, .Lfunc_end115-_ZN7rocprim6detail25device_scan_by_key_kernelILNS0_25lookback_scan_determinismE0ELb1ENS0_26wrapped_scan_by_key_configINS_14default_configEiyEEPiN6hipcub22TransformInputIteratorIyNS7_6CastOpIyEEPylEESB_yNS7_8EqualityENS7_3MinENS0_19lookback_scan_stateINS_5tupleIJybEEELb0ELb0EEEyEEvT2_T3_T4_T5_T6_T7_T8_mmmPKNSG_IJT9_bEEE
                                        ; -- End function
	.section	.AMDGPU.csdata,"",@progbits
; Kernel info:
; codeLenInByte = 16360
; NumSgprs: 78
; NumVgprs: 128
; NumAgprs: 0
; TotalNumVgprs: 128
; ScratchSize: 0
; MemoryBound: 0
; FloatMode: 240
; IeeeMode: 1
; LDSByteSize: 10752 bytes/workgroup (compile time only)
; SGPRBlocks: 9
; VGPRBlocks: 15
; NumSGPRsForWavesPerEU: 78
; NumVGPRsForWavesPerEU: 128
; AccumOffset: 128
; Occupancy: 2
; WaveLimiterHint : 1
; COMPUTE_PGM_RSRC2:SCRATCH_EN: 0
; COMPUTE_PGM_RSRC2:USER_SGPR: 6
; COMPUTE_PGM_RSRC2:TRAP_HANDLER: 0
; COMPUTE_PGM_RSRC2:TGID_X_EN: 1
; COMPUTE_PGM_RSRC2:TGID_Y_EN: 0
; COMPUTE_PGM_RSRC2:TGID_Z_EN: 0
; COMPUTE_PGM_RSRC2:TIDIG_COMP_CNT: 0
; COMPUTE_PGM_RSRC3_GFX90A:ACCUM_OFFSET: 31
; COMPUTE_PGM_RSRC3_GFX90A:TG_SPLIT: 0
	.section	.text._ZN7rocprim6detail31init_lookback_scan_state_kernelINS0_19lookback_scan_stateIjLb1ELb1EEEEEvT_jjPNS4_10value_typeE,"axG",@progbits,_ZN7rocprim6detail31init_lookback_scan_state_kernelINS0_19lookback_scan_stateIjLb1ELb1EEEEEvT_jjPNS4_10value_typeE,comdat
	.protected	_ZN7rocprim6detail31init_lookback_scan_state_kernelINS0_19lookback_scan_stateIjLb1ELb1EEEEEvT_jjPNS4_10value_typeE ; -- Begin function _ZN7rocprim6detail31init_lookback_scan_state_kernelINS0_19lookback_scan_stateIjLb1ELb1EEEEEvT_jjPNS4_10value_typeE
	.globl	_ZN7rocprim6detail31init_lookback_scan_state_kernelINS0_19lookback_scan_stateIjLb1ELb1EEEEEvT_jjPNS4_10value_typeE
	.p2align	8
	.type	_ZN7rocprim6detail31init_lookback_scan_state_kernelINS0_19lookback_scan_stateIjLb1ELb1EEEEEvT_jjPNS4_10value_typeE,@function
_ZN7rocprim6detail31init_lookback_scan_state_kernelINS0_19lookback_scan_stateIjLb1ELb1EEEEEvT_jjPNS4_10value_typeE: ; @_ZN7rocprim6detail31init_lookback_scan_state_kernelINS0_19lookback_scan_stateIjLb1ELb1EEEEEvT_jjPNS4_10value_typeE
; %bb.0:
	s_load_dword s7, s[4:5], 0x24
	s_load_dwordx2 s[8:9], s[4:5], 0x10
	s_load_dwordx4 s[0:3], s[4:5], 0x0
	s_waitcnt lgkmcnt(0)
	s_and_b32 s4, s7, 0xffff
	s_mul_i32 s6, s6, s4
	s_cmp_eq_u64 s[8:9], 0
	v_add_u32_e32 v0, s6, v0
	s_cbranch_scc1 .LBB116_9
; %bb.1:
	s_cmp_lt_u32 s3, s2
	s_cselect_b32 s4, s3, 0
	s_mov_b32 s7, 0
	v_cmp_eq_u32_e32 vcc, s4, v0
	s_and_saveexec_b64 s[4:5], vcc
	s_cbranch_execz .LBB116_8
; %bb.2:
	s_add_i32 s6, s3, 64
	s_lshl_b64 s[6:7], s[6:7], 3
	s_add_u32 s6, s0, s6
	s_addc_u32 s7, s1, s7
	v_mov_b32_e32 v2, 0
	global_load_dwordx2 v[4:5], v2, s[6:7] glc
	s_waitcnt vmcnt(0)
	v_and_b32_e32 v3, 0xff, v5
	v_cmp_ne_u64_e32 vcc, 0, v[2:3]
	s_cbranch_vccnz .LBB116_7
; %bb.3:
	s_mov_b32 s3, 1
.LBB116_4:                              ; =>This Loop Header: Depth=1
                                        ;     Child Loop BB116_5 Depth 2
	s_max_u32 s10, s3, 1
.LBB116_5:                              ;   Parent Loop BB116_4 Depth=1
                                        ; =>  This Inner Loop Header: Depth=2
	s_add_i32 s10, s10, -1
	s_cmp_eq_u32 s10, 0
	s_sleep 1
	s_cbranch_scc0 .LBB116_5
; %bb.6:                                ;   in Loop: Header=BB116_4 Depth=1
	global_load_dwordx2 v[4:5], v2, s[6:7] glc
	s_cmp_lt_u32 s3, 32
	s_cselect_b64 s[10:11], -1, 0
	s_cmp_lg_u64 s[10:11], 0
	s_addc_u32 s3, s3, 0
	s_waitcnt vmcnt(0)
	v_and_b32_e32 v3, 0xff, v5
	v_cmp_ne_u64_e32 vcc, 0, v[2:3]
	s_cbranch_vccz .LBB116_4
.LBB116_7:
	v_mov_b32_e32 v1, 0
	global_store_dword v1, v4, s[8:9]
.LBB116_8:
	s_or_b64 exec, exec, s[4:5]
.LBB116_9:
	v_cmp_gt_u32_e32 vcc, s2, v0
	s_and_saveexec_b64 s[2:3], vcc
	s_cbranch_execnz .LBB116_12
; %bb.10:
	s_or_b64 exec, exec, s[2:3]
	v_cmp_gt_u32_e32 vcc, 64, v0
	s_and_saveexec_b64 s[2:3], vcc
	s_cbranch_execnz .LBB116_13
.LBB116_11:
	s_endpgm
.LBB116_12:
	v_add_u32_e32 v2, 64, v0
	v_mov_b32_e32 v3, 0
	v_lshlrev_b64 v[4:5], 3, v[2:3]
	v_mov_b32_e32 v1, s1
	v_add_co_u32_e32 v4, vcc, s0, v4
	v_addc_co_u32_e32 v5, vcc, v1, v5, vcc
	v_mov_b32_e32 v2, v3
	global_store_dwordx2 v[4:5], v[2:3], off
	s_or_b64 exec, exec, s[2:3]
	v_cmp_gt_u32_e32 vcc, 64, v0
	s_and_saveexec_b64 s[2:3], vcc
	s_cbranch_execz .LBB116_11
.LBB116_13:
	v_mov_b32_e32 v1, 0
	v_lshlrev_b64 v[2:3], 3, v[0:1]
	v_mov_b32_e32 v0, s1
	v_add_co_u32_e32 v2, vcc, s0, v2
	v_addc_co_u32_e32 v3, vcc, v0, v3, vcc
	v_mov_b32_e32 v5, 0xff
	v_mov_b32_e32 v4, v1
	global_store_dwordx2 v[2:3], v[4:5], off
	s_endpgm
	.section	.rodata,"a",@progbits
	.p2align	6, 0x0
	.amdhsa_kernel _ZN7rocprim6detail31init_lookback_scan_state_kernelINS0_19lookback_scan_stateIjLb1ELb1EEEEEvT_jjPNS4_10value_typeE
		.amdhsa_group_segment_fixed_size 0
		.amdhsa_private_segment_fixed_size 0
		.amdhsa_kernarg_size 280
		.amdhsa_user_sgpr_count 6
		.amdhsa_user_sgpr_private_segment_buffer 1
		.amdhsa_user_sgpr_dispatch_ptr 0
		.amdhsa_user_sgpr_queue_ptr 0
		.amdhsa_user_sgpr_kernarg_segment_ptr 1
		.amdhsa_user_sgpr_dispatch_id 0
		.amdhsa_user_sgpr_flat_scratch_init 0
		.amdhsa_user_sgpr_kernarg_preload_length 0
		.amdhsa_user_sgpr_kernarg_preload_offset 0
		.amdhsa_user_sgpr_private_segment_size 0
		.amdhsa_uses_dynamic_stack 0
		.amdhsa_system_sgpr_private_segment_wavefront_offset 0
		.amdhsa_system_sgpr_workgroup_id_x 1
		.amdhsa_system_sgpr_workgroup_id_y 0
		.amdhsa_system_sgpr_workgroup_id_z 0
		.amdhsa_system_sgpr_workgroup_info 0
		.amdhsa_system_vgpr_workitem_id 0
		.amdhsa_next_free_vgpr 6
		.amdhsa_next_free_sgpr 12
		.amdhsa_accum_offset 8
		.amdhsa_reserve_vcc 1
		.amdhsa_reserve_flat_scratch 0
		.amdhsa_float_round_mode_32 0
		.amdhsa_float_round_mode_16_64 0
		.amdhsa_float_denorm_mode_32 3
		.amdhsa_float_denorm_mode_16_64 3
		.amdhsa_dx10_clamp 1
		.amdhsa_ieee_mode 1
		.amdhsa_fp16_overflow 0
		.amdhsa_tg_split 0
		.amdhsa_exception_fp_ieee_invalid_op 0
		.amdhsa_exception_fp_denorm_src 0
		.amdhsa_exception_fp_ieee_div_zero 0
		.amdhsa_exception_fp_ieee_overflow 0
		.amdhsa_exception_fp_ieee_underflow 0
		.amdhsa_exception_fp_ieee_inexact 0
		.amdhsa_exception_int_div_zero 0
	.end_amdhsa_kernel
	.section	.text._ZN7rocprim6detail31init_lookback_scan_state_kernelINS0_19lookback_scan_stateIjLb1ELb1EEEEEvT_jjPNS4_10value_typeE,"axG",@progbits,_ZN7rocprim6detail31init_lookback_scan_state_kernelINS0_19lookback_scan_stateIjLb1ELb1EEEEEvT_jjPNS4_10value_typeE,comdat
.Lfunc_end116:
	.size	_ZN7rocprim6detail31init_lookback_scan_state_kernelINS0_19lookback_scan_stateIjLb1ELb1EEEEEvT_jjPNS4_10value_typeE, .Lfunc_end116-_ZN7rocprim6detail31init_lookback_scan_state_kernelINS0_19lookback_scan_stateIjLb1ELb1EEEEEvT_jjPNS4_10value_typeE
                                        ; -- End function
	.section	.AMDGPU.csdata,"",@progbits
; Kernel info:
; codeLenInByte = 344
; NumSgprs: 16
; NumVgprs: 6
; NumAgprs: 0
; TotalNumVgprs: 6
; ScratchSize: 0
; MemoryBound: 0
; FloatMode: 240
; IeeeMode: 1
; LDSByteSize: 0 bytes/workgroup (compile time only)
; SGPRBlocks: 1
; VGPRBlocks: 0
; NumSGPRsForWavesPerEU: 16
; NumVGPRsForWavesPerEU: 6
; AccumOffset: 8
; Occupancy: 8
; WaveLimiterHint : 0
; COMPUTE_PGM_RSRC2:SCRATCH_EN: 0
; COMPUTE_PGM_RSRC2:USER_SGPR: 6
; COMPUTE_PGM_RSRC2:TRAP_HANDLER: 0
; COMPUTE_PGM_RSRC2:TGID_X_EN: 1
; COMPUTE_PGM_RSRC2:TGID_Y_EN: 0
; COMPUTE_PGM_RSRC2:TGID_Z_EN: 0
; COMPUTE_PGM_RSRC2:TIDIG_COMP_CNT: 0
; COMPUTE_PGM_RSRC3_GFX90A:ACCUM_OFFSET: 1
; COMPUTE_PGM_RSRC3_GFX90A:TG_SPLIT: 0
	.section	.text._ZN7rocprim6detail31init_lookback_scan_state_kernelINS0_19lookback_scan_stateIjLb0ELb1EEEEEvT_jjPNS4_10value_typeE,"axG",@progbits,_ZN7rocprim6detail31init_lookback_scan_state_kernelINS0_19lookback_scan_stateIjLb0ELb1EEEEEvT_jjPNS4_10value_typeE,comdat
	.protected	_ZN7rocprim6detail31init_lookback_scan_state_kernelINS0_19lookback_scan_stateIjLb0ELb1EEEEEvT_jjPNS4_10value_typeE ; -- Begin function _ZN7rocprim6detail31init_lookback_scan_state_kernelINS0_19lookback_scan_stateIjLb0ELb1EEEEEvT_jjPNS4_10value_typeE
	.globl	_ZN7rocprim6detail31init_lookback_scan_state_kernelINS0_19lookback_scan_stateIjLb0ELb1EEEEEvT_jjPNS4_10value_typeE
	.p2align	8
	.type	_ZN7rocprim6detail31init_lookback_scan_state_kernelINS0_19lookback_scan_stateIjLb0ELb1EEEEEvT_jjPNS4_10value_typeE,@function
_ZN7rocprim6detail31init_lookback_scan_state_kernelINS0_19lookback_scan_stateIjLb0ELb1EEEEEvT_jjPNS4_10value_typeE: ; @_ZN7rocprim6detail31init_lookback_scan_state_kernelINS0_19lookback_scan_stateIjLb0ELb1EEEEEvT_jjPNS4_10value_typeE
; %bb.0:
	s_load_dword s7, s[4:5], 0x24
	s_load_dwordx2 s[8:9], s[4:5], 0x10
	s_load_dwordx4 s[0:3], s[4:5], 0x0
	s_waitcnt lgkmcnt(0)
	s_and_b32 s4, s7, 0xffff
	s_mul_i32 s6, s6, s4
	s_cmp_eq_u64 s[8:9], 0
	v_add_u32_e32 v0, s6, v0
	s_cbranch_scc1 .LBB117_6
; %bb.1:
	s_cmp_lt_u32 s3, s2
	s_cselect_b32 s4, s3, 0
	s_mov_b32 s7, 0
	v_cmp_eq_u32_e32 vcc, s4, v0
	s_and_saveexec_b64 s[4:5], vcc
	s_cbranch_execz .LBB117_5
; %bb.2:
	s_add_i32 s6, s3, 64
	s_lshl_b64 s[6:7], s[6:7], 3
	s_add_u32 s6, s0, s6
	s_addc_u32 s7, s1, s7
	v_mov_b32_e32 v4, 0
	global_load_dwordx2 v[2:3], v4, s[6:7] glc
	s_waitcnt vmcnt(0)
	v_and_b32_e32 v5, 0xff, v3
	v_cmp_ne_u64_e32 vcc, 0, v[4:5]
	s_cbranch_vccnz .LBB117_4
.LBB117_3:                              ; =>This Inner Loop Header: Depth=1
	global_load_dwordx2 v[2:3], v4, s[6:7] glc
	s_waitcnt vmcnt(0)
	v_and_b32_e32 v5, 0xff, v3
	v_cmp_eq_u64_e32 vcc, 0, v[4:5]
	s_cbranch_vccnz .LBB117_3
.LBB117_4:
	v_mov_b32_e32 v1, 0
	global_store_dword v1, v2, s[8:9]
.LBB117_5:
	s_or_b64 exec, exec, s[4:5]
.LBB117_6:
	v_cmp_gt_u32_e32 vcc, s2, v0
	s_and_saveexec_b64 s[2:3], vcc
	s_cbranch_execnz .LBB117_9
; %bb.7:
	s_or_b64 exec, exec, s[2:3]
	v_cmp_gt_u32_e32 vcc, 64, v0
	s_and_saveexec_b64 s[2:3], vcc
	s_cbranch_execnz .LBB117_10
.LBB117_8:
	s_endpgm
.LBB117_9:
	v_add_u32_e32 v2, 64, v0
	v_mov_b32_e32 v3, 0
	v_lshlrev_b64 v[4:5], 3, v[2:3]
	v_mov_b32_e32 v1, s1
	v_add_co_u32_e32 v4, vcc, s0, v4
	v_addc_co_u32_e32 v5, vcc, v1, v5, vcc
	v_mov_b32_e32 v2, v3
	global_store_dwordx2 v[4:5], v[2:3], off
	s_or_b64 exec, exec, s[2:3]
	v_cmp_gt_u32_e32 vcc, 64, v0
	s_and_saveexec_b64 s[2:3], vcc
	s_cbranch_execz .LBB117_8
.LBB117_10:
	v_mov_b32_e32 v1, 0
	v_lshlrev_b64 v[2:3], 3, v[0:1]
	v_mov_b32_e32 v0, s1
	v_add_co_u32_e32 v2, vcc, s0, v2
	v_addc_co_u32_e32 v3, vcc, v0, v3, vcc
	v_mov_b32_e32 v5, 0xff
	v_mov_b32_e32 v4, v1
	global_store_dwordx2 v[2:3], v[4:5], off
	s_endpgm
	.section	.rodata,"a",@progbits
	.p2align	6, 0x0
	.amdhsa_kernel _ZN7rocprim6detail31init_lookback_scan_state_kernelINS0_19lookback_scan_stateIjLb0ELb1EEEEEvT_jjPNS4_10value_typeE
		.amdhsa_group_segment_fixed_size 0
		.amdhsa_private_segment_fixed_size 0
		.amdhsa_kernarg_size 280
		.amdhsa_user_sgpr_count 6
		.amdhsa_user_sgpr_private_segment_buffer 1
		.amdhsa_user_sgpr_dispatch_ptr 0
		.amdhsa_user_sgpr_queue_ptr 0
		.amdhsa_user_sgpr_kernarg_segment_ptr 1
		.amdhsa_user_sgpr_dispatch_id 0
		.amdhsa_user_sgpr_flat_scratch_init 0
		.amdhsa_user_sgpr_kernarg_preload_length 0
		.amdhsa_user_sgpr_kernarg_preload_offset 0
		.amdhsa_user_sgpr_private_segment_size 0
		.amdhsa_uses_dynamic_stack 0
		.amdhsa_system_sgpr_private_segment_wavefront_offset 0
		.amdhsa_system_sgpr_workgroup_id_x 1
		.amdhsa_system_sgpr_workgroup_id_y 0
		.amdhsa_system_sgpr_workgroup_id_z 0
		.amdhsa_system_sgpr_workgroup_info 0
		.amdhsa_system_vgpr_workitem_id 0
		.amdhsa_next_free_vgpr 6
		.amdhsa_next_free_sgpr 10
		.amdhsa_accum_offset 8
		.amdhsa_reserve_vcc 1
		.amdhsa_reserve_flat_scratch 0
		.amdhsa_float_round_mode_32 0
		.amdhsa_float_round_mode_16_64 0
		.amdhsa_float_denorm_mode_32 3
		.amdhsa_float_denorm_mode_16_64 3
		.amdhsa_dx10_clamp 1
		.amdhsa_ieee_mode 1
		.amdhsa_fp16_overflow 0
		.amdhsa_tg_split 0
		.amdhsa_exception_fp_ieee_invalid_op 0
		.amdhsa_exception_fp_denorm_src 0
		.amdhsa_exception_fp_ieee_div_zero 0
		.amdhsa_exception_fp_ieee_overflow 0
		.amdhsa_exception_fp_ieee_underflow 0
		.amdhsa_exception_fp_ieee_inexact 0
		.amdhsa_exception_int_div_zero 0
	.end_amdhsa_kernel
	.section	.text._ZN7rocprim6detail31init_lookback_scan_state_kernelINS0_19lookback_scan_stateIjLb0ELb1EEEEEvT_jjPNS4_10value_typeE,"axG",@progbits,_ZN7rocprim6detail31init_lookback_scan_state_kernelINS0_19lookback_scan_stateIjLb0ELb1EEEEEvT_jjPNS4_10value_typeE,comdat
.Lfunc_end117:
	.size	_ZN7rocprim6detail31init_lookback_scan_state_kernelINS0_19lookback_scan_stateIjLb0ELb1EEEEEvT_jjPNS4_10value_typeE, .Lfunc_end117-_ZN7rocprim6detail31init_lookback_scan_state_kernelINS0_19lookback_scan_stateIjLb0ELb1EEEEEvT_jjPNS4_10value_typeE
                                        ; -- End function
	.section	.AMDGPU.csdata,"",@progbits
; Kernel info:
; codeLenInByte = 304
; NumSgprs: 14
; NumVgprs: 6
; NumAgprs: 0
; TotalNumVgprs: 6
; ScratchSize: 0
; MemoryBound: 0
; FloatMode: 240
; IeeeMode: 1
; LDSByteSize: 0 bytes/workgroup (compile time only)
; SGPRBlocks: 1
; VGPRBlocks: 0
; NumSGPRsForWavesPerEU: 14
; NumVGPRsForWavesPerEU: 6
; AccumOffset: 8
; Occupancy: 8
; WaveLimiterHint : 0
; COMPUTE_PGM_RSRC2:SCRATCH_EN: 0
; COMPUTE_PGM_RSRC2:USER_SGPR: 6
; COMPUTE_PGM_RSRC2:TRAP_HANDLER: 0
; COMPUTE_PGM_RSRC2:TGID_X_EN: 1
; COMPUTE_PGM_RSRC2:TGID_Y_EN: 0
; COMPUTE_PGM_RSRC2:TGID_Z_EN: 0
; COMPUTE_PGM_RSRC2:TIDIG_COMP_CNT: 0
; COMPUTE_PGM_RSRC3_GFX90A:ACCUM_OFFSET: 1
; COMPUTE_PGM_RSRC3_GFX90A:TG_SPLIT: 0
	.section	.text._ZN7rocprim6detail20lookback_scan_kernelILNS0_25lookback_scan_determinismE0ELb0ENS0_19wrapped_scan_configINS_14default_configEjEEN6hipcub21CountingInputIteratorIjlEEN10test_utils21single_index_iteratorIjEENS6_3SumEjjNS0_19lookback_scan_stateIjLb1ELb1EEEEEvT2_T3_mT5_T4_T7_jPT6_SL_bb,"axG",@progbits,_ZN7rocprim6detail20lookback_scan_kernelILNS0_25lookback_scan_determinismE0ELb0ENS0_19wrapped_scan_configINS_14default_configEjEEN6hipcub21CountingInputIteratorIjlEEN10test_utils21single_index_iteratorIjEENS6_3SumEjjNS0_19lookback_scan_stateIjLb1ELb1EEEEEvT2_T3_mT5_T4_T7_jPT6_SL_bb,comdat
	.protected	_ZN7rocprim6detail20lookback_scan_kernelILNS0_25lookback_scan_determinismE0ELb0ENS0_19wrapped_scan_configINS_14default_configEjEEN6hipcub21CountingInputIteratorIjlEEN10test_utils21single_index_iteratorIjEENS6_3SumEjjNS0_19lookback_scan_stateIjLb1ELb1EEEEEvT2_T3_mT5_T4_T7_jPT6_SL_bb ; -- Begin function _ZN7rocprim6detail20lookback_scan_kernelILNS0_25lookback_scan_determinismE0ELb0ENS0_19wrapped_scan_configINS_14default_configEjEEN6hipcub21CountingInputIteratorIjlEEN10test_utils21single_index_iteratorIjEENS6_3SumEjjNS0_19lookback_scan_stateIjLb1ELb1EEEEEvT2_T3_mT5_T4_T7_jPT6_SL_bb
	.globl	_ZN7rocprim6detail20lookback_scan_kernelILNS0_25lookback_scan_determinismE0ELb0ENS0_19wrapped_scan_configINS_14default_configEjEEN6hipcub21CountingInputIteratorIjlEEN10test_utils21single_index_iteratorIjEENS6_3SumEjjNS0_19lookback_scan_stateIjLb1ELb1EEEEEvT2_T3_mT5_T4_T7_jPT6_SL_bb
	.p2align	8
	.type	_ZN7rocprim6detail20lookback_scan_kernelILNS0_25lookback_scan_determinismE0ELb0ENS0_19wrapped_scan_configINS_14default_configEjEEN6hipcub21CountingInputIteratorIjlEEN10test_utils21single_index_iteratorIjEENS6_3SumEjjNS0_19lookback_scan_stateIjLb1ELb1EEEEEvT2_T3_mT5_T4_T7_jPT6_SL_bb,@function
_ZN7rocprim6detail20lookback_scan_kernelILNS0_25lookback_scan_determinismE0ELb0ENS0_19wrapped_scan_configINS_14default_configEjEEN6hipcub21CountingInputIteratorIjlEEN10test_utils21single_index_iteratorIjEENS6_3SumEjjNS0_19lookback_scan_stateIjLb1ELb1EEEEEvT2_T3_mT5_T4_T7_jPT6_SL_bb: ; @_ZN7rocprim6detail20lookback_scan_kernelILNS0_25lookback_scan_determinismE0ELb0ENS0_19wrapped_scan_configINS_14default_configEjEEN6hipcub21CountingInputIteratorIjlEEN10test_utils21single_index_iteratorIjEENS6_3SumEjjNS0_19lookback_scan_stateIjLb1ELb1EEEEEvT2_T3_mT5_T4_T7_jPT6_SL_bb
; %bb.0:
	s_endpgm
	.section	.rodata,"a",@progbits
	.p2align	6, 0x0
	.amdhsa_kernel _ZN7rocprim6detail20lookback_scan_kernelILNS0_25lookback_scan_determinismE0ELb0ENS0_19wrapped_scan_configINS_14default_configEjEEN6hipcub21CountingInputIteratorIjlEEN10test_utils21single_index_iteratorIjEENS6_3SumEjjNS0_19lookback_scan_stateIjLb1ELb1EEEEEvT2_T3_mT5_T4_T7_jPT6_SL_bb
		.amdhsa_group_segment_fixed_size 0
		.amdhsa_private_segment_fixed_size 0
		.amdhsa_kernarg_size 84
		.amdhsa_user_sgpr_count 6
		.amdhsa_user_sgpr_private_segment_buffer 1
		.amdhsa_user_sgpr_dispatch_ptr 0
		.amdhsa_user_sgpr_queue_ptr 0
		.amdhsa_user_sgpr_kernarg_segment_ptr 1
		.amdhsa_user_sgpr_dispatch_id 0
		.amdhsa_user_sgpr_flat_scratch_init 0
		.amdhsa_user_sgpr_kernarg_preload_length 0
		.amdhsa_user_sgpr_kernarg_preload_offset 0
		.amdhsa_user_sgpr_private_segment_size 0
		.amdhsa_uses_dynamic_stack 0
		.amdhsa_system_sgpr_private_segment_wavefront_offset 0
		.amdhsa_system_sgpr_workgroup_id_x 1
		.amdhsa_system_sgpr_workgroup_id_y 0
		.amdhsa_system_sgpr_workgroup_id_z 0
		.amdhsa_system_sgpr_workgroup_info 0
		.amdhsa_system_vgpr_workitem_id 0
		.amdhsa_next_free_vgpr 1
		.amdhsa_next_free_sgpr 0
		.amdhsa_accum_offset 4
		.amdhsa_reserve_vcc 0
		.amdhsa_reserve_flat_scratch 0
		.amdhsa_float_round_mode_32 0
		.amdhsa_float_round_mode_16_64 0
		.amdhsa_float_denorm_mode_32 3
		.amdhsa_float_denorm_mode_16_64 3
		.amdhsa_dx10_clamp 1
		.amdhsa_ieee_mode 1
		.amdhsa_fp16_overflow 0
		.amdhsa_tg_split 0
		.amdhsa_exception_fp_ieee_invalid_op 0
		.amdhsa_exception_fp_denorm_src 0
		.amdhsa_exception_fp_ieee_div_zero 0
		.amdhsa_exception_fp_ieee_overflow 0
		.amdhsa_exception_fp_ieee_underflow 0
		.amdhsa_exception_fp_ieee_inexact 0
		.amdhsa_exception_int_div_zero 0
	.end_amdhsa_kernel
	.section	.text._ZN7rocprim6detail20lookback_scan_kernelILNS0_25lookback_scan_determinismE0ELb0ENS0_19wrapped_scan_configINS_14default_configEjEEN6hipcub21CountingInputIteratorIjlEEN10test_utils21single_index_iteratorIjEENS6_3SumEjjNS0_19lookback_scan_stateIjLb1ELb1EEEEEvT2_T3_mT5_T4_T7_jPT6_SL_bb,"axG",@progbits,_ZN7rocprim6detail20lookback_scan_kernelILNS0_25lookback_scan_determinismE0ELb0ENS0_19wrapped_scan_configINS_14default_configEjEEN6hipcub21CountingInputIteratorIjlEEN10test_utils21single_index_iteratorIjEENS6_3SumEjjNS0_19lookback_scan_stateIjLb1ELb1EEEEEvT2_T3_mT5_T4_T7_jPT6_SL_bb,comdat
.Lfunc_end118:
	.size	_ZN7rocprim6detail20lookback_scan_kernelILNS0_25lookback_scan_determinismE0ELb0ENS0_19wrapped_scan_configINS_14default_configEjEEN6hipcub21CountingInputIteratorIjlEEN10test_utils21single_index_iteratorIjEENS6_3SumEjjNS0_19lookback_scan_stateIjLb1ELb1EEEEEvT2_T3_mT5_T4_T7_jPT6_SL_bb, .Lfunc_end118-_ZN7rocprim6detail20lookback_scan_kernelILNS0_25lookback_scan_determinismE0ELb0ENS0_19wrapped_scan_configINS_14default_configEjEEN6hipcub21CountingInputIteratorIjlEEN10test_utils21single_index_iteratorIjEENS6_3SumEjjNS0_19lookback_scan_stateIjLb1ELb1EEEEEvT2_T3_mT5_T4_T7_jPT6_SL_bb
                                        ; -- End function
	.section	.AMDGPU.csdata,"",@progbits
; Kernel info:
; codeLenInByte = 4
; NumSgprs: 4
; NumVgprs: 0
; NumAgprs: 0
; TotalNumVgprs: 0
; ScratchSize: 0
; MemoryBound: 0
; FloatMode: 240
; IeeeMode: 1
; LDSByteSize: 0 bytes/workgroup (compile time only)
; SGPRBlocks: 0
; VGPRBlocks: 0
; NumSGPRsForWavesPerEU: 4
; NumVGPRsForWavesPerEU: 1
; AccumOffset: 4
; Occupancy: 8
; WaveLimiterHint : 0
; COMPUTE_PGM_RSRC2:SCRATCH_EN: 0
; COMPUTE_PGM_RSRC2:USER_SGPR: 6
; COMPUTE_PGM_RSRC2:TRAP_HANDLER: 0
; COMPUTE_PGM_RSRC2:TGID_X_EN: 1
; COMPUTE_PGM_RSRC2:TGID_Y_EN: 0
; COMPUTE_PGM_RSRC2:TGID_Z_EN: 0
; COMPUTE_PGM_RSRC2:TIDIG_COMP_CNT: 0
; COMPUTE_PGM_RSRC3_GFX90A:ACCUM_OFFSET: 0
; COMPUTE_PGM_RSRC3_GFX90A:TG_SPLIT: 0
	.section	.text._ZN7rocprim6detail20lookback_scan_kernelILNS0_25lookback_scan_determinismE0ELb0ENS0_19wrapped_scan_configINS_14default_configEjEEN6hipcub21CountingInputIteratorIjlEEN10test_utils21single_index_iteratorIjEENS6_3SumEjjNS0_19lookback_scan_stateIjLb0ELb1EEEEEvT2_T3_mT5_T4_T7_jPT6_SL_bb,"axG",@progbits,_ZN7rocprim6detail20lookback_scan_kernelILNS0_25lookback_scan_determinismE0ELb0ENS0_19wrapped_scan_configINS_14default_configEjEEN6hipcub21CountingInputIteratorIjlEEN10test_utils21single_index_iteratorIjEENS6_3SumEjjNS0_19lookback_scan_stateIjLb0ELb1EEEEEvT2_T3_mT5_T4_T7_jPT6_SL_bb,comdat
	.protected	_ZN7rocprim6detail20lookback_scan_kernelILNS0_25lookback_scan_determinismE0ELb0ENS0_19wrapped_scan_configINS_14default_configEjEEN6hipcub21CountingInputIteratorIjlEEN10test_utils21single_index_iteratorIjEENS6_3SumEjjNS0_19lookback_scan_stateIjLb0ELb1EEEEEvT2_T3_mT5_T4_T7_jPT6_SL_bb ; -- Begin function _ZN7rocprim6detail20lookback_scan_kernelILNS0_25lookback_scan_determinismE0ELb0ENS0_19wrapped_scan_configINS_14default_configEjEEN6hipcub21CountingInputIteratorIjlEEN10test_utils21single_index_iteratorIjEENS6_3SumEjjNS0_19lookback_scan_stateIjLb0ELb1EEEEEvT2_T3_mT5_T4_T7_jPT6_SL_bb
	.globl	_ZN7rocprim6detail20lookback_scan_kernelILNS0_25lookback_scan_determinismE0ELb0ENS0_19wrapped_scan_configINS_14default_configEjEEN6hipcub21CountingInputIteratorIjlEEN10test_utils21single_index_iteratorIjEENS6_3SumEjjNS0_19lookback_scan_stateIjLb0ELb1EEEEEvT2_T3_mT5_T4_T7_jPT6_SL_bb
	.p2align	8
	.type	_ZN7rocprim6detail20lookback_scan_kernelILNS0_25lookback_scan_determinismE0ELb0ENS0_19wrapped_scan_configINS_14default_configEjEEN6hipcub21CountingInputIteratorIjlEEN10test_utils21single_index_iteratorIjEENS6_3SumEjjNS0_19lookback_scan_stateIjLb0ELb1EEEEEvT2_T3_mT5_T4_T7_jPT6_SL_bb,@function
_ZN7rocprim6detail20lookback_scan_kernelILNS0_25lookback_scan_determinismE0ELb0ENS0_19wrapped_scan_configINS_14default_configEjEEN6hipcub21CountingInputIteratorIjlEEN10test_utils21single_index_iteratorIjEENS6_3SumEjjNS0_19lookback_scan_stateIjLb0ELb1EEEEEvT2_T3_mT5_T4_T7_jPT6_SL_bb: ; @_ZN7rocprim6detail20lookback_scan_kernelILNS0_25lookback_scan_determinismE0ELb0ENS0_19wrapped_scan_configINS_14default_configEjEEN6hipcub21CountingInputIteratorIjlEEN10test_utils21single_index_iteratorIjEENS6_3SumEjjNS0_19lookback_scan_stateIjLb0ELb1EEEEEvT2_T3_mT5_T4_T7_jPT6_SL_bb
; %bb.0:
	s_load_dword s0, s[4:5], 0x38
	s_load_dwordx8 s[20:27], s[4:5], 0x8
	s_load_dword s1, s[4:5], 0x0
	s_mul_i32 s33, s6, 0x500
	v_lshlrev_b32_e32 v23, 2, v0
	s_waitcnt lgkmcnt(0)
	s_add_i32 s0, s0, -1
	s_mul_i32 s2, s0, 0x500
	s_sub_u32 s26, s26, s2
	s_subb_u32 s27, s27, 0
	s_cmp_lg_u32 s6, s0
	s_cselect_b64 s[8:9], -1, 0
	s_add_i32 s2, s33, s1
	s_mov_b64 s[0:1], -1
	s_and_b64 vcc, exec, s[8:9]
	v_add_u32_e32 v1, s2, v0
	s_cbranch_vccz .LBB119_2
; %bb.1:
	v_add_u32_e32 v2, 0x80, v1
	v_add_u32_e32 v3, 0x100, v1
	;; [unrolled: 1-line block ×9, first 2 shown]
	ds_write2st64_b32 v23, v1, v2 offset1:2
	ds_write2st64_b32 v23, v3, v4 offset0:4 offset1:6
	ds_write2st64_b32 v23, v5, v6 offset0:8 offset1:10
	;; [unrolled: 1-line block ×4, first 2 shown]
	s_waitcnt lgkmcnt(0)
	s_barrier
	s_mov_b64 s[0:1], 0
.LBB119_2:
	s_andn2_b64 vcc, exec, s[0:1]
	v_cmp_gt_u32_e64 s[0:1], s26, v0
	s_cbranch_vccnz .LBB119_4
; %bb.3:
	v_or_b32_e32 v4, 0x80, v0
	v_mov_b32_e32 v2, s2
	v_add_u32_e32 v5, 0x80, v1
	v_cmp_gt_u32_e32 vcc, s26, v4
	v_cndmask_b32_e32 v4, v2, v5, vcc
	v_or_b32_e32 v5, 0x100, v0
	v_add_u32_e32 v6, 0x100, v1
	v_cmp_gt_u32_e32 vcc, s26, v5
	v_cndmask_b32_e32 v5, v2, v6, vcc
	v_or_b32_e32 v6, 0x180, v0
	;; [unrolled: 4-line block ×8, first 2 shown]
	v_cndmask_b32_e64 v3, v2, v1, s[0:1]
	v_add_u32_e32 v1, 0x480, v1
	v_cmp_gt_u32_e32 vcc, s26, v12
	v_cndmask_b32_e32 v1, v2, v1, vcc
	ds_write2st64_b32 v23, v3, v4 offset1:2
	ds_write2st64_b32 v23, v5, v6 offset0:4 offset1:6
	ds_write2st64_b32 v23, v7, v8 offset0:8 offset1:10
	;; [unrolled: 1-line block ×4, first 2 shown]
	s_waitcnt lgkmcnt(0)
	s_barrier
.LBB119_4:
	v_mul_u32_u24_e32 v22, 10, v0
	v_lshlrev_b32_e32 v1, 2, v22
	ds_read2_b64 v[16:19], v1 offset1:1
	ds_read2_b64 v[12:15], v1 offset0:2 offset1:3
	ds_read_b64 v[20:21], v1 offset:32
	s_load_dwordx2 s[10:11], s[4:5], 0x30
	s_cmp_lg_u32 s6, 0
	v_lshrrev_b32_e32 v24, 5, v0
	v_cmp_gt_u32_e32 vcc, 64, v0
	s_waitcnt lgkmcnt(0)
	s_barrier
	s_cbranch_scc0 .LBB119_29
; %bb.5:
	v_add_u32_e32 v2, v17, v16
	v_add3_u32 v2, v2, v18, v19
	v_add3_u32 v2, v2, v12, v13
	;; [unrolled: 1-line block ×4, first 2 shown]
	v_add_lshl_u32 v3, v24, v0, 2
	ds_write_b32 v3, v2
	s_waitcnt lgkmcnt(0)
	s_barrier
	s_and_saveexec_b64 s[2:3], vcc
	s_cbranch_execz .LBB119_7
; %bb.6:
	v_lshlrev_b32_e32 v3, 1, v0
	v_lshrrev_b32_e32 v4, 4, v0
	v_add_lshl_u32 v3, v4, v3, 2
	ds_read2_b32 v[4:5], v3 offset1:1
	v_mbcnt_lo_u32_b32 v6, -1, 0
	v_mbcnt_hi_u32_b32 v6, -1, v6
	v_and_b32_e32 v7, 15, v6
	v_cmp_ne_u32_e64 s[0:1], 0, v7
	s_waitcnt lgkmcnt(0)
	v_add_u32_e32 v8, v5, v4
	s_nop 1
	v_mov_b32_dpp v9, v8 row_shr:1 row_mask:0xf bank_mask:0xf
	v_cndmask_b32_e64 v9, 0, v9, s[0:1]
	v_add_u32_e32 v8, v9, v8
	v_cmp_lt_u32_e64 s[0:1], 1, v7
	s_nop 0
	v_mov_b32_dpp v9, v8 row_shr:2 row_mask:0xf bank_mask:0xf
	v_cndmask_b32_e64 v9, 0, v9, s[0:1]
	v_add_u32_e32 v8, v8, v9
	v_cmp_lt_u32_e64 s[0:1], 3, v7
	;; [unrolled: 5-line block ×3, first 2 shown]
	s_nop 0
	v_mov_b32_dpp v9, v8 row_shr:8 row_mask:0xf bank_mask:0xf
	v_cndmask_b32_e64 v7, 0, v9, s[0:1]
	v_add_u32_e32 v7, v8, v7
	v_bfe_i32 v9, v6, 4, 1
	v_cmp_lt_u32_e64 s[0:1], 31, v6
	v_mov_b32_dpp v8, v7 row_bcast:15 row_mask:0xf bank_mask:0xf
	v_and_b32_e32 v8, v9, v8
	v_add_u32_e32 v7, v7, v8
	v_and_b32_e32 v9, 64, v6
	s_nop 0
	v_mov_b32_dpp v8, v7 row_bcast:31 row_mask:0xf bank_mask:0xf
	v_cndmask_b32_e64 v8, 0, v8, s[0:1]
	v_add_u32_e32 v7, v7, v8
	v_add_u32_e32 v8, -1, v6
	v_cmp_lt_i32_e64 s[0:1], v8, v9
	v_cndmask_b32_e64 v6, v8, v6, s[0:1]
	v_lshlrev_b32_e32 v6, 2, v6
	ds_bpermute_b32 v6, v6, v7
	v_cmp_eq_u32_e64 s[0:1], 0, v0
	s_waitcnt lgkmcnt(0)
	v_add_u32_e32 v4, v6, v4
	v_cndmask_b32_e64 v2, v4, v2, s[0:1]
	v_add_u32_e32 v4, v2, v5
	ds_write2_b32 v3, v2, v4 offset1:1
.LBB119_7:
	s_or_b64 exec, exec, s[2:3]
	v_cmp_eq_u32_e64 s[0:1], 0, v0
	v_cmp_ne_u32_e64 s[2:3], 0, v0
	v_mov_b32_e32 v25, 0
	s_waitcnt lgkmcnt(0)
	s_barrier
	s_and_saveexec_b64 s[12:13], s[2:3]
	s_cbranch_execz .LBB119_9
; %bb.8:
	v_add_u32_e32 v2, -1, v0
	v_lshrrev_b32_e32 v3, 5, v2
	v_add_lshl_u32 v2, v3, v2, 2
	ds_read_b32 v25, v2
.LBB119_9:
	s_or_b64 exec, exec, s[12:13]
	s_and_saveexec_b64 s[12:13], vcc
	s_cbranch_execz .LBB119_28
; %bb.10:
	v_mov_b32_e32 v9, 0
	ds_read_b32 v2, v9 offset:520
	v_mbcnt_lo_u32_b32 v3, -1, 0
	v_mbcnt_hi_u32_b32 v5, -1, v3
	s_mov_b32 s17, 0
	v_cmp_eq_u32_e64 s[2:3], 0, v5
	s_and_saveexec_b64 s[14:15], s[2:3]
	s_cbranch_execz .LBB119_12
; %bb.11:
	s_add_i32 s16, s6, 64
	s_lshl_b64 s[16:17], s[16:17], 3
	s_add_u32 s16, s10, s16
	s_addc_u32 s17, s11, s17
	v_mov_b32_e32 v3, 1
	s_waitcnt lgkmcnt(0)
	global_store_dwordx2 v9, v[2:3], s[16:17]
.LBB119_12:
	s_or_b64 exec, exec, s[14:15]
	v_xad_u32 v4, v5, -1, s6
	v_add_u32_e32 v8, 64, v4
	v_lshlrev_b64 v[6:7], 3, v[8:9]
	v_mov_b32_e32 v3, s11
	v_add_co_u32_e32 v10, vcc, s10, v6
	v_addc_co_u32_e32 v11, vcc, v3, v7, vcc
	global_load_dwordx2 v[6:7], v[10:11], off glc
	s_waitcnt vmcnt(0)
	v_cmp_eq_u16_sdwa s[16:17], v7, v9 src0_sel:BYTE_0 src1_sel:DWORD
	s_and_saveexec_b64 s[14:15], s[16:17]
	s_cbranch_execz .LBB119_16
; %bb.13:
	s_mov_b64 s[16:17], 0
	v_mov_b32_e32 v3, 0
.LBB119_14:                             ; =>This Inner Loop Header: Depth=1
	global_load_dwordx2 v[6:7], v[10:11], off glc
	s_waitcnt vmcnt(0)
	v_cmp_ne_u16_sdwa s[18:19], v7, v3 src0_sel:BYTE_0 src1_sel:DWORD
	s_or_b64 s[16:17], s[18:19], s[16:17]
	s_andn2_b64 exec, exec, s[16:17]
	s_cbranch_execnz .LBB119_14
; %bb.15:
	s_or_b64 exec, exec, s[16:17]
.LBB119_16:
	s_or_b64 exec, exec, s[14:15]
	v_and_b32_e32 v34, 63, v5
	v_mov_b32_e32 v3, 2
	v_cmp_ne_u32_e32 vcc, 63, v34
	v_cmp_eq_u16_sdwa s[14:15], v7, v3 src0_sel:BYTE_0 src1_sel:DWORD
	v_lshlrev_b64 v[8:9], v5, -1
	v_addc_co_u32_e32 v26, vcc, 0, v5, vcc
	v_and_b32_e32 v10, s15, v9
	v_lshlrev_b32_e32 v26, 2, v26
	v_or_b32_e32 v10, 0x80000000, v10
	ds_bpermute_b32 v28, v26, v6
	v_and_b32_e32 v11, s14, v8
	v_ffbl_b32_e32 v10, v10
	v_add_u32_e32 v10, 32, v10
	v_ffbl_b32_e32 v11, v11
	v_min_u32_e32 v10, v11, v10
	v_add_u32_e32 v27, 1, v5
	v_cmp_le_u32_e32 vcc, v27, v10
	s_waitcnt lgkmcnt(0)
	v_cndmask_b32_e32 v11, 0, v28, vcc
	v_cmp_gt_u32_e32 vcc, 62, v34
	v_add_u32_e32 v6, v11, v6
	v_cndmask_b32_e64 v11, 0, 1, vcc
	v_lshlrev_b32_e32 v11, 1, v11
	v_add_lshl_u32 v28, v11, v5, 2
	ds_bpermute_b32 v11, v28, v6
	v_add_u32_e32 v29, 2, v5
	v_cmp_le_u32_e32 vcc, v29, v10
	v_add_u32_e32 v31, 4, v5
	v_add_u32_e32 v33, 8, v5
	s_waitcnt lgkmcnt(0)
	v_cndmask_b32_e32 v11, 0, v11, vcc
	v_cmp_gt_u32_e32 vcc, 60, v34
	v_add_u32_e32 v6, v6, v11
	v_cndmask_b32_e64 v11, 0, 1, vcc
	v_lshlrev_b32_e32 v11, 2, v11
	v_add_lshl_u32 v30, v11, v5, 2
	ds_bpermute_b32 v11, v30, v6
	v_cmp_le_u32_e32 vcc, v31, v10
	v_add_u32_e32 v36, 16, v5
	v_add_u32_e32 v38, 32, v5
	s_waitcnt lgkmcnt(0)
	v_cndmask_b32_e32 v11, 0, v11, vcc
	v_cmp_gt_u32_e32 vcc, 56, v34
	v_add_u32_e32 v6, v6, v11
	v_cndmask_b32_e64 v11, 0, 1, vcc
	v_lshlrev_b32_e32 v11, 3, v11
	v_add_lshl_u32 v32, v11, v5, 2
	ds_bpermute_b32 v11, v32, v6
	v_cmp_le_u32_e32 vcc, v33, v10
	s_waitcnt lgkmcnt(0)
	v_cndmask_b32_e32 v11, 0, v11, vcc
	v_cmp_gt_u32_e32 vcc, 48, v34
	v_add_u32_e32 v6, v6, v11
	v_cndmask_b32_e64 v11, 0, 1, vcc
	v_lshlrev_b32_e32 v11, 4, v11
	v_add_lshl_u32 v35, v11, v5, 2
	ds_bpermute_b32 v11, v35, v6
	v_cmp_le_u32_e32 vcc, v36, v10
	;; [unrolled: 9-line block ×3, first 2 shown]
	s_waitcnt lgkmcnt(0)
	v_cndmask_b32_e32 v5, 0, v11, vcc
	v_add_u32_e32 v6, v6, v5
	v_mov_b32_e32 v5, 0
	s_branch .LBB119_18
.LBB119_17:                             ;   in Loop: Header=BB119_18 Depth=1
	s_or_b64 exec, exec, s[14:15]
	v_cmp_eq_u16_sdwa s[14:15], v7, v3 src0_sel:BYTE_0 src1_sel:DWORD
	v_and_b32_e32 v10, s15, v9
	v_or_b32_e32 v10, 0x80000000, v10
	ds_bpermute_b32 v39, v26, v6
	v_and_b32_e32 v11, s14, v8
	v_ffbl_b32_e32 v10, v10
	v_add_u32_e32 v10, 32, v10
	v_ffbl_b32_e32 v11, v11
	v_min_u32_e32 v10, v11, v10
	v_cmp_le_u32_e32 vcc, v27, v10
	s_waitcnt lgkmcnt(0)
	v_cndmask_b32_e32 v11, 0, v39, vcc
	v_add_u32_e32 v6, v11, v6
	ds_bpermute_b32 v11, v28, v6
	v_cmp_le_u32_e32 vcc, v29, v10
	v_subrev_u32_e32 v4, 64, v4
	s_waitcnt lgkmcnt(0)
	v_cndmask_b32_e32 v11, 0, v11, vcc
	v_add_u32_e32 v6, v6, v11
	ds_bpermute_b32 v11, v30, v6
	v_cmp_le_u32_e32 vcc, v31, v10
	s_waitcnt lgkmcnt(0)
	v_cndmask_b32_e32 v11, 0, v11, vcc
	v_add_u32_e32 v6, v6, v11
	ds_bpermute_b32 v11, v32, v6
	v_cmp_le_u32_e32 vcc, v33, v10
	;; [unrolled: 5-line block ×4, first 2 shown]
	s_waitcnt lgkmcnt(0)
	v_cndmask_b32_e32 v10, 0, v11, vcc
	v_add3_u32 v6, v10, v34, v6
.LBB119_18:                             ; =>This Loop Header: Depth=1
                                        ;     Child Loop BB119_21 Depth 2
	v_cmp_ne_u16_sdwa s[14:15], v7, v3 src0_sel:BYTE_0 src1_sel:DWORD
	v_cndmask_b32_e64 v7, 0, 1, s[14:15]
	;;#ASMSTART
	;;#ASMEND
	v_cmp_ne_u32_e32 vcc, 0, v7
	s_cmp_lg_u64 vcc, exec
	v_mov_b32_e32 v34, v6
	s_cbranch_scc1 .LBB119_23
; %bb.19:                               ;   in Loop: Header=BB119_18 Depth=1
	v_lshlrev_b64 v[6:7], 3, v[4:5]
	v_mov_b32_e32 v11, s11
	v_add_co_u32_e32 v10, vcc, s10, v6
	v_addc_co_u32_e32 v11, vcc, v11, v7, vcc
	global_load_dwordx2 v[6:7], v[10:11], off glc
	s_waitcnt vmcnt(0)
	v_cmp_eq_u16_sdwa s[16:17], v7, v5 src0_sel:BYTE_0 src1_sel:DWORD
	s_and_saveexec_b64 s[14:15], s[16:17]
	s_cbranch_execz .LBB119_17
; %bb.20:                               ;   in Loop: Header=BB119_18 Depth=1
	s_mov_b64 s[16:17], 0
.LBB119_21:                             ;   Parent Loop BB119_18 Depth=1
                                        ; =>  This Inner Loop Header: Depth=2
	global_load_dwordx2 v[6:7], v[10:11], off glc
	s_waitcnt vmcnt(0)
	v_cmp_ne_u16_sdwa s[18:19], v7, v5 src0_sel:BYTE_0 src1_sel:DWORD
	s_or_b64 s[16:17], s[18:19], s[16:17]
	s_andn2_b64 exec, exec, s[16:17]
	s_cbranch_execnz .LBB119_21
; %bb.22:                               ;   in Loop: Header=BB119_18 Depth=1
	s_or_b64 exec, exec, s[16:17]
	s_branch .LBB119_17
.LBB119_23:                             ;   in Loop: Header=BB119_18 Depth=1
                                        ; implicit-def: $vgpr6
                                        ; implicit-def: $vgpr7
	s_cbranch_execz .LBB119_18
; %bb.24:
	s_and_saveexec_b64 s[14:15], s[2:3]
	s_cbranch_execz .LBB119_26
; %bb.25:
	s_add_i32 s2, s6, 64
	s_mov_b32 s3, 0
	s_lshl_b64 s[2:3], s[2:3], 3
	s_add_u32 s2, s10, s2
	s_addc_u32 s3, s11, s3
	v_mov_b32_e32 v4, 0
	v_add_u32_e32 v2, v34, v2
	v_mov_b32_e32 v3, 2
	global_store_dwordx2 v4, v[2:3], s[2:3]
.LBB119_26:
	s_or_b64 exec, exec, s[14:15]
	s_and_b64 exec, exec, s[0:1]
	s_cbranch_execz .LBB119_28
; %bb.27:
	v_mov_b32_e32 v2, 0
	ds_write_b32 v2, v34
.LBB119_28:
	s_or_b64 exec, exec, s[12:13]
	v_mov_b32_e32 v2, 0
	s_waitcnt lgkmcnt(0)
	s_barrier
	ds_read_b32 v2, v2
	s_waitcnt lgkmcnt(0)
	v_add3_u32 v2, v25, v16, v2
	v_add_u32_e32 v3, v2, v17
	v_add_u32_e32 v4, v3, v18
	;; [unrolled: 1-line block ×9, first 2 shown]
	s_load_dwordx4 s[28:31], s[4:5], 0x40
	s_branch .LBB119_39
.LBB119_29:
                                        ; implicit-def: $vgpr2_vgpr3_vgpr4_vgpr5_vgpr6_vgpr7_vgpr8_vgpr9_vgpr10_vgpr11
	s_load_dwordx4 s[28:31], s[4:5], 0x40
	s_cbranch_execz .LBB119_39
; %bb.30:
	s_load_dword s2, s[4:5], 0x50
	v_cmp_eq_u32_e32 vcc, 0, v0
	v_cmp_ne_u32_e64 s[0:1], 0, v0
	s_waitcnt lgkmcnt(0)
	s_bitcmp1_b32 s2, 0
	s_cselect_b64 s[2:3], -1, 0
	s_and_b64 s[6:7], vcc, s[2:3]
	s_and_saveexec_b64 s[2:3], s[6:7]
	s_cbranch_execz .LBB119_32
; %bb.31:
	s_load_dword s6, s[28:29], 0x0
	s_waitcnt lgkmcnt(0)
	v_add_u32_e32 v16, s6, v16
.LBB119_32:
	s_or_b64 exec, exec, s[2:3]
	v_add_u32_e32 v2, v17, v16
	v_add3_u32 v2, v2, v18, v19
	v_add3_u32 v2, v2, v12, v13
	;; [unrolled: 1-line block ×4, first 2 shown]
	v_add_lshl_u32 v3, v24, v0, 2
	v_cmp_gt_u32_e64 s[2:3], 64, v0
	ds_write_b32 v3, v2
	s_waitcnt lgkmcnt(0)
	s_barrier
	s_and_saveexec_b64 s[6:7], s[2:3]
	s_cbranch_execz .LBB119_34
; %bb.33:
	v_lshlrev_b32_e32 v3, 1, v0
	v_lshrrev_b32_e32 v4, 4, v0
	v_add_lshl_u32 v3, v4, v3, 2
	ds_read2_b32 v[4:5], v3 offset1:1
	v_mbcnt_lo_u32_b32 v6, -1, 0
	v_mbcnt_hi_u32_b32 v6, -1, v6
	v_and_b32_e32 v7, 15, v6
	v_cmp_ne_u32_e64 s[2:3], 0, v7
	s_waitcnt lgkmcnt(0)
	v_add_u32_e32 v8, v5, v4
	s_nop 1
	v_mov_b32_dpp v9, v8 row_shr:1 row_mask:0xf bank_mask:0xf
	v_cndmask_b32_e64 v9, 0, v9, s[2:3]
	v_add_u32_e32 v8, v9, v8
	v_cmp_lt_u32_e64 s[2:3], 1, v7
	s_nop 0
	v_mov_b32_dpp v9, v8 row_shr:2 row_mask:0xf bank_mask:0xf
	v_cndmask_b32_e64 v9, 0, v9, s[2:3]
	v_add_u32_e32 v8, v8, v9
	v_cmp_lt_u32_e64 s[2:3], 3, v7
	;; [unrolled: 5-line block ×3, first 2 shown]
	s_nop 0
	v_mov_b32_dpp v9, v8 row_shr:8 row_mask:0xf bank_mask:0xf
	v_cndmask_b32_e64 v7, 0, v9, s[2:3]
	v_add_u32_e32 v7, v8, v7
	v_bfe_i32 v9, v6, 4, 1
	v_cmp_lt_u32_e64 s[2:3], 31, v6
	v_mov_b32_dpp v8, v7 row_bcast:15 row_mask:0xf bank_mask:0xf
	v_and_b32_e32 v8, v9, v8
	v_add_u32_e32 v7, v7, v8
	v_and_b32_e32 v9, 64, v6
	s_nop 0
	v_mov_b32_dpp v8, v7 row_bcast:31 row_mask:0xf bank_mask:0xf
	v_cndmask_b32_e64 v8, 0, v8, s[2:3]
	v_add_u32_e32 v7, v7, v8
	v_add_u32_e32 v8, -1, v6
	v_cmp_lt_i32_e64 s[2:3], v8, v9
	v_cndmask_b32_e64 v6, v8, v6, s[2:3]
	v_lshlrev_b32_e32 v6, 2, v6
	ds_bpermute_b32 v6, v6, v7
	s_waitcnt lgkmcnt(0)
	v_add_u32_e32 v4, v6, v4
	v_cndmask_b32_e32 v2, v4, v2, vcc
	v_add_u32_e32 v4, v2, v5
	ds_write2_b32 v3, v2, v4 offset1:1
.LBB119_34:
	s_or_b64 exec, exec, s[6:7]
	v_mov_b32_e32 v2, 0
	s_waitcnt lgkmcnt(0)
	s_barrier
	s_and_saveexec_b64 s[2:3], s[0:1]
	s_cbranch_execz .LBB119_36
; %bb.35:
	v_add_u32_e32 v2, -1, v0
	v_lshrrev_b32_e32 v3, 5, v2
	v_add_lshl_u32 v2, v3, v2, 2
	ds_read_b32 v2, v2
.LBB119_36:
	s_or_b64 exec, exec, s[2:3]
	s_waitcnt lgkmcnt(0)
	v_add_u32_e32 v2, v2, v16
	v_add_u32_e32 v3, v2, v17
	;; [unrolled: 1-line block ×10, first 2 shown]
	s_and_saveexec_b64 s[0:1], vcc
	s_cbranch_execz .LBB119_38
; %bb.37:
	v_mov_b32_e32 v14, 0
	ds_read_b32 v12, v14 offset:520
	v_mov_b32_e32 v13, 2
	s_waitcnt lgkmcnt(0)
	global_store_dwordx2 v14, v[12:13], s[10:11] offset:512
.LBB119_38:
	s_or_b64 exec, exec, s[0:1]
.LBB119_39:
	s_mov_b64 s[0:1], -1
	s_and_b64 vcc, exec, s[8:9]
	s_waitcnt lgkmcnt(0)
	s_barrier
	s_cbranch_vccz .LBB119_43
; %bb.40:
	s_add_u32 s0, s24, s33
	s_addc_u32 s1, s25, 0
	v_mov_b32_e32 v13, s1
	v_add_co_u32_e32 v14, vcc, s0, v0
	s_movk_i32 s0, 0x80
	v_addc_co_u32_e32 v15, vcc, 0, v13, vcc
	v_add_co_u32_e64 v16, s[0:1], s0, v14
	v_addc_co_u32_e64 v17, s[0:1], 0, v15, s[0:1]
	v_cmp_eq_u64_e32 vcc, s[22:23], v[14:15]
	v_cmp_eq_u64_e64 s[0:1], s[22:23], v[16:17]
	s_movk_i32 s2, 0x100
	s_or_b64 s[6:7], vcc, s[0:1]
	v_add_co_u32_e32 v16, vcc, s2, v14
	v_addc_co_u32_e32 v17, vcc, 0, v15, vcc
	v_cmp_eq_u64_e64 s[2:3], s[22:23], v[16:17]
	s_or_b64 s[8:9], s[2:3], s[6:7]
	s_movk_i32 s6, 0x180
	v_add_co_u32_e32 v16, vcc, s6, v14
	v_addc_co_u32_e32 v17, vcc, 0, v15, vcc
	v_cmp_eq_u64_e64 s[6:7], s[22:23], v[16:17]
	s_or_b64 s[10:11], s[6:7], s[8:9]
	s_movk_i32 s8, 0x200
	;; [unrolled: 5-line block ×6, first 2 shown]
	v_add_co_u32_e32 v16, vcc, s16, v14
	v_addc_co_u32_e32 v17, vcc, 0, v15, vcc
	v_add_co_u32_e32 v14, vcc, 0x480, v14
	v_cmp_eq_u64_e64 s[16:17], s[22:23], v[16:17]
	v_addc_co_u32_e32 v15, vcc, 0, v15, vcc
	s_or_b64 s[18:19], s[16:17], s[18:19]
	v_cmp_eq_u64_e32 vcc, s[22:23], v[14:15]
	v_mov_b32_e32 v12, 0
	s_or_b64 s[28:29], vcc, s[18:19]
	ds_write2_b64 v1, v[2:3], v[4:5] offset1:1
	ds_write2_b64 v1, v[6:7], v[8:9] offset0:2 offset1:3
	ds_write_b64 v1, v[10:11] offset:32
	s_waitcnt lgkmcnt(0)
	s_barrier
	s_and_saveexec_b64 s[18:19], s[28:29]
	s_cbranch_execz .LBB119_42
; %bb.41:
	ds_read2st64_b32 v[14:15], v23 offset1:2
	ds_read2st64_b32 v[16:17], v23 offset0:4 offset1:6
	ds_read2st64_b32 v[18:19], v23 offset0:16 offset1:18
	;; [unrolled: 1-line block ×4, first 2 shown]
	s_waitcnt lgkmcnt(4)
	v_cndmask_b32_e64 v13, v14, v15, s[0:1]
	s_waitcnt lgkmcnt(3)
	v_cndmask_b32_e64 v13, v13, v16, s[2:3]
	v_cndmask_b32_e64 v13, v13, v17, s[6:7]
	s_waitcnt lgkmcnt(1)
	v_cndmask_b32_e64 v13, v13, v20, s[8:9]
	;; [unrolled: 3-line block ×3, first 2 shown]
	v_cndmask_b32_e64 v13, v13, v25, s[14:15]
	v_cndmask_b32_e64 v13, v13, v18, s[16:17]
	v_cndmask_b32_e32 v13, v13, v19, vcc
	global_store_dword v12, v13, s[20:21]
.LBB119_42:
	s_or_b64 exec, exec, s[18:19]
	s_mov_b64 s[0:1], 0
.LBB119_43:
	s_andn2_b64 vcc, exec, s[0:1]
	s_cbranch_vccnz .LBB119_81
; %bb.44:
	v_add_co_u32_e32 v12, vcc, s33, v0
	v_addc_co_u32_e64 v13, s[0:1], 0, 0, vcc
	v_mov_b32_e32 v15, s25
	v_add_co_u32_e32 v12, vcc, s24, v12
	v_addc_co_u32_e32 v13, vcc, v13, v15, vcc
	s_movk_i32 s6, 0x80
	v_or_b32_e32 v14, 0x80, v0
	v_cmp_gt_u32_e32 vcc, s26, v0
	v_cmp_eq_u64_e64 s[0:1], s[22:23], v[12:13]
	s_and_b64 s[2:3], vcc, s[0:1]
	v_cmp_gt_u32_e32 vcc, s26, v14
	v_add_co_u32_e64 v14, s[0:1], s6, v12
	v_addc_co_u32_e64 v15, s[0:1], 0, v13, s[0:1]
	v_cmp_eq_u64_e64 s[0:1], s[22:23], v[14:15]
	s_movk_i32 s8, 0x100
	s_and_b64 s[0:1], vcc, s[0:1]
	s_or_b64 s[6:7], s[2:3], s[0:1]
	v_add_co_u32_e64 v14, s[2:3], s8, v12
	v_or_b32_e32 v16, 0x100, v0
	v_addc_co_u32_e64 v15, s[2:3], 0, v13, s[2:3]
	v_cmp_gt_u32_e32 vcc, s26, v16
	v_cmp_eq_u64_e64 s[2:3], s[22:23], v[14:15]
	s_movk_i32 s10, 0x180
	s_and_b64 s[2:3], vcc, s[2:3]
	s_or_b64 s[8:9], s[2:3], s[6:7]
	v_add_co_u32_e64 v14, s[6:7], s10, v12
	v_or_b32_e32 v17, 0x180, v0
	v_addc_co_u32_e64 v15, s[6:7], 0, v13, s[6:7]
	v_cmp_gt_u32_e32 vcc, s26, v17
	;; [unrolled: 8-line block ×4, first 2 shown]
	v_cmp_eq_u64_e64 s[10:11], s[22:23], v[14:15]
	s_movk_i32 s16, 0x300
	s_and_b64 s[10:11], vcc, s[10:11]
	s_or_b64 s[14:15], s[10:11], s[12:13]
	v_add_co_u32_e64 v14, s[12:13], s16, v12
	v_or_b32_e32 v20, 0x300, v0
	v_addc_co_u32_e64 v15, s[12:13], 0, v13, s[12:13]
	s_movk_i32 s18, 0x380
	v_cmp_gt_u32_e32 vcc, s26, v20
	v_cmp_eq_u64_e64 s[12:13], s[22:23], v[14:15]
	s_and_b64 s[12:13], vcc, s[12:13]
	v_add_co_u32_e32 v14, vcc, s18, v12
	v_or_b32_e32 v21, 0x380, v0
	v_addc_co_u32_e32 v15, vcc, 0, v13, vcc
	s_movk_i32 s28, 0x400
	s_or_b64 s[16:17], s[12:13], s[14:15]
	v_cmp_gt_u32_e64 s[14:15], s26, v21
	v_cmp_eq_u64_e32 vcc, s[22:23], v[14:15]
	s_and_b64 s[14:15], s[14:15], vcc
	v_add_co_u32_e32 v14, vcc, s28, v12
	v_or_b32_e32 v24, 0x400, v0
	v_addc_co_u32_e32 v15, vcc, 0, v13, vcc
	s_or_b64 s[18:19], s[14:15], s[16:17]
	v_cmp_gt_u32_e64 s[16:17], s26, v24
	v_cmp_eq_u64_e32 vcc, s[22:23], v[14:15]
	ds_write2_b64 v1, v[2:3], v[4:5] offset1:1
	ds_write2_b64 v1, v[6:7], v[8:9] offset0:2 offset1:3
	ds_write_b64 v1, v[10:11] offset:32
	s_waitcnt lgkmcnt(0)
	s_barrier
	ds_read2st64_b32 v[2:3], v23 offset1:2
	ds_read2st64_b32 v[6:7], v23 offset0:4 offset1:6
	ds_read2st64_b32 v[4:5], v23 offset0:8 offset1:10
	;; [unrolled: 1-line block ×4, first 2 shown]
	s_and_b64 s[16:17], s[16:17], vcc
	v_add_co_u32_e32 v12, vcc, 0x480, v12
	v_or_b32_e32 v23, 0x480, v0
	v_addc_co_u32_e32 v13, vcc, 0, v13, vcc
	s_or_b64 s[24:25], s[16:17], s[18:19]
	v_cmp_gt_u32_e64 s[18:19], s26, v23
	v_cmp_eq_u64_e32 vcc, s[22:23], v[12:13]
	s_and_b64 vcc, s[18:19], vcc
	v_mov_b32_e32 v1, 0
	s_or_b64 s[22:23], vcc, s[24:25]
	s_and_saveexec_b64 s[18:19], s[22:23]
	s_cbranch_execz .LBB119_46
; %bb.45:
	s_waitcnt lgkmcnt(4)
	v_cndmask_b32_e64 v12, v2, v3, s[0:1]
	s_waitcnt lgkmcnt(3)
	v_cndmask_b32_e64 v12, v12, v6, s[2:3]
	v_cndmask_b32_e64 v12, v12, v7, s[6:7]
	s_waitcnt lgkmcnt(2)
	v_cndmask_b32_e64 v12, v12, v4, s[8:9]
	v_cndmask_b32_e64 v12, v12, v5, s[10:11]
	s_waitcnt lgkmcnt(1)
	v_cndmask_b32_e64 v12, v12, v8, s[12:13]
	v_cndmask_b32_e64 v12, v12, v9, s[14:15]
	s_waitcnt lgkmcnt(0)
	v_cndmask_b32_e64 v12, v12, v10, s[16:17]
	v_cndmask_b32_e32 v12, v12, v11, vcc
	global_store_dword v1, v12, s[20:21]
.LBB119_46:
	s_or_b64 exec, exec, s[18:19]
	s_load_dword s0, s[4:5], 0x50
	s_waitcnt lgkmcnt(0)
	s_bfe_u32 s0, s0, 0x10008
	s_cmp_eq_u32 s0, 0
	s_cbranch_scc1 .LBB119_81
; %bb.47:
	s_add_u32 s0, s26, -1
	s_addc_u32 s1, s27, -1
	s_add_u32 s2, 0, 0x99986000
	s_addc_u32 s3, 0, 0x59
	s_add_i32 s3, s3, 0x19999940
	s_mul_hi_u32 s7, s2, -10
	s_sub_i32 s7, s7, s2
	s_mul_i32 s8, s3, -10
	s_mul_i32 s4, s2, -10
	s_add_i32 s7, s7, s8
	s_mul_hi_u32 s5, s3, s4
	s_mul_i32 s6, s3, s4
	s_mul_i32 s9, s2, s7
	s_mul_hi_u32 s4, s2, s4
	s_mul_hi_u32 s8, s2, s7
	s_add_u32 s4, s4, s9
	s_addc_u32 s8, 0, s8
	s_add_u32 s4, s4, s6
	s_mul_hi_u32 s9, s3, s7
	s_addc_u32 s4, s8, s5
	s_addc_u32 s5, s9, 0
	s_mul_i32 s6, s3, s7
	s_add_u32 s4, s4, s6
	v_mov_b32_e32 v12, s4
	s_addc_u32 s5, 0, s5
	v_add_co_u32_e32 v12, vcc, s2, v12
	s_cmp_lg_u64 vcc, 0
	s_addc_u32 s2, s3, s5
	v_readfirstlane_b32 s5, v12
	s_mul_i32 s4, s0, s2
	s_mul_hi_u32 s6, s0, s5
	s_mul_hi_u32 s3, s0, s2
	s_add_u32 s4, s6, s4
	s_addc_u32 s3, 0, s3
	s_mul_hi_u32 s7, s1, s5
	s_mul_i32 s5, s1, s5
	s_add_u32 s4, s4, s5
	s_mul_hi_u32 s6, s1, s2
	s_addc_u32 s3, s3, s7
	s_addc_u32 s4, s6, 0
	s_mul_i32 s2, s1, s2
	s_add_u32 s2, s3, s2
	s_addc_u32 s3, 0, s4
	s_add_u32 s4, s2, 1
	s_addc_u32 s5, s3, 0
	s_add_u32 s6, s2, 2
	s_mul_i32 s8, s3, 10
	s_mul_hi_u32 s9, s2, 10
	s_addc_u32 s7, s3, 0
	s_add_i32 s9, s9, s8
	s_mul_i32 s8, s2, 10
	v_mov_b32_e32 v12, s8
	v_sub_co_u32_e32 v12, vcc, s0, v12
	s_cmp_lg_u64 vcc, 0
	s_subb_u32 s8, s1, s9
	v_subrev_co_u32_e32 v13, vcc, 10, v12
	s_cmp_lg_u64 vcc, 0
	s_subb_u32 s9, s8, 0
	v_readfirstlane_b32 s10, v13
	s_cmp_gt_u32 s10, 9
	s_cselect_b32 s10, -1, 0
	s_cmp_eq_u32 s9, 0
	s_cselect_b32 s9, s10, -1
	s_cmp_lg_u32 s9, 0
	s_cselect_b32 s4, s6, s4
	v_readfirstlane_b32 s6, v12
	s_cselect_b32 s5, s7, s5
	s_cmp_gt_u32 s6, 9
	s_cselect_b32 s6, -1, 0
	s_cmp_eq_u32 s8, 0
	s_cselect_b32 s6, s6, -1
	s_cmp_lg_u32 s6, 0
	s_cselect_b32 s3, s5, s3
	s_cselect_b32 s2, s4, s2
	v_cmp_eq_u64_e32 vcc, s[2:3], v[0:1]
	s_and_saveexec_b64 s[2:3], vcc
	s_cbranch_execz .LBB119_81
; %bb.48:
	v_mul_hi_u32_u24_e32 v1, 10, v0
	v_mov_b32_e32 v12, s1
	v_sub_co_u32_e32 v0, vcc, s0, v22
	v_subb_co_u32_e32 v1, vcc, v12, v1, vcc
	v_cmp_lt_i64_e32 vcc, 4, v[0:1]
	s_and_saveexec_b64 s[0:1], vcc
	s_xor_b64 s[0:1], exec, s[0:1]
	s_cbranch_execz .LBB119_66
; %bb.49:
	v_cmp_lt_i64_e32 vcc, 6, v[0:1]
	s_and_saveexec_b64 s[2:3], vcc
	s_xor_b64 s[2:3], exec, s[2:3]
	s_cbranch_execz .LBB119_59
; %bb.50:
	;; [unrolled: 5-line block ×4, first 2 shown]
	v_mov_b32_e32 v0, 0
	global_store_dword v0, v11, s[30:31]
                                        ; implicit-def: $vgpr10_vgpr11
.LBB119_53:
	s_andn2_saveexec_b64 s[6:7], s[6:7]
	s_cbranch_execz .LBB119_55
; %bb.54:
	v_mov_b32_e32 v0, 0
	global_store_dword v0, v10, s[30:31]
.LBB119_55:
	s_or_b64 exec, exec, s[6:7]
                                        ; implicit-def: $vgpr8_vgpr9
.LBB119_56:
	s_andn2_saveexec_b64 s[4:5], s[4:5]
	s_cbranch_execz .LBB119_58
; %bb.57:
	v_mov_b32_e32 v0, 0
	global_store_dword v0, v9, s[30:31]
.LBB119_58:
	s_or_b64 exec, exec, s[4:5]
                                        ; implicit-def: $vgpr4_vgpr5
                                        ; implicit-def: $vgpr0_vgpr1
                                        ; implicit-def: $vgpr8_vgpr9
.LBB119_59:
	s_andn2_saveexec_b64 s[2:3], s[2:3]
	s_cbranch_execz .LBB119_65
; %bb.60:
	v_cmp_lt_i64_e32 vcc, 5, v[0:1]
	s_and_saveexec_b64 s[4:5], vcc
	s_xor_b64 s[4:5], exec, s[4:5]
	s_cbranch_execz .LBB119_62
; %bb.61:
	v_mov_b32_e32 v0, 0
	global_store_dword v0, v8, s[30:31]
                                        ; implicit-def: $vgpr4_vgpr5
.LBB119_62:
	s_andn2_saveexec_b64 s[4:5], s[4:5]
	s_cbranch_execz .LBB119_64
; %bb.63:
	v_mov_b32_e32 v0, 0
	global_store_dword v0, v5, s[30:31]
.LBB119_64:
	s_or_b64 exec, exec, s[4:5]
.LBB119_65:
	s_or_b64 exec, exec, s[2:3]
                                        ; implicit-def: $vgpr0_vgpr1
                                        ; implicit-def: $vgpr6_vgpr7
                                        ; implicit-def: $vgpr2_vgpr3
                                        ; implicit-def: $vgpr4_vgpr5
.LBB119_66:
	s_andn2_saveexec_b64 s[0:1], s[0:1]
	s_cbranch_execz .LBB119_81
; %bb.67:
	v_cmp_lt_i64_e32 vcc, 2, v[0:1]
	s_and_saveexec_b64 s[0:1], vcc
	s_xor_b64 s[0:1], exec, s[0:1]
	s_cbranch_execz .LBB119_73
; %bb.68:
	v_cmp_lt_i64_e32 vcc, 3, v[0:1]
	s_and_saveexec_b64 s[2:3], vcc
	s_xor_b64 s[2:3], exec, s[2:3]
	s_cbranch_execz .LBB119_70
; %bb.69:
	v_mov_b32_e32 v0, 0
	global_store_dword v0, v4, s[30:31]
                                        ; implicit-def: $vgpr6_vgpr7
.LBB119_70:
	s_andn2_saveexec_b64 s[2:3], s[2:3]
	s_cbranch_execz .LBB119_72
; %bb.71:
	v_mov_b32_e32 v0, 0
	global_store_dword v0, v7, s[30:31]
.LBB119_72:
	s_or_b64 exec, exec, s[2:3]
                                        ; implicit-def: $vgpr0_vgpr1
                                        ; implicit-def: $vgpr6_vgpr7
                                        ; implicit-def: $vgpr2_vgpr3
.LBB119_73:
	s_andn2_saveexec_b64 s[0:1], s[0:1]
	s_cbranch_execz .LBB119_81
; %bb.74:
	v_cmp_lt_i64_e32 vcc, 1, v[0:1]
	s_and_saveexec_b64 s[0:1], vcc
	s_xor_b64 s[0:1], exec, s[0:1]
	s_cbranch_execz .LBB119_76
; %bb.75:
	v_mov_b32_e32 v0, 0
	global_store_dword v0, v6, s[30:31]
                                        ; implicit-def: $vgpr2_vgpr3
                                        ; implicit-def: $vgpr0_vgpr1
.LBB119_76:
	s_andn2_saveexec_b64 s[0:1], s[0:1]
	s_cbranch_execz .LBB119_81
; %bb.77:
	v_cmp_ne_u64_e32 vcc, 1, v[0:1]
	s_and_saveexec_b64 s[0:1], vcc
	s_xor_b64 s[0:1], exec, s[0:1]
	s_cbranch_execz .LBB119_79
; %bb.78:
	v_mov_b32_e32 v0, 0
	global_store_dword v0, v2, s[30:31]
                                        ; implicit-def: $vgpr2_vgpr3
.LBB119_79:
	s_andn2_saveexec_b64 s[0:1], s[0:1]
	s_cbranch_execz .LBB119_81
; %bb.80:
	v_mov_b32_e32 v0, 0
	global_store_dword v0, v3, s[30:31]
.LBB119_81:
	s_endpgm
	.section	.rodata,"a",@progbits
	.p2align	6, 0x0
	.amdhsa_kernel _ZN7rocprim6detail20lookback_scan_kernelILNS0_25lookback_scan_determinismE0ELb0ENS0_19wrapped_scan_configINS_14default_configEjEEN6hipcub21CountingInputIteratorIjlEEN10test_utils21single_index_iteratorIjEENS6_3SumEjjNS0_19lookback_scan_stateIjLb0ELb1EEEEEvT2_T3_mT5_T4_T7_jPT6_SL_bb
		.amdhsa_group_segment_fixed_size 5120
		.amdhsa_private_segment_fixed_size 0
		.amdhsa_kernarg_size 84
		.amdhsa_user_sgpr_count 6
		.amdhsa_user_sgpr_private_segment_buffer 1
		.amdhsa_user_sgpr_dispatch_ptr 0
		.amdhsa_user_sgpr_queue_ptr 0
		.amdhsa_user_sgpr_kernarg_segment_ptr 1
		.amdhsa_user_sgpr_dispatch_id 0
		.amdhsa_user_sgpr_flat_scratch_init 0
		.amdhsa_user_sgpr_kernarg_preload_length 0
		.amdhsa_user_sgpr_kernarg_preload_offset 0
		.amdhsa_user_sgpr_private_segment_size 0
		.amdhsa_uses_dynamic_stack 0
		.amdhsa_system_sgpr_private_segment_wavefront_offset 0
		.amdhsa_system_sgpr_workgroup_id_x 1
		.amdhsa_system_sgpr_workgroup_id_y 0
		.amdhsa_system_sgpr_workgroup_id_z 0
		.amdhsa_system_sgpr_workgroup_info 0
		.amdhsa_system_vgpr_workitem_id 0
		.amdhsa_next_free_vgpr 40
		.amdhsa_next_free_sgpr 34
		.amdhsa_accum_offset 40
		.amdhsa_reserve_vcc 1
		.amdhsa_reserve_flat_scratch 0
		.amdhsa_float_round_mode_32 0
		.amdhsa_float_round_mode_16_64 0
		.amdhsa_float_denorm_mode_32 3
		.amdhsa_float_denorm_mode_16_64 3
		.amdhsa_dx10_clamp 1
		.amdhsa_ieee_mode 1
		.amdhsa_fp16_overflow 0
		.amdhsa_tg_split 0
		.amdhsa_exception_fp_ieee_invalid_op 0
		.amdhsa_exception_fp_denorm_src 0
		.amdhsa_exception_fp_ieee_div_zero 0
		.amdhsa_exception_fp_ieee_overflow 0
		.amdhsa_exception_fp_ieee_underflow 0
		.amdhsa_exception_fp_ieee_inexact 0
		.amdhsa_exception_int_div_zero 0
	.end_amdhsa_kernel
	.section	.text._ZN7rocprim6detail20lookback_scan_kernelILNS0_25lookback_scan_determinismE0ELb0ENS0_19wrapped_scan_configINS_14default_configEjEEN6hipcub21CountingInputIteratorIjlEEN10test_utils21single_index_iteratorIjEENS6_3SumEjjNS0_19lookback_scan_stateIjLb0ELb1EEEEEvT2_T3_mT5_T4_T7_jPT6_SL_bb,"axG",@progbits,_ZN7rocprim6detail20lookback_scan_kernelILNS0_25lookback_scan_determinismE0ELb0ENS0_19wrapped_scan_configINS_14default_configEjEEN6hipcub21CountingInputIteratorIjlEEN10test_utils21single_index_iteratorIjEENS6_3SumEjjNS0_19lookback_scan_stateIjLb0ELb1EEEEEvT2_T3_mT5_T4_T7_jPT6_SL_bb,comdat
.Lfunc_end119:
	.size	_ZN7rocprim6detail20lookback_scan_kernelILNS0_25lookback_scan_determinismE0ELb0ENS0_19wrapped_scan_configINS_14default_configEjEEN6hipcub21CountingInputIteratorIjlEEN10test_utils21single_index_iteratorIjEENS6_3SumEjjNS0_19lookback_scan_stateIjLb0ELb1EEEEEvT2_T3_mT5_T4_T7_jPT6_SL_bb, .Lfunc_end119-_ZN7rocprim6detail20lookback_scan_kernelILNS0_25lookback_scan_determinismE0ELb0ENS0_19wrapped_scan_configINS_14default_configEjEEN6hipcub21CountingInputIteratorIjlEEN10test_utils21single_index_iteratorIjEENS6_3SumEjjNS0_19lookback_scan_stateIjLb0ELb1EEEEEvT2_T3_mT5_T4_T7_jPT6_SL_bb
                                        ; -- End function
	.section	.AMDGPU.csdata,"",@progbits
; Kernel info:
; codeLenInByte = 4452
; NumSgprs: 38
; NumVgprs: 40
; NumAgprs: 0
; TotalNumVgprs: 40
; ScratchSize: 0
; MemoryBound: 0
; FloatMode: 240
; IeeeMode: 1
; LDSByteSize: 5120 bytes/workgroup (compile time only)
; SGPRBlocks: 4
; VGPRBlocks: 4
; NumSGPRsForWavesPerEU: 38
; NumVGPRsForWavesPerEU: 40
; AccumOffset: 40
; Occupancy: 6
; WaveLimiterHint : 0
; COMPUTE_PGM_RSRC2:SCRATCH_EN: 0
; COMPUTE_PGM_RSRC2:USER_SGPR: 6
; COMPUTE_PGM_RSRC2:TRAP_HANDLER: 0
; COMPUTE_PGM_RSRC2:TGID_X_EN: 1
; COMPUTE_PGM_RSRC2:TGID_Y_EN: 0
; COMPUTE_PGM_RSRC2:TGID_Z_EN: 0
; COMPUTE_PGM_RSRC2:TIDIG_COMP_CNT: 0
; COMPUTE_PGM_RSRC3_GFX90A:ACCUM_OFFSET: 9
; COMPUTE_PGM_RSRC3_GFX90A:TG_SPLIT: 0
	.section	.text._ZN7rocprim6detail16transform_kernelINS0_24wrapped_transform_configINS_14default_configEjEEjPjS5_NS_8identityIjEEEEvT1_mT2_T3_,"axG",@progbits,_ZN7rocprim6detail16transform_kernelINS0_24wrapped_transform_configINS_14default_configEjEEjPjS5_NS_8identityIjEEEEvT1_mT2_T3_,comdat
	.protected	_ZN7rocprim6detail16transform_kernelINS0_24wrapped_transform_configINS_14default_configEjEEjPjS5_NS_8identityIjEEEEvT1_mT2_T3_ ; -- Begin function _ZN7rocprim6detail16transform_kernelINS0_24wrapped_transform_configINS_14default_configEjEEjPjS5_NS_8identityIjEEEEvT1_mT2_T3_
	.globl	_ZN7rocprim6detail16transform_kernelINS0_24wrapped_transform_configINS_14default_configEjEEjPjS5_NS_8identityIjEEEEvT1_mT2_T3_
	.p2align	8
	.type	_ZN7rocprim6detail16transform_kernelINS0_24wrapped_transform_configINS_14default_configEjEEjPjS5_NS_8identityIjEEEEvT1_mT2_T3_,@function
_ZN7rocprim6detail16transform_kernelINS0_24wrapped_transform_configINS_14default_configEjEEjPjS5_NS_8identityIjEEEEvT1_mT2_T3_: ; @_ZN7rocprim6detail16transform_kernelINS0_24wrapped_transform_configINS_14default_configEjEEjPjS5_NS_8identityIjEEEEvT1_mT2_T3_
; %bb.0:
	s_load_dword s7, s[4:5], 0x20
	s_load_dwordx4 s[0:3], s[4:5], 0x0
	s_load_dwordx2 s[8:9], s[4:5], 0x10
	s_lshl_b32 s10, s6, 11
	s_mov_b32 s11, 0
	s_waitcnt lgkmcnt(0)
	s_add_i32 s7, s7, -1
	s_lshl_b64 s[4:5], s[10:11], 2
	s_add_u32 s0, s0, s4
	s_addc_u32 s1, s1, s5
	v_lshlrev_b32_e32 v1, 2, v0
	v_mov_b32_e32 v2, s1
	v_add_co_u32_e32 v4, vcc, s0, v1
	s_cmp_lg_u32 s6, s7
	v_addc_co_u32_e32 v5, vcc, 0, v2, vcc
	s_cbranch_scc0 .LBB120_2
; %bb.1:
	v_add_co_u32_e32 v2, vcc, 0x1000, v4
	global_load_dword v6, v[4:5], off
	v_addc_co_u32_e32 v3, vcc, 0, v5, vcc
	global_load_dword v3, v[2:3], off
	s_add_u32 s0, s8, s4
	s_addc_u32 s1, s9, s5
	s_mov_b64 s[6:7], -1
	s_waitcnt vmcnt(1)
	global_store_dword v1, v6, s[0:1]
	s_cbranch_execz .LBB120_3
	s_branch .LBB120_10
.LBB120_2:
	s_mov_b64 s[6:7], 0
                                        ; implicit-def: $vgpr3
.LBB120_3:
	s_sub_i32 s10, s2, s10
	v_cmp_gt_u32_e64 s[0:1], s10, v0
                                        ; implicit-def: $vgpr2_vgpr3
	s_and_saveexec_b64 s[2:3], s[0:1]
	s_cbranch_execz .LBB120_5
; %bb.4:
	global_load_dword v2, v[4:5], off
.LBB120_5:
	s_or_b64 exec, exec, s[2:3]
	v_or_b32_e32 v0, 0x400, v0
	v_cmp_gt_u32_e64 s[2:3], s10, v0
	s_and_saveexec_b64 s[10:11], s[2:3]
	s_cbranch_execnz .LBB120_13
; %bb.6:
	s_or_b64 exec, exec, s[10:11]
	s_and_saveexec_b64 s[10:11], s[0:1]
	s_cbranch_execnz .LBB120_14
.LBB120_7:
	s_or_b64 exec, exec, s[10:11]
	s_and_saveexec_b64 s[0:1], s[2:3]
.LBB120_8:
	s_or_b64 s[6:7], s[6:7], exec
.LBB120_9:
	s_or_b64 exec, exec, s[0:1]
.LBB120_10:
	s_and_saveexec_b64 s[0:1], s[6:7]
	s_cbranch_execnz .LBB120_12
; %bb.11:
	s_endpgm
.LBB120_12:
	s_add_u32 s0, s8, s4
	s_addc_u32 s1, s9, s5
	v_mov_b32_e32 v0, s1
	v_add_co_u32_e32 v1, vcc, s0, v1
	s_waitcnt vmcnt(0)
	v_addc_co_u32_e32 v2, vcc, 0, v0, vcc
	v_add_co_u32_e32 v0, vcc, 0x1000, v1
	v_addc_co_u32_e32 v1, vcc, 0, v2, vcc
	global_store_dword v[0:1], v3, off
	s_endpgm
.LBB120_13:
	v_add_co_u32_e32 v4, vcc, 0x1000, v4
	v_addc_co_u32_e32 v5, vcc, 0, v5, vcc
	global_load_dword v3, v[4:5], off
	s_or_b64 exec, exec, s[10:11]
	s_and_saveexec_b64 s[10:11], s[0:1]
	s_cbranch_execz .LBB120_7
.LBB120_14:
	s_add_u32 s0, s8, s4
	s_addc_u32 s1, s9, s5
	s_waitcnt vmcnt(0)
	global_store_dword v1, v2, s[0:1]
	s_or_b64 exec, exec, s[10:11]
	s_and_saveexec_b64 s[0:1], s[2:3]
	s_cbranch_execnz .LBB120_8
	s_branch .LBB120_9
	.section	.rodata,"a",@progbits
	.p2align	6, 0x0
	.amdhsa_kernel _ZN7rocprim6detail16transform_kernelINS0_24wrapped_transform_configINS_14default_configEjEEjPjS5_NS_8identityIjEEEEvT1_mT2_T3_
		.amdhsa_group_segment_fixed_size 0
		.amdhsa_private_segment_fixed_size 0
		.amdhsa_kernarg_size 288
		.amdhsa_user_sgpr_count 6
		.amdhsa_user_sgpr_private_segment_buffer 1
		.amdhsa_user_sgpr_dispatch_ptr 0
		.amdhsa_user_sgpr_queue_ptr 0
		.amdhsa_user_sgpr_kernarg_segment_ptr 1
		.amdhsa_user_sgpr_dispatch_id 0
		.amdhsa_user_sgpr_flat_scratch_init 0
		.amdhsa_user_sgpr_kernarg_preload_length 0
		.amdhsa_user_sgpr_kernarg_preload_offset 0
		.amdhsa_user_sgpr_private_segment_size 0
		.amdhsa_uses_dynamic_stack 0
		.amdhsa_system_sgpr_private_segment_wavefront_offset 0
		.amdhsa_system_sgpr_workgroup_id_x 1
		.amdhsa_system_sgpr_workgroup_id_y 0
		.amdhsa_system_sgpr_workgroup_id_z 0
		.amdhsa_system_sgpr_workgroup_info 0
		.amdhsa_system_vgpr_workitem_id 0
		.amdhsa_next_free_vgpr 7
		.amdhsa_next_free_sgpr 12
		.amdhsa_accum_offset 8
		.amdhsa_reserve_vcc 1
		.amdhsa_reserve_flat_scratch 0
		.amdhsa_float_round_mode_32 0
		.amdhsa_float_round_mode_16_64 0
		.amdhsa_float_denorm_mode_32 3
		.amdhsa_float_denorm_mode_16_64 3
		.amdhsa_dx10_clamp 1
		.amdhsa_ieee_mode 1
		.amdhsa_fp16_overflow 0
		.amdhsa_tg_split 0
		.amdhsa_exception_fp_ieee_invalid_op 0
		.amdhsa_exception_fp_denorm_src 0
		.amdhsa_exception_fp_ieee_div_zero 0
		.amdhsa_exception_fp_ieee_overflow 0
		.amdhsa_exception_fp_ieee_underflow 0
		.amdhsa_exception_fp_ieee_inexact 0
		.amdhsa_exception_int_div_zero 0
	.end_amdhsa_kernel
	.section	.text._ZN7rocprim6detail16transform_kernelINS0_24wrapped_transform_configINS_14default_configEjEEjPjS5_NS_8identityIjEEEEvT1_mT2_T3_,"axG",@progbits,_ZN7rocprim6detail16transform_kernelINS0_24wrapped_transform_configINS_14default_configEjEEjPjS5_NS_8identityIjEEEEvT1_mT2_T3_,comdat
.Lfunc_end120:
	.size	_ZN7rocprim6detail16transform_kernelINS0_24wrapped_transform_configINS_14default_configEjEEjPjS5_NS_8identityIjEEEEvT1_mT2_T3_, .Lfunc_end120-_ZN7rocprim6detail16transform_kernelINS0_24wrapped_transform_configINS_14default_configEjEEjPjS5_NS_8identityIjEEEEvT1_mT2_T3_
                                        ; -- End function
	.section	.AMDGPU.csdata,"",@progbits
; Kernel info:
; codeLenInByte = 352
; NumSgprs: 16
; NumVgprs: 7
; NumAgprs: 0
; TotalNumVgprs: 7
; ScratchSize: 0
; MemoryBound: 0
; FloatMode: 240
; IeeeMode: 1
; LDSByteSize: 0 bytes/workgroup (compile time only)
; SGPRBlocks: 1
; VGPRBlocks: 0
; NumSGPRsForWavesPerEU: 16
; NumVGPRsForWavesPerEU: 7
; AccumOffset: 8
; Occupancy: 8
; WaveLimiterHint : 1
; COMPUTE_PGM_RSRC2:SCRATCH_EN: 0
; COMPUTE_PGM_RSRC2:USER_SGPR: 6
; COMPUTE_PGM_RSRC2:TRAP_HANDLER: 0
; COMPUTE_PGM_RSRC2:TGID_X_EN: 1
; COMPUTE_PGM_RSRC2:TGID_Y_EN: 0
; COMPUTE_PGM_RSRC2:TGID_Z_EN: 0
; COMPUTE_PGM_RSRC2:TIDIG_COMP_CNT: 0
; COMPUTE_PGM_RSRC3_GFX90A:ACCUM_OFFSET: 1
; COMPUTE_PGM_RSRC3_GFX90A:TG_SPLIT: 0
	.section	.text._ZN7rocprim6detail18single_scan_kernelILb0ENS0_19wrapped_scan_configINS_14default_configEjEEN6hipcub21CountingInputIteratorIjlEEN10test_utils21single_index_iteratorIjEENS5_3SumEjjEEvT1_mT4_T2_T3_,"axG",@progbits,_ZN7rocprim6detail18single_scan_kernelILb0ENS0_19wrapped_scan_configINS_14default_configEjEEN6hipcub21CountingInputIteratorIjlEEN10test_utils21single_index_iteratorIjEENS5_3SumEjjEEvT1_mT4_T2_T3_,comdat
	.protected	_ZN7rocprim6detail18single_scan_kernelILb0ENS0_19wrapped_scan_configINS_14default_configEjEEN6hipcub21CountingInputIteratorIjlEEN10test_utils21single_index_iteratorIjEENS5_3SumEjjEEvT1_mT4_T2_T3_ ; -- Begin function _ZN7rocprim6detail18single_scan_kernelILb0ENS0_19wrapped_scan_configINS_14default_configEjEEN6hipcub21CountingInputIteratorIjlEEN10test_utils21single_index_iteratorIjEENS5_3SumEjjEEvT1_mT4_T2_T3_
	.globl	_ZN7rocprim6detail18single_scan_kernelILb0ENS0_19wrapped_scan_configINS_14default_configEjEEN6hipcub21CountingInputIteratorIjlEEN10test_utils21single_index_iteratorIjEENS5_3SumEjjEEvT1_mT4_T2_T3_
	.p2align	8
	.type	_ZN7rocprim6detail18single_scan_kernelILb0ENS0_19wrapped_scan_configINS_14default_configEjEEN6hipcub21CountingInputIteratorIjlEEN10test_utils21single_index_iteratorIjEENS5_3SumEjjEEvT1_mT4_T2_T3_,@function
_ZN7rocprim6detail18single_scan_kernelILb0ENS0_19wrapped_scan_configINS_14default_configEjEEN6hipcub21CountingInputIteratorIjlEEN10test_utils21single_index_iteratorIjEENS5_3SumEjjEEvT1_mT4_T2_T3_: ; @_ZN7rocprim6detail18single_scan_kernelILb0ENS0_19wrapped_scan_configINS_14default_configEjEEN6hipcub21CountingInputIteratorIjlEEN10test_utils21single_index_iteratorIjEENS5_3SumEjjEEvT1_mT4_T2_T3_
; %bb.0:
	s_load_dword s0, s[4:5], 0x0
	s_load_dword s1, s[4:5], 0x8
	s_load_dwordx4 s[20:23], s[4:5], 0x18
	s_load_dwordx2 s[24:25], s[4:5], 0x28
	v_or_b32_e32 v4, 0x80, v0
	s_waitcnt lgkmcnt(0)
	v_add_u32_e32 v1, s0, v0
	v_mov_b32_e32 v2, s0
	v_add_u32_e32 v5, 0x80, v1
	v_cmp_gt_u32_e64 s[14:15], s1, v4
	v_cndmask_b32_e64 v4, v2, v5, s[14:15]
	v_or_b32_e32 v5, 0x100, v0
	v_add_u32_e32 v6, 0x100, v1
	v_cmp_gt_u32_e64 s[12:13], s1, v5
	v_cndmask_b32_e64 v5, v2, v6, s[12:13]
	v_or_b32_e32 v6, 0x180, v0
	;; [unrolled: 4-line block ×5, first 2 shown]
	v_add_u32_e32 v10, 0x300, v1
	v_cmp_gt_u32_e32 vcc, s1, v9
	v_cndmask_b32_e32 v9, v2, v10, vcc
	v_or_b32_e32 v10, 0x380, v0
	v_add_u32_e32 v11, 0x380, v1
	v_cmp_gt_u32_e64 s[4:5], s1, v10
	v_cndmask_b32_e64 v10, v2, v11, s[4:5]
	v_or_b32_e32 v11, 0x400, v0
	v_add_u32_e32 v12, 0x400, v1
	v_cmp_gt_u32_e64 s[2:3], s1, v11
	v_cmp_gt_u32_e64 s[16:17], s1, v0
	v_cndmask_b32_e64 v11, v2, v12, s[2:3]
	v_or_b32_e32 v12, 0x480, v0
	v_cndmask_b32_e64 v3, v2, v1, s[16:17]
	v_add_u32_e32 v1, 0x480, v1
	v_cmp_gt_u32_e64 s[0:1], s1, v12
	v_cndmask_b32_e64 v2, v2, v1, s[0:1]
	v_lshlrev_b32_e32 v1, 2, v0
	ds_write2st64_b32 v1, v3, v4 offset1:2
	ds_write2st64_b32 v1, v5, v6 offset0:4 offset1:6
	ds_write2st64_b32 v1, v7, v8 offset0:8 offset1:10
	ds_write2st64_b32 v1, v9, v10 offset0:12 offset1:14
	ds_write2st64_b32 v1, v11, v2 offset0:16 offset1:18
	v_mad_u32_u24 v10, v0, 36, v1
	s_waitcnt lgkmcnt(0)
	s_barrier
	ds_read2_b64 v[6:9], v10 offset1:1
	ds_read2_b64 v[2:5], v10 offset0:2 offset1:3
	ds_read_b64 v[10:11], v10 offset:32
	v_lshrrev_b32_e32 v14, 3, v0
	v_and_b32_e32 v14, 12, v14
	s_waitcnt lgkmcnt(2)
	v_add_u32_e32 v13, v7, v6
	v_add3_u32 v13, v13, v8, v9
	s_waitcnt lgkmcnt(1)
	v_add3_u32 v13, v13, v2, v3
	v_add3_u32 v13, v13, v4, v5
	v_mov_b32_e32 v12, 0
	s_waitcnt lgkmcnt(0)
	v_add3_u32 v13, v13, v10, v11
	v_add_u32_e32 v14, v1, v14
	v_cmp_gt_u32_e64 s[18:19], 64, v0
	s_barrier
	ds_write_b32 v14, v13
	s_waitcnt lgkmcnt(0)
	s_barrier
	s_and_saveexec_b64 s[26:27], s[18:19]
	s_cbranch_execz .LBB121_2
; %bb.1:
	v_lshlrev_b32_e32 v14, 1, v0
	v_lshrrev_b32_e32 v15, 4, v0
	v_add_lshl_u32 v16, v15, v14, 2
	ds_read2_b32 v[14:15], v16 offset1:1
	v_mbcnt_lo_u32_b32 v17, -1, 0
	v_mbcnt_hi_u32_b32 v17, -1, v17
	v_and_b32_e32 v18, 15, v17
	v_cmp_ne_u32_e64 s[18:19], 0, v18
	s_waitcnt lgkmcnt(0)
	v_add_u32_e32 v19, v15, v14
	s_nop 1
	v_mov_b32_dpp v20, v19 row_shr:1 row_mask:0xf bank_mask:0xf
	v_cndmask_b32_e64 v20, 0, v20, s[18:19]
	v_add_u32_e32 v19, v20, v19
	v_cmp_lt_u32_e64 s[18:19], 1, v18
	s_nop 0
	v_mov_b32_dpp v20, v19 row_shr:2 row_mask:0xf bank_mask:0xf
	v_cndmask_b32_e64 v20, 0, v20, s[18:19]
	v_add_u32_e32 v19, v19, v20
	v_cmp_lt_u32_e64 s[18:19], 3, v18
	;; [unrolled: 5-line block ×3, first 2 shown]
	s_nop 0
	v_mov_b32_dpp v20, v19 row_shr:8 row_mask:0xf bank_mask:0xf
	v_cndmask_b32_e64 v18, 0, v20, s[18:19]
	v_add_u32_e32 v18, v19, v18
	v_bfe_i32 v20, v17, 4, 1
	v_cmp_lt_u32_e64 s[18:19], 31, v17
	v_mov_b32_dpp v19, v18 row_bcast:15 row_mask:0xf bank_mask:0xf
	v_and_b32_e32 v19, v20, v19
	v_add_u32_e32 v18, v18, v19
	v_and_b32_e32 v20, 64, v17
	s_nop 0
	v_mov_b32_dpp v19, v18 row_bcast:31 row_mask:0xf bank_mask:0xf
	v_cndmask_b32_e64 v19, 0, v19, s[18:19]
	v_add_u32_e32 v18, v18, v19
	v_add_u32_e32 v19, -1, v17
	v_cmp_lt_i32_e64 s[18:19], v19, v20
	v_cndmask_b32_e64 v17, v19, v17, s[18:19]
	v_lshlrev_b32_e32 v17, 2, v17
	ds_bpermute_b32 v17, v17, v18
	v_cmp_eq_u32_e64 s[18:19], 0, v0
	s_waitcnt lgkmcnt(0)
	v_add_u32_e32 v14, v17, v14
	v_cndmask_b32_e64 v13, v14, v13, s[18:19]
	v_add_u32_e32 v14, v13, v15
	ds_write2_b32 v16, v13, v14 offset1:1
.LBB121_2:
	s_or_b64 exec, exec, s[26:27]
	v_mul_u32_u24_e32 v13, 36, v0
	v_cmp_ne_u32_e64 s[18:19], 0, v0
	s_waitcnt lgkmcnt(0)
	s_barrier
	s_and_saveexec_b64 s[26:27], s[18:19]
	s_cbranch_execz .LBB121_4
; %bb.3:
	v_add_u32_e32 v12, -1, v0
	v_lshrrev_b32_e32 v14, 5, v12
	v_add_lshl_u32 v12, v14, v12, 2
	ds_read_b32 v12, v12
.LBB121_4:
	s_or_b64 exec, exec, s[26:27]
	s_waitcnt lgkmcnt(0)
	v_add_u32_e32 v6, v12, v6
	v_add_u32_e32 v7, v6, v7
	;; [unrolled: 1-line block ×11, first 2 shown]
	s_barrier
	ds_write2_b64 v12, v[6:7], v[8:9] offset1:1
	ds_write2_b64 v12, v[2:3], v[4:5] offset0:2 offset1:3
	ds_write_b64 v12, v[10:11] offset:32
	v_mov_b32_e32 v3, s25
	v_add_co_u32_e64 v2, s[18:19], s24, v0
	v_addc_co_u32_e64 v3, s[18:19], 0, v3, s[18:19]
	v_cmp_eq_u64_e64 s[18:19], s[22:23], v[2:3]
	s_and_b64 s[18:19], s[16:17], s[18:19]
	s_movk_i32 s16, 0x80
	v_add_co_u32_e64 v4, s[16:17], s16, v2
	v_addc_co_u32_e64 v5, s[16:17], 0, v3, s[16:17]
	v_cmp_eq_u64_e64 s[16:17], s[22:23], v[4:5]
	s_and_b64 s[14:15], s[14:15], s[16:17]
	s_movk_i32 s16, 0x100
	;; [unrolled: 5-line block ×6, first 2 shown]
	v_add_co_u32_e64 v4, s[16:17], s16, v2
	v_addc_co_u32_e64 v5, s[16:17], 0, v3, s[16:17]
	v_cmp_eq_u64_e64 s[16:17], s[22:23], v[4:5]
	s_movk_i32 s24, 0x380
	s_and_b64 s[16:17], vcc, s[16:17]
	v_add_co_u32_e32 v4, vcc, s24, v2
	v_addc_co_u32_e32 v5, vcc, 0, v3, vcc
	s_or_b64 s[18:19], s[18:19], s[14:15]
	v_cmp_eq_u64_e32 vcc, s[22:23], v[4:5]
	s_movk_i32 s24, 0x400
	s_or_b64 s[18:19], s[12:13], s[18:19]
	s_and_b64 s[4:5], s[4:5], vcc
	v_add_co_u32_e32 v4, vcc, s24, v2
	s_or_b64 s[18:19], s[10:11], s[18:19]
	v_addc_co_u32_e32 v5, vcc, 0, v3, vcc
	s_or_b64 s[18:19], s[8:9], s[18:19]
	v_cmp_eq_u64_e32 vcc, s[22:23], v[4:5]
	s_or_b64 s[18:19], s[6:7], s[18:19]
	s_and_b64 s[2:3], s[2:3], vcc
	v_add_co_u32_e32 v2, vcc, 0x480, v2
	s_or_b64 s[18:19], s[16:17], s[18:19]
	v_addc_co_u32_e32 v3, vcc, 0, v3, vcc
	s_or_b64 s[18:19], s[4:5], s[18:19]
	v_cmp_eq_u64_e32 vcc, s[22:23], v[2:3]
	s_or_b64 s[18:19], s[2:3], s[18:19]
	s_and_b64 vcc, s[0:1], vcc
	s_or_b64 s[0:1], vcc, s[18:19]
	s_waitcnt lgkmcnt(0)
	s_barrier
	s_and_saveexec_b64 s[18:19], s[0:1]
	s_cbranch_execz .LBB121_6
; %bb.5:
	ds_read2st64_b32 v[2:3], v1 offset1:2
	ds_read2st64_b32 v[4:5], v1 offset0:4 offset1:6
	ds_read2st64_b32 v[6:7], v1 offset0:16 offset1:18
	;; [unrolled: 1-line block ×4, first 2 shown]
	s_waitcnt lgkmcnt(4)
	v_cndmask_b32_e64 v2, v2, v3, s[14:15]
	s_waitcnt lgkmcnt(3)
	v_cndmask_b32_e64 v2, v2, v4, s[12:13]
	v_cndmask_b32_e64 v2, v2, v5, s[10:11]
	s_waitcnt lgkmcnt(1)
	v_cndmask_b32_e64 v2, v2, v8, s[8:9]
	;; [unrolled: 3-line block ×3, first 2 shown]
	v_cndmask_b32_e64 v0, v0, v1, s[4:5]
	v_cndmask_b32_e64 v0, v0, v6, s[2:3]
	v_mov_b32_e32 v10, 0
	v_cndmask_b32_e32 v0, v0, v7, vcc
	global_store_dword v10, v0, s[20:21]
.LBB121_6:
	s_endpgm
	.section	.rodata,"a",@progbits
	.p2align	6, 0x0
	.amdhsa_kernel _ZN7rocprim6detail18single_scan_kernelILb0ENS0_19wrapped_scan_configINS_14default_configEjEEN6hipcub21CountingInputIteratorIjlEEN10test_utils21single_index_iteratorIjEENS5_3SumEjjEEvT1_mT4_T2_T3_
		.amdhsa_group_segment_fixed_size 5120
		.amdhsa_private_segment_fixed_size 0
		.amdhsa_kernarg_size 52
		.amdhsa_user_sgpr_count 6
		.amdhsa_user_sgpr_private_segment_buffer 1
		.amdhsa_user_sgpr_dispatch_ptr 0
		.amdhsa_user_sgpr_queue_ptr 0
		.amdhsa_user_sgpr_kernarg_segment_ptr 1
		.amdhsa_user_sgpr_dispatch_id 0
		.amdhsa_user_sgpr_flat_scratch_init 0
		.amdhsa_user_sgpr_kernarg_preload_length 0
		.amdhsa_user_sgpr_kernarg_preload_offset 0
		.amdhsa_user_sgpr_private_segment_size 0
		.amdhsa_uses_dynamic_stack 0
		.amdhsa_system_sgpr_private_segment_wavefront_offset 0
		.amdhsa_system_sgpr_workgroup_id_x 1
		.amdhsa_system_sgpr_workgroup_id_y 0
		.amdhsa_system_sgpr_workgroup_id_z 0
		.amdhsa_system_sgpr_workgroup_info 0
		.amdhsa_system_vgpr_workitem_id 0
		.amdhsa_next_free_vgpr 21
		.amdhsa_next_free_sgpr 28
		.amdhsa_accum_offset 24
		.amdhsa_reserve_vcc 1
		.amdhsa_reserve_flat_scratch 0
		.amdhsa_float_round_mode_32 0
		.amdhsa_float_round_mode_16_64 0
		.amdhsa_float_denorm_mode_32 3
		.amdhsa_float_denorm_mode_16_64 3
		.amdhsa_dx10_clamp 1
		.amdhsa_ieee_mode 1
		.amdhsa_fp16_overflow 0
		.amdhsa_tg_split 0
		.amdhsa_exception_fp_ieee_invalid_op 0
		.amdhsa_exception_fp_denorm_src 0
		.amdhsa_exception_fp_ieee_div_zero 0
		.amdhsa_exception_fp_ieee_overflow 0
		.amdhsa_exception_fp_ieee_underflow 0
		.amdhsa_exception_fp_ieee_inexact 0
		.amdhsa_exception_int_div_zero 0
	.end_amdhsa_kernel
	.section	.text._ZN7rocprim6detail18single_scan_kernelILb0ENS0_19wrapped_scan_configINS_14default_configEjEEN6hipcub21CountingInputIteratorIjlEEN10test_utils21single_index_iteratorIjEENS5_3SumEjjEEvT1_mT4_T2_T3_,"axG",@progbits,_ZN7rocprim6detail18single_scan_kernelILb0ENS0_19wrapped_scan_configINS_14default_configEjEEN6hipcub21CountingInputIteratorIjlEEN10test_utils21single_index_iteratorIjEENS5_3SumEjjEEvT1_mT4_T2_T3_,comdat
.Lfunc_end121:
	.size	_ZN7rocprim6detail18single_scan_kernelILb0ENS0_19wrapped_scan_configINS_14default_configEjEEN6hipcub21CountingInputIteratorIjlEEN10test_utils21single_index_iteratorIjEENS5_3SumEjjEEvT1_mT4_T2_T3_, .Lfunc_end121-_ZN7rocprim6detail18single_scan_kernelILb0ENS0_19wrapped_scan_configINS_14default_configEjEEN6hipcub21CountingInputIteratorIjlEEN10test_utils21single_index_iteratorIjEENS5_3SumEjjEEvT1_mT4_T2_T3_
                                        ; -- End function
	.section	.AMDGPU.csdata,"",@progbits
; Kernel info:
; codeLenInByte = 1444
; NumSgprs: 32
; NumVgprs: 21
; NumAgprs: 0
; TotalNumVgprs: 21
; ScratchSize: 0
; MemoryBound: 0
; FloatMode: 240
; IeeeMode: 1
; LDSByteSize: 5120 bytes/workgroup (compile time only)
; SGPRBlocks: 3
; VGPRBlocks: 2
; NumSGPRsForWavesPerEU: 32
; NumVGPRsForWavesPerEU: 21
; AccumOffset: 24
; Occupancy: 6
; WaveLimiterHint : 0
; COMPUTE_PGM_RSRC2:SCRATCH_EN: 0
; COMPUTE_PGM_RSRC2:USER_SGPR: 6
; COMPUTE_PGM_RSRC2:TRAP_HANDLER: 0
; COMPUTE_PGM_RSRC2:TGID_X_EN: 1
; COMPUTE_PGM_RSRC2:TGID_Y_EN: 0
; COMPUTE_PGM_RSRC2:TGID_Z_EN: 0
; COMPUTE_PGM_RSRC2:TIDIG_COMP_CNT: 0
; COMPUTE_PGM_RSRC3_GFX90A:ACCUM_OFFSET: 5
; COMPUTE_PGM_RSRC3_GFX90A:TG_SPLIT: 0
	.section	.text._ZN7rocprim6detail20lookback_scan_kernelILNS0_25lookback_scan_determinismE0ELb1ENS0_19wrapped_scan_configINS_14default_configEjEEN6hipcub21CountingInputIteratorIjlEEN10test_utils21single_index_iteratorIjEENS6_3SumEjjNS0_19lookback_scan_stateIjLb1ELb1EEEEEvT2_T3_mT5_T4_T7_jPT6_SL_bb,"axG",@progbits,_ZN7rocprim6detail20lookback_scan_kernelILNS0_25lookback_scan_determinismE0ELb1ENS0_19wrapped_scan_configINS_14default_configEjEEN6hipcub21CountingInputIteratorIjlEEN10test_utils21single_index_iteratorIjEENS6_3SumEjjNS0_19lookback_scan_stateIjLb1ELb1EEEEEvT2_T3_mT5_T4_T7_jPT6_SL_bb,comdat
	.protected	_ZN7rocprim6detail20lookback_scan_kernelILNS0_25lookback_scan_determinismE0ELb1ENS0_19wrapped_scan_configINS_14default_configEjEEN6hipcub21CountingInputIteratorIjlEEN10test_utils21single_index_iteratorIjEENS6_3SumEjjNS0_19lookback_scan_stateIjLb1ELb1EEEEEvT2_T3_mT5_T4_T7_jPT6_SL_bb ; -- Begin function _ZN7rocprim6detail20lookback_scan_kernelILNS0_25lookback_scan_determinismE0ELb1ENS0_19wrapped_scan_configINS_14default_configEjEEN6hipcub21CountingInputIteratorIjlEEN10test_utils21single_index_iteratorIjEENS6_3SumEjjNS0_19lookback_scan_stateIjLb1ELb1EEEEEvT2_T3_mT5_T4_T7_jPT6_SL_bb
	.globl	_ZN7rocprim6detail20lookback_scan_kernelILNS0_25lookback_scan_determinismE0ELb1ENS0_19wrapped_scan_configINS_14default_configEjEEN6hipcub21CountingInputIteratorIjlEEN10test_utils21single_index_iteratorIjEENS6_3SumEjjNS0_19lookback_scan_stateIjLb1ELb1EEEEEvT2_T3_mT5_T4_T7_jPT6_SL_bb
	.p2align	8
	.type	_ZN7rocprim6detail20lookback_scan_kernelILNS0_25lookback_scan_determinismE0ELb1ENS0_19wrapped_scan_configINS_14default_configEjEEN6hipcub21CountingInputIteratorIjlEEN10test_utils21single_index_iteratorIjEENS6_3SumEjjNS0_19lookback_scan_stateIjLb1ELb1EEEEEvT2_T3_mT5_T4_T7_jPT6_SL_bb,@function
_ZN7rocprim6detail20lookback_scan_kernelILNS0_25lookback_scan_determinismE0ELb1ENS0_19wrapped_scan_configINS_14default_configEjEEN6hipcub21CountingInputIteratorIjlEEN10test_utils21single_index_iteratorIjEENS6_3SumEjjNS0_19lookback_scan_stateIjLb1ELb1EEEEEvT2_T3_mT5_T4_T7_jPT6_SL_bb: ; @_ZN7rocprim6detail20lookback_scan_kernelILNS0_25lookback_scan_determinismE0ELb1ENS0_19wrapped_scan_configINS_14default_configEjEEN6hipcub21CountingInputIteratorIjlEEN10test_utils21single_index_iteratorIjEENS6_3SumEjjNS0_19lookback_scan_stateIjLb1ELb1EEEEEvT2_T3_mT5_T4_T7_jPT6_SL_bb
; %bb.0:
	s_endpgm
	.section	.rodata,"a",@progbits
	.p2align	6, 0x0
	.amdhsa_kernel _ZN7rocprim6detail20lookback_scan_kernelILNS0_25lookback_scan_determinismE0ELb1ENS0_19wrapped_scan_configINS_14default_configEjEEN6hipcub21CountingInputIteratorIjlEEN10test_utils21single_index_iteratorIjEENS6_3SumEjjNS0_19lookback_scan_stateIjLb1ELb1EEEEEvT2_T3_mT5_T4_T7_jPT6_SL_bb
		.amdhsa_group_segment_fixed_size 0
		.amdhsa_private_segment_fixed_size 0
		.amdhsa_kernarg_size 84
		.amdhsa_user_sgpr_count 6
		.amdhsa_user_sgpr_private_segment_buffer 1
		.amdhsa_user_sgpr_dispatch_ptr 0
		.amdhsa_user_sgpr_queue_ptr 0
		.amdhsa_user_sgpr_kernarg_segment_ptr 1
		.amdhsa_user_sgpr_dispatch_id 0
		.amdhsa_user_sgpr_flat_scratch_init 0
		.amdhsa_user_sgpr_kernarg_preload_length 0
		.amdhsa_user_sgpr_kernarg_preload_offset 0
		.amdhsa_user_sgpr_private_segment_size 0
		.amdhsa_uses_dynamic_stack 0
		.amdhsa_system_sgpr_private_segment_wavefront_offset 0
		.amdhsa_system_sgpr_workgroup_id_x 1
		.amdhsa_system_sgpr_workgroup_id_y 0
		.amdhsa_system_sgpr_workgroup_id_z 0
		.amdhsa_system_sgpr_workgroup_info 0
		.amdhsa_system_vgpr_workitem_id 0
		.amdhsa_next_free_vgpr 1
		.amdhsa_next_free_sgpr 0
		.amdhsa_accum_offset 4
		.amdhsa_reserve_vcc 0
		.amdhsa_reserve_flat_scratch 0
		.amdhsa_float_round_mode_32 0
		.amdhsa_float_round_mode_16_64 0
		.amdhsa_float_denorm_mode_32 3
		.amdhsa_float_denorm_mode_16_64 3
		.amdhsa_dx10_clamp 1
		.amdhsa_ieee_mode 1
		.amdhsa_fp16_overflow 0
		.amdhsa_tg_split 0
		.amdhsa_exception_fp_ieee_invalid_op 0
		.amdhsa_exception_fp_denorm_src 0
		.amdhsa_exception_fp_ieee_div_zero 0
		.amdhsa_exception_fp_ieee_overflow 0
		.amdhsa_exception_fp_ieee_underflow 0
		.amdhsa_exception_fp_ieee_inexact 0
		.amdhsa_exception_int_div_zero 0
	.end_amdhsa_kernel
	.section	.text._ZN7rocprim6detail20lookback_scan_kernelILNS0_25lookback_scan_determinismE0ELb1ENS0_19wrapped_scan_configINS_14default_configEjEEN6hipcub21CountingInputIteratorIjlEEN10test_utils21single_index_iteratorIjEENS6_3SumEjjNS0_19lookback_scan_stateIjLb1ELb1EEEEEvT2_T3_mT5_T4_T7_jPT6_SL_bb,"axG",@progbits,_ZN7rocprim6detail20lookback_scan_kernelILNS0_25lookback_scan_determinismE0ELb1ENS0_19wrapped_scan_configINS_14default_configEjEEN6hipcub21CountingInputIteratorIjlEEN10test_utils21single_index_iteratorIjEENS6_3SumEjjNS0_19lookback_scan_stateIjLb1ELb1EEEEEvT2_T3_mT5_T4_T7_jPT6_SL_bb,comdat
.Lfunc_end122:
	.size	_ZN7rocprim6detail20lookback_scan_kernelILNS0_25lookback_scan_determinismE0ELb1ENS0_19wrapped_scan_configINS_14default_configEjEEN6hipcub21CountingInputIteratorIjlEEN10test_utils21single_index_iteratorIjEENS6_3SumEjjNS0_19lookback_scan_stateIjLb1ELb1EEEEEvT2_T3_mT5_T4_T7_jPT6_SL_bb, .Lfunc_end122-_ZN7rocprim6detail20lookback_scan_kernelILNS0_25lookback_scan_determinismE0ELb1ENS0_19wrapped_scan_configINS_14default_configEjEEN6hipcub21CountingInputIteratorIjlEEN10test_utils21single_index_iteratorIjEENS6_3SumEjjNS0_19lookback_scan_stateIjLb1ELb1EEEEEvT2_T3_mT5_T4_T7_jPT6_SL_bb
                                        ; -- End function
	.section	.AMDGPU.csdata,"",@progbits
; Kernel info:
; codeLenInByte = 4
; NumSgprs: 4
; NumVgprs: 0
; NumAgprs: 0
; TotalNumVgprs: 0
; ScratchSize: 0
; MemoryBound: 0
; FloatMode: 240
; IeeeMode: 1
; LDSByteSize: 0 bytes/workgroup (compile time only)
; SGPRBlocks: 0
; VGPRBlocks: 0
; NumSGPRsForWavesPerEU: 4
; NumVGPRsForWavesPerEU: 1
; AccumOffset: 4
; Occupancy: 8
; WaveLimiterHint : 0
; COMPUTE_PGM_RSRC2:SCRATCH_EN: 0
; COMPUTE_PGM_RSRC2:USER_SGPR: 6
; COMPUTE_PGM_RSRC2:TRAP_HANDLER: 0
; COMPUTE_PGM_RSRC2:TGID_X_EN: 1
; COMPUTE_PGM_RSRC2:TGID_Y_EN: 0
; COMPUTE_PGM_RSRC2:TGID_Z_EN: 0
; COMPUTE_PGM_RSRC2:TIDIG_COMP_CNT: 0
; COMPUTE_PGM_RSRC3_GFX90A:ACCUM_OFFSET: 0
; COMPUTE_PGM_RSRC3_GFX90A:TG_SPLIT: 0
	.section	.text._ZN7rocprim6detail20lookback_scan_kernelILNS0_25lookback_scan_determinismE0ELb1ENS0_19wrapped_scan_configINS_14default_configEjEEN6hipcub21CountingInputIteratorIjlEEN10test_utils21single_index_iteratorIjEENS6_3SumEjjNS0_19lookback_scan_stateIjLb0ELb1EEEEEvT2_T3_mT5_T4_T7_jPT6_SL_bb,"axG",@progbits,_ZN7rocprim6detail20lookback_scan_kernelILNS0_25lookback_scan_determinismE0ELb1ENS0_19wrapped_scan_configINS_14default_configEjEEN6hipcub21CountingInputIteratorIjlEEN10test_utils21single_index_iteratorIjEENS6_3SumEjjNS0_19lookback_scan_stateIjLb0ELb1EEEEEvT2_T3_mT5_T4_T7_jPT6_SL_bb,comdat
	.protected	_ZN7rocprim6detail20lookback_scan_kernelILNS0_25lookback_scan_determinismE0ELb1ENS0_19wrapped_scan_configINS_14default_configEjEEN6hipcub21CountingInputIteratorIjlEEN10test_utils21single_index_iteratorIjEENS6_3SumEjjNS0_19lookback_scan_stateIjLb0ELb1EEEEEvT2_T3_mT5_T4_T7_jPT6_SL_bb ; -- Begin function _ZN7rocprim6detail20lookback_scan_kernelILNS0_25lookback_scan_determinismE0ELb1ENS0_19wrapped_scan_configINS_14default_configEjEEN6hipcub21CountingInputIteratorIjlEEN10test_utils21single_index_iteratorIjEENS6_3SumEjjNS0_19lookback_scan_stateIjLb0ELb1EEEEEvT2_T3_mT5_T4_T7_jPT6_SL_bb
	.globl	_ZN7rocprim6detail20lookback_scan_kernelILNS0_25lookback_scan_determinismE0ELb1ENS0_19wrapped_scan_configINS_14default_configEjEEN6hipcub21CountingInputIteratorIjlEEN10test_utils21single_index_iteratorIjEENS6_3SumEjjNS0_19lookback_scan_stateIjLb0ELb1EEEEEvT2_T3_mT5_T4_T7_jPT6_SL_bb
	.p2align	8
	.type	_ZN7rocprim6detail20lookback_scan_kernelILNS0_25lookback_scan_determinismE0ELb1ENS0_19wrapped_scan_configINS_14default_configEjEEN6hipcub21CountingInputIteratorIjlEEN10test_utils21single_index_iteratorIjEENS6_3SumEjjNS0_19lookback_scan_stateIjLb0ELb1EEEEEvT2_T3_mT5_T4_T7_jPT6_SL_bb,@function
_ZN7rocprim6detail20lookback_scan_kernelILNS0_25lookback_scan_determinismE0ELb1ENS0_19wrapped_scan_configINS_14default_configEjEEN6hipcub21CountingInputIteratorIjlEEN10test_utils21single_index_iteratorIjEENS6_3SumEjjNS0_19lookback_scan_stateIjLb0ELb1EEEEEvT2_T3_mT5_T4_T7_jPT6_SL_bb: ; @_ZN7rocprim6detail20lookback_scan_kernelILNS0_25lookback_scan_determinismE0ELb1ENS0_19wrapped_scan_configINS_14default_configEjEEN6hipcub21CountingInputIteratorIjlEEN10test_utils21single_index_iteratorIjEENS6_3SumEjjNS0_19lookback_scan_stateIjLb0ELb1EEEEEvT2_T3_mT5_T4_T7_jPT6_SL_bb
; %bb.0:
	s_load_dword s0, s[4:5], 0x38
	s_load_dwordx8 s[20:27], s[4:5], 0x8
	s_load_dword s7, s[4:5], 0x0
	s_mul_i32 s33, s6, 0x500
	v_lshlrev_b32_e32 v23, 2, v0
	s_waitcnt lgkmcnt(0)
	s_add_i32 s0, s0, -1
	s_mul_i32 s1, s0, 0x500
	s_sub_u32 s26, s26, s1
	s_subb_u32 s27, s27, 0
	s_cmp_lg_u32 s6, s0
	s_cselect_b64 s[8:9], -1, 0
	s_add_i32 s2, s33, s7
	s_mov_b64 s[0:1], -1
	s_and_b64 vcc, exec, s[8:9]
	v_add_u32_e32 v1, s2, v0
	s_cbranch_vccz .LBB123_2
; %bb.1:
	v_add_u32_e32 v2, 0x80, v1
	v_add_u32_e32 v3, 0x100, v1
	v_add_u32_e32 v4, 0x180, v1
	v_add_u32_e32 v5, 0x200, v1
	v_add_u32_e32 v6, 0x280, v1
	v_add_u32_e32 v7, 0x300, v1
	v_add_u32_e32 v8, 0x380, v1
	v_add_u32_e32 v9, 0x400, v1
	v_add_u32_e32 v10, 0x480, v1
	ds_write2st64_b32 v23, v1, v2 offset1:2
	ds_write2st64_b32 v23, v3, v4 offset0:4 offset1:6
	ds_write2st64_b32 v23, v5, v6 offset0:8 offset1:10
	;; [unrolled: 1-line block ×4, first 2 shown]
	s_waitcnt lgkmcnt(0)
	s_barrier
	s_mov_b64 s[0:1], 0
.LBB123_2:
	s_andn2_b64 vcc, exec, s[0:1]
	v_cmp_gt_u32_e64 s[0:1], s26, v0
	s_cbranch_vccnz .LBB123_4
; %bb.3:
	v_or_b32_e32 v4, 0x80, v0
	v_mov_b32_e32 v2, s2
	v_add_u32_e32 v5, 0x80, v1
	v_cmp_gt_u32_e32 vcc, s26, v4
	v_cndmask_b32_e32 v4, v2, v5, vcc
	v_or_b32_e32 v5, 0x100, v0
	v_add_u32_e32 v6, 0x100, v1
	v_cmp_gt_u32_e32 vcc, s26, v5
	v_cndmask_b32_e32 v5, v2, v6, vcc
	v_or_b32_e32 v6, 0x180, v0
	v_add_u32_e32 v7, 0x180, v1
	v_cmp_gt_u32_e32 vcc, s26, v6
	v_cndmask_b32_e32 v6, v2, v7, vcc
	v_or_b32_e32 v7, 0x200, v0
	v_add_u32_e32 v8, 0x200, v1
	v_cmp_gt_u32_e32 vcc, s26, v7
	v_cndmask_b32_e32 v7, v2, v8, vcc
	v_or_b32_e32 v8, 0x280, v0
	v_add_u32_e32 v9, 0x280, v1
	v_cmp_gt_u32_e32 vcc, s26, v8
	v_cndmask_b32_e32 v8, v2, v9, vcc
	v_or_b32_e32 v9, 0x300, v0
	v_add_u32_e32 v10, 0x300, v1
	v_cmp_gt_u32_e32 vcc, s26, v9
	v_cndmask_b32_e32 v9, v2, v10, vcc
	v_or_b32_e32 v10, 0x380, v0
	v_add_u32_e32 v11, 0x380, v1
	v_cmp_gt_u32_e32 vcc, s26, v10
	v_cndmask_b32_e32 v10, v2, v11, vcc
	v_or_b32_e32 v11, 0x400, v0
	v_add_u32_e32 v12, 0x400, v1
	v_cmp_gt_u32_e32 vcc, s26, v11
	v_cndmask_b32_e32 v11, v2, v12, vcc
	v_or_b32_e32 v12, 0x480, v0
	v_cndmask_b32_e64 v3, v2, v1, s[0:1]
	v_add_u32_e32 v1, 0x480, v1
	v_cmp_gt_u32_e32 vcc, s26, v12
	v_cndmask_b32_e32 v1, v2, v1, vcc
	ds_write2st64_b32 v23, v3, v4 offset1:2
	ds_write2st64_b32 v23, v5, v6 offset0:4 offset1:6
	ds_write2st64_b32 v23, v7, v8 offset0:8 offset1:10
	ds_write2st64_b32 v23, v9, v10 offset0:12 offset1:14
	ds_write2st64_b32 v23, v11, v1 offset0:16 offset1:18
	s_waitcnt lgkmcnt(0)
	s_barrier
.LBB123_4:
	v_mul_u32_u24_e32 v22, 10, v0
	v_lshlrev_b32_e32 v1, 2, v22
	s_load_dwordx2 s[10:11], s[4:5], 0x30
	s_waitcnt lgkmcnt(0)
	ds_read2_b64 v[16:19], v1 offset1:1
	ds_read2_b64 v[12:15], v1 offset0:2 offset1:3
	ds_read_b64 v[20:21], v1 offset:32
	s_cmp_lg_u32 s6, 0
	v_lshrrev_b32_e32 v24, 5, v0
	s_waitcnt lgkmcnt(2)
	v_add_u32_e32 v2, v17, v16
	v_add3_u32 v25, v2, v18, v19
	v_cmp_gt_u32_e32 vcc, 64, v0
	s_waitcnt lgkmcnt(0)
	s_barrier
	s_cbranch_scc0 .LBB123_29
; %bb.5:
	v_add3_u32 v2, v25, v12, v13
	v_add3_u32 v2, v2, v14, v15
	;; [unrolled: 1-line block ×3, first 2 shown]
	v_add_lshl_u32 v3, v24, v0, 2
	ds_write_b32 v3, v2
	s_waitcnt lgkmcnt(0)
	s_barrier
	s_and_saveexec_b64 s[2:3], vcc
	s_cbranch_execz .LBB123_7
; %bb.6:
	v_lshlrev_b32_e32 v3, 1, v0
	v_lshrrev_b32_e32 v4, 4, v0
	v_add_lshl_u32 v3, v4, v3, 2
	ds_read2_b32 v[4:5], v3 offset1:1
	v_mbcnt_lo_u32_b32 v6, -1, 0
	v_mbcnt_hi_u32_b32 v6, -1, v6
	v_and_b32_e32 v7, 15, v6
	v_cmp_ne_u32_e64 s[0:1], 0, v7
	s_waitcnt lgkmcnt(0)
	v_add_u32_e32 v8, v5, v4
	s_nop 1
	v_mov_b32_dpp v9, v8 row_shr:1 row_mask:0xf bank_mask:0xf
	v_cndmask_b32_e64 v9, 0, v9, s[0:1]
	v_add_u32_e32 v8, v9, v8
	v_cmp_lt_u32_e64 s[0:1], 1, v7
	s_nop 0
	v_mov_b32_dpp v9, v8 row_shr:2 row_mask:0xf bank_mask:0xf
	v_cndmask_b32_e64 v9, 0, v9, s[0:1]
	v_add_u32_e32 v8, v8, v9
	v_cmp_lt_u32_e64 s[0:1], 3, v7
	s_nop 0
	v_mov_b32_dpp v9, v8 row_shr:4 row_mask:0xf bank_mask:0xf
	v_cndmask_b32_e64 v9, 0, v9, s[0:1]
	v_add_u32_e32 v8, v8, v9
	v_cmp_lt_u32_e64 s[0:1], 7, v7
	s_nop 0
	v_mov_b32_dpp v9, v8 row_shr:8 row_mask:0xf bank_mask:0xf
	v_cndmask_b32_e64 v7, 0, v9, s[0:1]
	v_add_u32_e32 v7, v8, v7
	v_bfe_i32 v9, v6, 4, 1
	v_cmp_lt_u32_e64 s[0:1], 31, v6
	v_mov_b32_dpp v8, v7 row_bcast:15 row_mask:0xf bank_mask:0xf
	v_and_b32_e32 v8, v9, v8
	v_add_u32_e32 v7, v7, v8
	v_and_b32_e32 v9, 64, v6
	s_nop 0
	v_mov_b32_dpp v8, v7 row_bcast:31 row_mask:0xf bank_mask:0xf
	v_cndmask_b32_e64 v8, 0, v8, s[0:1]
	v_add_u32_e32 v7, v7, v8
	v_add_u32_e32 v8, -1, v6
	v_cmp_lt_i32_e64 s[0:1], v8, v9
	v_cndmask_b32_e64 v6, v8, v6, s[0:1]
	v_lshlrev_b32_e32 v6, 2, v6
	ds_bpermute_b32 v6, v6, v7
	v_cmp_eq_u32_e64 s[0:1], 0, v0
	s_waitcnt lgkmcnt(0)
	v_add_u32_e32 v4, v6, v4
	v_cndmask_b32_e64 v2, v4, v2, s[0:1]
	v_add_u32_e32 v4, v2, v5
	ds_write2_b32 v3, v2, v4 offset1:1
.LBB123_7:
	s_or_b64 exec, exec, s[2:3]
	v_cmp_eq_u32_e64 s[0:1], 0, v0
	v_cmp_ne_u32_e64 s[2:3], 0, v0
	v_mov_b32_e32 v26, 0
	s_waitcnt lgkmcnt(0)
	s_barrier
	s_and_saveexec_b64 s[12:13], s[2:3]
	s_cbranch_execz .LBB123_9
; %bb.8:
	v_add_u32_e32 v2, -1, v0
	v_lshrrev_b32_e32 v3, 5, v2
	v_add_lshl_u32 v2, v3, v2, 2
	ds_read_b32 v26, v2
.LBB123_9:
	s_or_b64 exec, exec, s[12:13]
	s_and_saveexec_b64 s[12:13], vcc
	s_cbranch_execz .LBB123_28
; %bb.10:
	v_mov_b32_e32 v9, 0
	ds_read_b32 v2, v9 offset:520
	v_mbcnt_lo_u32_b32 v3, -1, 0
	v_mbcnt_hi_u32_b32 v5, -1, v3
	s_mov_b32 s17, 0
	v_cmp_eq_u32_e64 s[2:3], 0, v5
	s_and_saveexec_b64 s[14:15], s[2:3]
	s_cbranch_execz .LBB123_12
; %bb.11:
	s_add_i32 s16, s6, 64
	s_lshl_b64 s[16:17], s[16:17], 3
	s_add_u32 s16, s10, s16
	s_addc_u32 s17, s11, s17
	v_mov_b32_e32 v3, 1
	s_waitcnt lgkmcnt(0)
	global_store_dwordx2 v9, v[2:3], s[16:17]
.LBB123_12:
	s_or_b64 exec, exec, s[14:15]
	v_xad_u32 v4, v5, -1, s6
	v_add_u32_e32 v8, 64, v4
	v_lshlrev_b64 v[6:7], 3, v[8:9]
	v_mov_b32_e32 v3, s11
	v_add_co_u32_e32 v10, vcc, s10, v6
	v_addc_co_u32_e32 v11, vcc, v3, v7, vcc
	global_load_dwordx2 v[6:7], v[10:11], off glc
	s_waitcnt vmcnt(0)
	v_cmp_eq_u16_sdwa s[16:17], v7, v9 src0_sel:BYTE_0 src1_sel:DWORD
	s_and_saveexec_b64 s[14:15], s[16:17]
	s_cbranch_execz .LBB123_16
; %bb.13:
	s_mov_b64 s[16:17], 0
	v_mov_b32_e32 v3, 0
.LBB123_14:                             ; =>This Inner Loop Header: Depth=1
	global_load_dwordx2 v[6:7], v[10:11], off glc
	s_waitcnt vmcnt(0)
	v_cmp_ne_u16_sdwa s[18:19], v7, v3 src0_sel:BYTE_0 src1_sel:DWORD
	s_or_b64 s[16:17], s[18:19], s[16:17]
	s_andn2_b64 exec, exec, s[16:17]
	s_cbranch_execnz .LBB123_14
; %bb.15:
	s_or_b64 exec, exec, s[16:17]
.LBB123_16:
	s_or_b64 exec, exec, s[14:15]
	v_and_b32_e32 v35, 63, v5
	v_mov_b32_e32 v3, 2
	v_cmp_ne_u32_e32 vcc, 63, v35
	v_cmp_eq_u16_sdwa s[14:15], v7, v3 src0_sel:BYTE_0 src1_sel:DWORD
	v_lshlrev_b64 v[8:9], v5, -1
	v_addc_co_u32_e32 v27, vcc, 0, v5, vcc
	v_and_b32_e32 v10, s15, v9
	v_lshlrev_b32_e32 v27, 2, v27
	v_or_b32_e32 v10, 0x80000000, v10
	ds_bpermute_b32 v29, v27, v6
	v_and_b32_e32 v11, s14, v8
	v_ffbl_b32_e32 v10, v10
	v_add_u32_e32 v10, 32, v10
	v_ffbl_b32_e32 v11, v11
	v_min_u32_e32 v10, v11, v10
	v_add_u32_e32 v28, 1, v5
	v_cmp_le_u32_e32 vcc, v28, v10
	s_waitcnt lgkmcnt(0)
	v_cndmask_b32_e32 v11, 0, v29, vcc
	v_cmp_gt_u32_e32 vcc, 62, v35
	v_add_u32_e32 v6, v11, v6
	v_cndmask_b32_e64 v11, 0, 1, vcc
	v_lshlrev_b32_e32 v11, 1, v11
	v_add_lshl_u32 v29, v11, v5, 2
	ds_bpermute_b32 v11, v29, v6
	v_add_u32_e32 v30, 2, v5
	v_cmp_le_u32_e32 vcc, v30, v10
	v_add_u32_e32 v32, 4, v5
	v_add_u32_e32 v34, 8, v5
	s_waitcnt lgkmcnt(0)
	v_cndmask_b32_e32 v11, 0, v11, vcc
	v_cmp_gt_u32_e32 vcc, 60, v35
	v_add_u32_e32 v6, v6, v11
	v_cndmask_b32_e64 v11, 0, 1, vcc
	v_lshlrev_b32_e32 v11, 2, v11
	v_add_lshl_u32 v31, v11, v5, 2
	ds_bpermute_b32 v11, v31, v6
	v_cmp_le_u32_e32 vcc, v32, v10
	v_add_u32_e32 v37, 16, v5
	v_add_u32_e32 v39, 32, v5
	s_waitcnt lgkmcnt(0)
	v_cndmask_b32_e32 v11, 0, v11, vcc
	v_cmp_gt_u32_e32 vcc, 56, v35
	v_add_u32_e32 v6, v6, v11
	v_cndmask_b32_e64 v11, 0, 1, vcc
	v_lshlrev_b32_e32 v11, 3, v11
	v_add_lshl_u32 v33, v11, v5, 2
	ds_bpermute_b32 v11, v33, v6
	v_cmp_le_u32_e32 vcc, v34, v10
	s_waitcnt lgkmcnt(0)
	v_cndmask_b32_e32 v11, 0, v11, vcc
	v_cmp_gt_u32_e32 vcc, 48, v35
	v_add_u32_e32 v6, v6, v11
	v_cndmask_b32_e64 v11, 0, 1, vcc
	v_lshlrev_b32_e32 v11, 4, v11
	v_add_lshl_u32 v36, v11, v5, 2
	ds_bpermute_b32 v11, v36, v6
	v_cmp_le_u32_e32 vcc, v37, v10
	;; [unrolled: 9-line block ×3, first 2 shown]
	s_waitcnt lgkmcnt(0)
	v_cndmask_b32_e32 v5, 0, v11, vcc
	v_add_u32_e32 v6, v6, v5
	v_mov_b32_e32 v5, 0
	s_branch .LBB123_18
.LBB123_17:                             ;   in Loop: Header=BB123_18 Depth=1
	s_or_b64 exec, exec, s[14:15]
	v_cmp_eq_u16_sdwa s[14:15], v7, v3 src0_sel:BYTE_0 src1_sel:DWORD
	v_and_b32_e32 v10, s15, v9
	v_or_b32_e32 v10, 0x80000000, v10
	ds_bpermute_b32 v40, v27, v6
	v_and_b32_e32 v11, s14, v8
	v_ffbl_b32_e32 v10, v10
	v_add_u32_e32 v10, 32, v10
	v_ffbl_b32_e32 v11, v11
	v_min_u32_e32 v10, v11, v10
	v_cmp_le_u32_e32 vcc, v28, v10
	s_waitcnt lgkmcnt(0)
	v_cndmask_b32_e32 v11, 0, v40, vcc
	v_add_u32_e32 v6, v11, v6
	ds_bpermute_b32 v11, v29, v6
	v_cmp_le_u32_e32 vcc, v30, v10
	v_subrev_u32_e32 v4, 64, v4
	s_waitcnt lgkmcnt(0)
	v_cndmask_b32_e32 v11, 0, v11, vcc
	v_add_u32_e32 v6, v6, v11
	ds_bpermute_b32 v11, v31, v6
	v_cmp_le_u32_e32 vcc, v32, v10
	s_waitcnt lgkmcnt(0)
	v_cndmask_b32_e32 v11, 0, v11, vcc
	v_add_u32_e32 v6, v6, v11
	ds_bpermute_b32 v11, v33, v6
	v_cmp_le_u32_e32 vcc, v34, v10
	;; [unrolled: 5-line block ×4, first 2 shown]
	s_waitcnt lgkmcnt(0)
	v_cndmask_b32_e32 v10, 0, v11, vcc
	v_add3_u32 v6, v10, v35, v6
.LBB123_18:                             ; =>This Loop Header: Depth=1
                                        ;     Child Loop BB123_21 Depth 2
	v_cmp_ne_u16_sdwa s[14:15], v7, v3 src0_sel:BYTE_0 src1_sel:DWORD
	v_cndmask_b32_e64 v7, 0, 1, s[14:15]
	;;#ASMSTART
	;;#ASMEND
	v_cmp_ne_u32_e32 vcc, 0, v7
	s_cmp_lg_u64 vcc, exec
	v_mov_b32_e32 v35, v6
	s_cbranch_scc1 .LBB123_23
; %bb.19:                               ;   in Loop: Header=BB123_18 Depth=1
	v_lshlrev_b64 v[6:7], 3, v[4:5]
	v_mov_b32_e32 v11, s11
	v_add_co_u32_e32 v10, vcc, s10, v6
	v_addc_co_u32_e32 v11, vcc, v11, v7, vcc
	global_load_dwordx2 v[6:7], v[10:11], off glc
	s_waitcnt vmcnt(0)
	v_cmp_eq_u16_sdwa s[16:17], v7, v5 src0_sel:BYTE_0 src1_sel:DWORD
	s_and_saveexec_b64 s[14:15], s[16:17]
	s_cbranch_execz .LBB123_17
; %bb.20:                               ;   in Loop: Header=BB123_18 Depth=1
	s_mov_b64 s[16:17], 0
.LBB123_21:                             ;   Parent Loop BB123_18 Depth=1
                                        ; =>  This Inner Loop Header: Depth=2
	global_load_dwordx2 v[6:7], v[10:11], off glc
	s_waitcnt vmcnt(0)
	v_cmp_ne_u16_sdwa s[18:19], v7, v5 src0_sel:BYTE_0 src1_sel:DWORD
	s_or_b64 s[16:17], s[18:19], s[16:17]
	s_andn2_b64 exec, exec, s[16:17]
	s_cbranch_execnz .LBB123_21
; %bb.22:                               ;   in Loop: Header=BB123_18 Depth=1
	s_or_b64 exec, exec, s[16:17]
	s_branch .LBB123_17
.LBB123_23:                             ;   in Loop: Header=BB123_18 Depth=1
                                        ; implicit-def: $vgpr6
                                        ; implicit-def: $vgpr7
	s_cbranch_execz .LBB123_18
; %bb.24:
	s_and_saveexec_b64 s[14:15], s[2:3]
	s_cbranch_execz .LBB123_26
; %bb.25:
	s_add_i32 s2, s6, 64
	s_mov_b32 s3, 0
	s_lshl_b64 s[2:3], s[2:3], 3
	s_add_u32 s2, s10, s2
	s_addc_u32 s3, s11, s3
	v_mov_b32_e32 v4, 0
	v_add_u32_e32 v2, v35, v2
	v_mov_b32_e32 v3, 2
	global_store_dwordx2 v4, v[2:3], s[2:3]
.LBB123_26:
	s_or_b64 exec, exec, s[14:15]
	s_and_b64 exec, exec, s[0:1]
	s_cbranch_execz .LBB123_28
; %bb.27:
	v_mov_b32_e32 v2, 0
	ds_write_b32 v2, v35
.LBB123_28:
	s_or_b64 exec, exec, s[12:13]
	v_mov_b32_e32 v2, 0
	s_waitcnt lgkmcnt(0)
	s_barrier
	ds_read_b32 v2, v2
	s_waitcnt lgkmcnt(0)
	v_add_u32_e32 v2, v2, v26
	v_add_u32_e32 v3, v2, v16
	;; [unrolled: 1-line block ×10, first 2 shown]
	s_load_dwordx4 s[28:31], s[4:5], 0x40
	s_branch .LBB123_40
.LBB123_29:
                                        ; implicit-def: $vgpr2_vgpr3_vgpr4_vgpr5_vgpr6_vgpr7_vgpr8_vgpr9_vgpr10_vgpr11
	s_load_dwordx4 s[28:31], s[4:5], 0x40
	s_cbranch_execz .LBB123_40
; %bb.30:
	s_load_dword s0, s[4:5], 0x50
	s_waitcnt lgkmcnt(0)
	s_bitcmp0_b32 s0, 0
	s_cbranch_scc1 .LBB123_32
; %bb.31:
	s_load_dword s0, s[28:29], 0x0
	s_waitcnt lgkmcnt(0)
	s_add_i32 s0, s7, s0
	s_add_i32 s6, s0, -1
	s_branch .LBB123_33
.LBB123_32:
	s_load_dword s6, s[4:5], 0x28
.LBB123_33:
	v_add3_u32 v2, v25, v12, v13
	v_add3_u32 v2, v2, v14, v15
	;; [unrolled: 1-line block ×3, first 2 shown]
	v_add_lshl_u32 v3, v24, v0, 2
	v_cmp_gt_u32_e32 vcc, 64, v0
	ds_write_b32 v3, v2
	s_waitcnt lgkmcnt(0)
	s_barrier
	s_and_saveexec_b64 s[0:1], vcc
	s_cbranch_execz .LBB123_35
; %bb.34:
	v_lshlrev_b32_e32 v3, 1, v0
	v_lshrrev_b32_e32 v4, 4, v0
	v_add_lshl_u32 v3, v4, v3, 2
	ds_read2_b32 v[4:5], v3 offset1:1
	v_mbcnt_lo_u32_b32 v6, -1, 0
	v_mbcnt_hi_u32_b32 v6, -1, v6
	v_and_b32_e32 v7, 15, v6
	v_cmp_ne_u32_e32 vcc, 0, v7
	s_waitcnt lgkmcnt(0)
	v_add_u32_e32 v8, v5, v4
	s_nop 1
	v_mov_b32_dpp v9, v8 row_shr:1 row_mask:0xf bank_mask:0xf
	v_cndmask_b32_e32 v9, 0, v9, vcc
	v_add_u32_e32 v8, v9, v8
	v_cmp_lt_u32_e32 vcc, 1, v7
	s_nop 0
	v_mov_b32_dpp v9, v8 row_shr:2 row_mask:0xf bank_mask:0xf
	v_cndmask_b32_e32 v9, 0, v9, vcc
	v_add_u32_e32 v8, v8, v9
	v_cmp_lt_u32_e32 vcc, 3, v7
	;; [unrolled: 5-line block ×3, first 2 shown]
	s_nop 0
	v_mov_b32_dpp v9, v8 row_shr:8 row_mask:0xf bank_mask:0xf
	v_cndmask_b32_e32 v7, 0, v9, vcc
	v_add_u32_e32 v7, v8, v7
	v_bfe_i32 v9, v6, 4, 1
	v_cmp_lt_u32_e32 vcc, 31, v6
	v_mov_b32_dpp v8, v7 row_bcast:15 row_mask:0xf bank_mask:0xf
	v_and_b32_e32 v8, v9, v8
	v_add_u32_e32 v7, v7, v8
	v_and_b32_e32 v9, 64, v6
	s_nop 0
	v_mov_b32_dpp v8, v7 row_bcast:31 row_mask:0xf bank_mask:0xf
	v_cndmask_b32_e32 v8, 0, v8, vcc
	v_add_u32_e32 v7, v7, v8
	v_add_u32_e32 v8, -1, v6
	v_cmp_lt_i32_e32 vcc, v8, v9
	v_cndmask_b32_e32 v6, v8, v6, vcc
	v_lshlrev_b32_e32 v6, 2, v6
	ds_bpermute_b32 v6, v6, v7
	v_cmp_eq_u32_e32 vcc, 0, v0
	s_waitcnt lgkmcnt(0)
	v_add_u32_e32 v4, v6, v4
	v_cndmask_b32_e32 v2, v4, v2, vcc
	v_add_u32_e32 v4, v2, v5
	ds_write2_b32 v3, v2, v4 offset1:1
.LBB123_35:
	s_or_b64 exec, exec, s[0:1]
	v_cmp_eq_u32_e32 vcc, 0, v0
	v_cmp_ne_u32_e64 s[0:1], 0, v0
	v_mov_b32_e32 v2, s6
	s_waitcnt lgkmcnt(0)
	s_barrier
	s_and_saveexec_b64 s[2:3], s[0:1]
	s_cbranch_execz .LBB123_37
; %bb.36:
	v_add_u32_e32 v2, -1, v0
	v_lshrrev_b32_e32 v3, 5, v2
	v_add_lshl_u32 v2, v3, v2, 2
	ds_read_b32 v2, v2
	s_waitcnt lgkmcnt(0)
	v_add_u32_e32 v2, s6, v2
.LBB123_37:
	s_or_b64 exec, exec, s[2:3]
	v_add_u32_e32 v3, v2, v16
	v_add_u32_e32 v4, v3, v17
	;; [unrolled: 1-line block ×9, first 2 shown]
	s_and_saveexec_b64 s[0:1], vcc
	s_cbranch_execz .LBB123_39
; %bb.38:
	v_mov_b32_e32 v14, 0
	ds_read_b32 v12, v14 offset:520
	v_mov_b32_e32 v13, 2
	s_waitcnt lgkmcnt(0)
	v_add_u32_e32 v12, s6, v12
	global_store_dwordx2 v14, v[12:13], s[10:11] offset:512
.LBB123_39:
	s_or_b64 exec, exec, s[0:1]
.LBB123_40:
	s_mov_b64 s[0:1], -1
	s_and_b64 vcc, exec, s[8:9]
	s_waitcnt lgkmcnt(0)
	s_barrier
	s_cbranch_vccz .LBB123_44
; %bb.41:
	s_add_u32 s0, s24, s33
	s_addc_u32 s1, s25, 0
	v_mov_b32_e32 v13, s1
	v_add_co_u32_e32 v14, vcc, s0, v0
	s_movk_i32 s0, 0x80
	v_addc_co_u32_e32 v15, vcc, 0, v13, vcc
	v_add_co_u32_e64 v16, s[0:1], s0, v14
	v_addc_co_u32_e64 v17, s[0:1], 0, v15, s[0:1]
	v_cmp_eq_u64_e32 vcc, s[22:23], v[14:15]
	v_cmp_eq_u64_e64 s[0:1], s[22:23], v[16:17]
	s_movk_i32 s2, 0x100
	s_or_b64 s[6:7], vcc, s[0:1]
	v_add_co_u32_e32 v16, vcc, s2, v14
	v_addc_co_u32_e32 v17, vcc, 0, v15, vcc
	v_cmp_eq_u64_e64 s[2:3], s[22:23], v[16:17]
	s_or_b64 s[8:9], s[2:3], s[6:7]
	s_movk_i32 s6, 0x180
	v_add_co_u32_e32 v16, vcc, s6, v14
	v_addc_co_u32_e32 v17, vcc, 0, v15, vcc
	v_cmp_eq_u64_e64 s[6:7], s[22:23], v[16:17]
	s_or_b64 s[10:11], s[6:7], s[8:9]
	s_movk_i32 s8, 0x200
	;; [unrolled: 5-line block ×6, first 2 shown]
	v_add_co_u32_e32 v16, vcc, s16, v14
	v_addc_co_u32_e32 v17, vcc, 0, v15, vcc
	v_add_co_u32_e32 v14, vcc, 0x480, v14
	v_cmp_eq_u64_e64 s[16:17], s[22:23], v[16:17]
	v_addc_co_u32_e32 v15, vcc, 0, v15, vcc
	s_or_b64 s[18:19], s[16:17], s[18:19]
	v_cmp_eq_u64_e32 vcc, s[22:23], v[14:15]
	v_mov_b32_e32 v12, 0
	s_or_b64 s[28:29], vcc, s[18:19]
	ds_write2_b64 v1, v[2:3], v[4:5] offset1:1
	ds_write2_b64 v1, v[6:7], v[8:9] offset0:2 offset1:3
	ds_write_b64 v1, v[10:11] offset:32
	s_waitcnt lgkmcnt(0)
	s_barrier
	s_and_saveexec_b64 s[18:19], s[28:29]
	s_cbranch_execz .LBB123_43
; %bb.42:
	ds_read2st64_b32 v[14:15], v23 offset1:2
	ds_read2st64_b32 v[16:17], v23 offset0:4 offset1:6
	ds_read2st64_b32 v[18:19], v23 offset0:16 offset1:18
	;; [unrolled: 1-line block ×4, first 2 shown]
	s_waitcnt lgkmcnt(4)
	v_cndmask_b32_e64 v13, v14, v15, s[0:1]
	s_waitcnt lgkmcnt(3)
	v_cndmask_b32_e64 v13, v13, v16, s[2:3]
	v_cndmask_b32_e64 v13, v13, v17, s[6:7]
	s_waitcnt lgkmcnt(1)
	v_cndmask_b32_e64 v13, v13, v20, s[8:9]
	;; [unrolled: 3-line block ×3, first 2 shown]
	v_cndmask_b32_e64 v13, v13, v25, s[14:15]
	v_cndmask_b32_e64 v13, v13, v18, s[16:17]
	v_cndmask_b32_e32 v13, v13, v19, vcc
	global_store_dword v12, v13, s[20:21]
.LBB123_43:
	s_or_b64 exec, exec, s[18:19]
	s_mov_b64 s[0:1], 0
.LBB123_44:
	s_andn2_b64 vcc, exec, s[0:1]
	s_cbranch_vccnz .LBB123_82
; %bb.45:
	v_add_co_u32_e32 v12, vcc, s33, v0
	v_addc_co_u32_e64 v13, s[0:1], 0, 0, vcc
	v_mov_b32_e32 v15, s25
	v_add_co_u32_e32 v12, vcc, s24, v12
	v_addc_co_u32_e32 v13, vcc, v13, v15, vcc
	s_movk_i32 s6, 0x80
	v_or_b32_e32 v14, 0x80, v0
	v_cmp_gt_u32_e32 vcc, s26, v0
	v_cmp_eq_u64_e64 s[0:1], s[22:23], v[12:13]
	s_and_b64 s[2:3], vcc, s[0:1]
	v_cmp_gt_u32_e32 vcc, s26, v14
	v_add_co_u32_e64 v14, s[0:1], s6, v12
	v_addc_co_u32_e64 v15, s[0:1], 0, v13, s[0:1]
	v_cmp_eq_u64_e64 s[0:1], s[22:23], v[14:15]
	s_movk_i32 s8, 0x100
	s_and_b64 s[0:1], vcc, s[0:1]
	s_or_b64 s[6:7], s[2:3], s[0:1]
	v_add_co_u32_e64 v14, s[2:3], s8, v12
	v_or_b32_e32 v16, 0x100, v0
	v_addc_co_u32_e64 v15, s[2:3], 0, v13, s[2:3]
	v_cmp_gt_u32_e32 vcc, s26, v16
	v_cmp_eq_u64_e64 s[2:3], s[22:23], v[14:15]
	s_movk_i32 s10, 0x180
	s_and_b64 s[2:3], vcc, s[2:3]
	s_or_b64 s[8:9], s[2:3], s[6:7]
	v_add_co_u32_e64 v14, s[6:7], s10, v12
	v_or_b32_e32 v17, 0x180, v0
	v_addc_co_u32_e64 v15, s[6:7], 0, v13, s[6:7]
	v_cmp_gt_u32_e32 vcc, s26, v17
	;; [unrolled: 8-line block ×4, first 2 shown]
	v_cmp_eq_u64_e64 s[10:11], s[22:23], v[14:15]
	s_movk_i32 s16, 0x300
	s_and_b64 s[10:11], vcc, s[10:11]
	s_or_b64 s[14:15], s[10:11], s[12:13]
	v_add_co_u32_e64 v14, s[12:13], s16, v12
	v_or_b32_e32 v20, 0x300, v0
	v_addc_co_u32_e64 v15, s[12:13], 0, v13, s[12:13]
	s_movk_i32 s18, 0x380
	v_cmp_gt_u32_e32 vcc, s26, v20
	v_cmp_eq_u64_e64 s[12:13], s[22:23], v[14:15]
	s_and_b64 s[12:13], vcc, s[12:13]
	v_add_co_u32_e32 v14, vcc, s18, v12
	v_or_b32_e32 v21, 0x380, v0
	v_addc_co_u32_e32 v15, vcc, 0, v13, vcc
	s_movk_i32 s28, 0x400
	s_or_b64 s[16:17], s[12:13], s[14:15]
	v_cmp_gt_u32_e64 s[14:15], s26, v21
	v_cmp_eq_u64_e32 vcc, s[22:23], v[14:15]
	s_and_b64 s[14:15], s[14:15], vcc
	v_add_co_u32_e32 v14, vcc, s28, v12
	v_or_b32_e32 v24, 0x400, v0
	v_addc_co_u32_e32 v15, vcc, 0, v13, vcc
	s_or_b64 s[18:19], s[14:15], s[16:17]
	v_cmp_gt_u32_e64 s[16:17], s26, v24
	v_cmp_eq_u64_e32 vcc, s[22:23], v[14:15]
	ds_write2_b64 v1, v[2:3], v[4:5] offset1:1
	ds_write2_b64 v1, v[6:7], v[8:9] offset0:2 offset1:3
	ds_write_b64 v1, v[10:11] offset:32
	s_waitcnt lgkmcnt(0)
	s_barrier
	ds_read2st64_b32 v[2:3], v23 offset1:2
	ds_read2st64_b32 v[6:7], v23 offset0:4 offset1:6
	ds_read2st64_b32 v[4:5], v23 offset0:8 offset1:10
	;; [unrolled: 1-line block ×4, first 2 shown]
	s_and_b64 s[16:17], s[16:17], vcc
	v_add_co_u32_e32 v12, vcc, 0x480, v12
	v_or_b32_e32 v23, 0x480, v0
	v_addc_co_u32_e32 v13, vcc, 0, v13, vcc
	s_or_b64 s[24:25], s[16:17], s[18:19]
	v_cmp_gt_u32_e64 s[18:19], s26, v23
	v_cmp_eq_u64_e32 vcc, s[22:23], v[12:13]
	s_and_b64 vcc, s[18:19], vcc
	v_mov_b32_e32 v1, 0
	s_or_b64 s[22:23], vcc, s[24:25]
	s_and_saveexec_b64 s[18:19], s[22:23]
	s_cbranch_execz .LBB123_47
; %bb.46:
	s_waitcnt lgkmcnt(4)
	v_cndmask_b32_e64 v12, v2, v3, s[0:1]
	s_waitcnt lgkmcnt(3)
	v_cndmask_b32_e64 v12, v12, v6, s[2:3]
	v_cndmask_b32_e64 v12, v12, v7, s[6:7]
	s_waitcnt lgkmcnt(2)
	v_cndmask_b32_e64 v12, v12, v4, s[8:9]
	;; [unrolled: 3-line block ×4, first 2 shown]
	v_cndmask_b32_e32 v12, v12, v11, vcc
	global_store_dword v1, v12, s[20:21]
.LBB123_47:
	s_or_b64 exec, exec, s[18:19]
	s_load_dword s0, s[4:5], 0x50
	s_waitcnt lgkmcnt(0)
	s_bfe_u32 s0, s0, 0x10008
	s_cmp_eq_u32 s0, 0
	s_cbranch_scc1 .LBB123_82
; %bb.48:
	s_add_u32 s0, s26, -1
	s_addc_u32 s1, s27, -1
	s_add_u32 s2, 0, 0x99986000
	s_addc_u32 s3, 0, 0x59
	s_add_i32 s3, s3, 0x19999940
	s_mul_hi_u32 s7, s2, -10
	s_sub_i32 s7, s7, s2
	s_mul_i32 s8, s3, -10
	s_mul_i32 s4, s2, -10
	s_add_i32 s7, s7, s8
	s_mul_hi_u32 s5, s3, s4
	s_mul_i32 s6, s3, s4
	s_mul_i32 s9, s2, s7
	s_mul_hi_u32 s4, s2, s4
	s_mul_hi_u32 s8, s2, s7
	s_add_u32 s4, s4, s9
	s_addc_u32 s8, 0, s8
	s_add_u32 s4, s4, s6
	s_mul_hi_u32 s9, s3, s7
	s_addc_u32 s4, s8, s5
	s_addc_u32 s5, s9, 0
	s_mul_i32 s6, s3, s7
	s_add_u32 s4, s4, s6
	v_mov_b32_e32 v12, s4
	s_addc_u32 s5, 0, s5
	v_add_co_u32_e32 v12, vcc, s2, v12
	s_cmp_lg_u64 vcc, 0
	s_addc_u32 s2, s3, s5
	v_readfirstlane_b32 s5, v12
	s_mul_i32 s4, s0, s2
	s_mul_hi_u32 s6, s0, s5
	s_mul_hi_u32 s3, s0, s2
	s_add_u32 s4, s6, s4
	s_addc_u32 s3, 0, s3
	s_mul_hi_u32 s7, s1, s5
	s_mul_i32 s5, s1, s5
	s_add_u32 s4, s4, s5
	s_mul_hi_u32 s6, s1, s2
	s_addc_u32 s3, s3, s7
	s_addc_u32 s4, s6, 0
	s_mul_i32 s2, s1, s2
	s_add_u32 s2, s3, s2
	s_addc_u32 s3, 0, s4
	s_add_u32 s4, s2, 1
	s_addc_u32 s5, s3, 0
	s_add_u32 s6, s2, 2
	s_mul_i32 s8, s3, 10
	s_mul_hi_u32 s9, s2, 10
	s_addc_u32 s7, s3, 0
	s_add_i32 s9, s9, s8
	s_mul_i32 s8, s2, 10
	v_mov_b32_e32 v12, s8
	v_sub_co_u32_e32 v12, vcc, s0, v12
	s_cmp_lg_u64 vcc, 0
	s_subb_u32 s8, s1, s9
	v_subrev_co_u32_e32 v13, vcc, 10, v12
	s_cmp_lg_u64 vcc, 0
	s_subb_u32 s9, s8, 0
	v_readfirstlane_b32 s10, v13
	s_cmp_gt_u32 s10, 9
	s_cselect_b32 s10, -1, 0
	s_cmp_eq_u32 s9, 0
	s_cselect_b32 s9, s10, -1
	s_cmp_lg_u32 s9, 0
	s_cselect_b32 s4, s6, s4
	v_readfirstlane_b32 s6, v12
	s_cselect_b32 s5, s7, s5
	s_cmp_gt_u32 s6, 9
	s_cselect_b32 s6, -1, 0
	s_cmp_eq_u32 s8, 0
	s_cselect_b32 s6, s6, -1
	s_cmp_lg_u32 s6, 0
	s_cselect_b32 s3, s5, s3
	s_cselect_b32 s2, s4, s2
	v_cmp_eq_u64_e32 vcc, s[2:3], v[0:1]
	s_and_saveexec_b64 s[2:3], vcc
	s_cbranch_execz .LBB123_82
; %bb.49:
	v_mul_hi_u32_u24_e32 v1, 10, v0
	v_mov_b32_e32 v12, s1
	v_sub_co_u32_e32 v0, vcc, s0, v22
	v_subb_co_u32_e32 v1, vcc, v12, v1, vcc
	v_cmp_lt_i64_e32 vcc, 4, v[0:1]
	s_and_saveexec_b64 s[0:1], vcc
	s_xor_b64 s[0:1], exec, s[0:1]
	s_cbranch_execz .LBB123_67
; %bb.50:
	v_cmp_lt_i64_e32 vcc, 6, v[0:1]
	s_and_saveexec_b64 s[2:3], vcc
	s_xor_b64 s[2:3], exec, s[2:3]
	s_cbranch_execz .LBB123_60
; %bb.51:
	;; [unrolled: 5-line block ×4, first 2 shown]
	v_mov_b32_e32 v0, 0
	global_store_dword v0, v11, s[30:31]
                                        ; implicit-def: $vgpr10_vgpr11
.LBB123_54:
	s_andn2_saveexec_b64 s[6:7], s[6:7]
	s_cbranch_execz .LBB123_56
; %bb.55:
	v_mov_b32_e32 v0, 0
	global_store_dword v0, v10, s[30:31]
.LBB123_56:
	s_or_b64 exec, exec, s[6:7]
                                        ; implicit-def: $vgpr8_vgpr9
.LBB123_57:
	s_andn2_saveexec_b64 s[4:5], s[4:5]
	s_cbranch_execz .LBB123_59
; %bb.58:
	v_mov_b32_e32 v0, 0
	global_store_dword v0, v9, s[30:31]
.LBB123_59:
	s_or_b64 exec, exec, s[4:5]
                                        ; implicit-def: $vgpr4_vgpr5
                                        ; implicit-def: $vgpr0_vgpr1
                                        ; implicit-def: $vgpr8_vgpr9
.LBB123_60:
	s_andn2_saveexec_b64 s[2:3], s[2:3]
	s_cbranch_execz .LBB123_66
; %bb.61:
	v_cmp_lt_i64_e32 vcc, 5, v[0:1]
	s_and_saveexec_b64 s[4:5], vcc
	s_xor_b64 s[4:5], exec, s[4:5]
	s_cbranch_execz .LBB123_63
; %bb.62:
	v_mov_b32_e32 v0, 0
	global_store_dword v0, v8, s[30:31]
                                        ; implicit-def: $vgpr4_vgpr5
.LBB123_63:
	s_andn2_saveexec_b64 s[4:5], s[4:5]
	s_cbranch_execz .LBB123_65
; %bb.64:
	v_mov_b32_e32 v0, 0
	global_store_dword v0, v5, s[30:31]
.LBB123_65:
	s_or_b64 exec, exec, s[4:5]
.LBB123_66:
	s_or_b64 exec, exec, s[2:3]
                                        ; implicit-def: $vgpr0_vgpr1
                                        ; implicit-def: $vgpr6_vgpr7
                                        ; implicit-def: $vgpr2_vgpr3
                                        ; implicit-def: $vgpr4_vgpr5
.LBB123_67:
	s_andn2_saveexec_b64 s[0:1], s[0:1]
	s_cbranch_execz .LBB123_82
; %bb.68:
	v_cmp_lt_i64_e32 vcc, 2, v[0:1]
	s_and_saveexec_b64 s[0:1], vcc
	s_xor_b64 s[0:1], exec, s[0:1]
	s_cbranch_execz .LBB123_74
; %bb.69:
	v_cmp_lt_i64_e32 vcc, 3, v[0:1]
	s_and_saveexec_b64 s[2:3], vcc
	s_xor_b64 s[2:3], exec, s[2:3]
	s_cbranch_execz .LBB123_71
; %bb.70:
	v_mov_b32_e32 v0, 0
	global_store_dword v0, v4, s[30:31]
                                        ; implicit-def: $vgpr6_vgpr7
.LBB123_71:
	s_andn2_saveexec_b64 s[2:3], s[2:3]
	s_cbranch_execz .LBB123_73
; %bb.72:
	v_mov_b32_e32 v0, 0
	global_store_dword v0, v7, s[30:31]
.LBB123_73:
	s_or_b64 exec, exec, s[2:3]
                                        ; implicit-def: $vgpr0_vgpr1
                                        ; implicit-def: $vgpr6_vgpr7
                                        ; implicit-def: $vgpr2_vgpr3
.LBB123_74:
	s_andn2_saveexec_b64 s[0:1], s[0:1]
	s_cbranch_execz .LBB123_82
; %bb.75:
	v_cmp_lt_i64_e32 vcc, 1, v[0:1]
	s_and_saveexec_b64 s[0:1], vcc
	s_xor_b64 s[0:1], exec, s[0:1]
	s_cbranch_execz .LBB123_77
; %bb.76:
	v_mov_b32_e32 v0, 0
	global_store_dword v0, v6, s[30:31]
                                        ; implicit-def: $vgpr2_vgpr3
                                        ; implicit-def: $vgpr0_vgpr1
.LBB123_77:
	s_andn2_saveexec_b64 s[0:1], s[0:1]
	s_cbranch_execz .LBB123_82
; %bb.78:
	v_cmp_ne_u64_e32 vcc, 1, v[0:1]
	s_and_saveexec_b64 s[0:1], vcc
	s_xor_b64 s[0:1], exec, s[0:1]
	s_cbranch_execz .LBB123_80
; %bb.79:
	v_mov_b32_e32 v0, 0
	global_store_dword v0, v2, s[30:31]
                                        ; implicit-def: $vgpr2_vgpr3
.LBB123_80:
	s_andn2_saveexec_b64 s[0:1], s[0:1]
	s_cbranch_execz .LBB123_82
; %bb.81:
	v_mov_b32_e32 v0, 0
	global_store_dword v0, v3, s[30:31]
.LBB123_82:
	s_endpgm
	.section	.rodata,"a",@progbits
	.p2align	6, 0x0
	.amdhsa_kernel _ZN7rocprim6detail20lookback_scan_kernelILNS0_25lookback_scan_determinismE0ELb1ENS0_19wrapped_scan_configINS_14default_configEjEEN6hipcub21CountingInputIteratorIjlEEN10test_utils21single_index_iteratorIjEENS6_3SumEjjNS0_19lookback_scan_stateIjLb0ELb1EEEEEvT2_T3_mT5_T4_T7_jPT6_SL_bb
		.amdhsa_group_segment_fixed_size 5120
		.amdhsa_private_segment_fixed_size 0
		.amdhsa_kernarg_size 84
		.amdhsa_user_sgpr_count 6
		.amdhsa_user_sgpr_private_segment_buffer 1
		.amdhsa_user_sgpr_dispatch_ptr 0
		.amdhsa_user_sgpr_queue_ptr 0
		.amdhsa_user_sgpr_kernarg_segment_ptr 1
		.amdhsa_user_sgpr_dispatch_id 0
		.amdhsa_user_sgpr_flat_scratch_init 0
		.amdhsa_user_sgpr_kernarg_preload_length 0
		.amdhsa_user_sgpr_kernarg_preload_offset 0
		.amdhsa_user_sgpr_private_segment_size 0
		.amdhsa_uses_dynamic_stack 0
		.amdhsa_system_sgpr_private_segment_wavefront_offset 0
		.amdhsa_system_sgpr_workgroup_id_x 1
		.amdhsa_system_sgpr_workgroup_id_y 0
		.amdhsa_system_sgpr_workgroup_id_z 0
		.amdhsa_system_sgpr_workgroup_info 0
		.amdhsa_system_vgpr_workitem_id 0
		.amdhsa_next_free_vgpr 41
		.amdhsa_next_free_sgpr 34
		.amdhsa_accum_offset 44
		.amdhsa_reserve_vcc 1
		.amdhsa_reserve_flat_scratch 0
		.amdhsa_float_round_mode_32 0
		.amdhsa_float_round_mode_16_64 0
		.amdhsa_float_denorm_mode_32 3
		.amdhsa_float_denorm_mode_16_64 3
		.amdhsa_dx10_clamp 1
		.amdhsa_ieee_mode 1
		.amdhsa_fp16_overflow 0
		.amdhsa_tg_split 0
		.amdhsa_exception_fp_ieee_invalid_op 0
		.amdhsa_exception_fp_denorm_src 0
		.amdhsa_exception_fp_ieee_div_zero 0
		.amdhsa_exception_fp_ieee_overflow 0
		.amdhsa_exception_fp_ieee_underflow 0
		.amdhsa_exception_fp_ieee_inexact 0
		.amdhsa_exception_int_div_zero 0
	.end_amdhsa_kernel
	.section	.text._ZN7rocprim6detail20lookback_scan_kernelILNS0_25lookback_scan_determinismE0ELb1ENS0_19wrapped_scan_configINS_14default_configEjEEN6hipcub21CountingInputIteratorIjlEEN10test_utils21single_index_iteratorIjEENS6_3SumEjjNS0_19lookback_scan_stateIjLb0ELb1EEEEEvT2_T3_mT5_T4_T7_jPT6_SL_bb,"axG",@progbits,_ZN7rocprim6detail20lookback_scan_kernelILNS0_25lookback_scan_determinismE0ELb1ENS0_19wrapped_scan_configINS_14default_configEjEEN6hipcub21CountingInputIteratorIjlEEN10test_utils21single_index_iteratorIjEENS6_3SumEjjNS0_19lookback_scan_stateIjLb0ELb1EEEEEvT2_T3_mT5_T4_T7_jPT6_SL_bb,comdat
.Lfunc_end123:
	.size	_ZN7rocprim6detail20lookback_scan_kernelILNS0_25lookback_scan_determinismE0ELb1ENS0_19wrapped_scan_configINS_14default_configEjEEN6hipcub21CountingInputIteratorIjlEEN10test_utils21single_index_iteratorIjEENS6_3SumEjjNS0_19lookback_scan_stateIjLb0ELb1EEEEEvT2_T3_mT5_T4_T7_jPT6_SL_bb, .Lfunc_end123-_ZN7rocprim6detail20lookback_scan_kernelILNS0_25lookback_scan_determinismE0ELb1ENS0_19wrapped_scan_configINS_14default_configEjEEN6hipcub21CountingInputIteratorIjlEEN10test_utils21single_index_iteratorIjEENS6_3SumEjjNS0_19lookback_scan_stateIjLb0ELb1EEEEEvT2_T3_mT5_T4_T7_jPT6_SL_bb
                                        ; -- End function
	.section	.AMDGPU.csdata,"",@progbits
; Kernel info:
; codeLenInByte = 4400
; NumSgprs: 38
; NumVgprs: 41
; NumAgprs: 0
; TotalNumVgprs: 41
; ScratchSize: 0
; MemoryBound: 0
; FloatMode: 240
; IeeeMode: 1
; LDSByteSize: 5120 bytes/workgroup (compile time only)
; SGPRBlocks: 4
; VGPRBlocks: 5
; NumSGPRsForWavesPerEU: 38
; NumVGPRsForWavesPerEU: 41
; AccumOffset: 44
; Occupancy: 6
; WaveLimiterHint : 0
; COMPUTE_PGM_RSRC2:SCRATCH_EN: 0
; COMPUTE_PGM_RSRC2:USER_SGPR: 6
; COMPUTE_PGM_RSRC2:TRAP_HANDLER: 0
; COMPUTE_PGM_RSRC2:TGID_X_EN: 1
; COMPUTE_PGM_RSRC2:TGID_Y_EN: 0
; COMPUTE_PGM_RSRC2:TGID_Z_EN: 0
; COMPUTE_PGM_RSRC2:TIDIG_COMP_CNT: 0
; COMPUTE_PGM_RSRC3_GFX90A:ACCUM_OFFSET: 10
; COMPUTE_PGM_RSRC3_GFX90A:TG_SPLIT: 0
	.section	.text._ZN7rocprim6detail18single_scan_kernelILb1ENS0_19wrapped_scan_configINS_14default_configEjEEN6hipcub21CountingInputIteratorIjlEEN10test_utils21single_index_iteratorIjEENS5_3SumEjjEEvT1_mT4_T2_T3_,"axG",@progbits,_ZN7rocprim6detail18single_scan_kernelILb1ENS0_19wrapped_scan_configINS_14default_configEjEEN6hipcub21CountingInputIteratorIjlEEN10test_utils21single_index_iteratorIjEENS5_3SumEjjEEvT1_mT4_T2_T3_,comdat
	.protected	_ZN7rocprim6detail18single_scan_kernelILb1ENS0_19wrapped_scan_configINS_14default_configEjEEN6hipcub21CountingInputIteratorIjlEEN10test_utils21single_index_iteratorIjEENS5_3SumEjjEEvT1_mT4_T2_T3_ ; -- Begin function _ZN7rocprim6detail18single_scan_kernelILb1ENS0_19wrapped_scan_configINS_14default_configEjEEN6hipcub21CountingInputIteratorIjlEEN10test_utils21single_index_iteratorIjEENS5_3SumEjjEEvT1_mT4_T2_T3_
	.globl	_ZN7rocprim6detail18single_scan_kernelILb1ENS0_19wrapped_scan_configINS_14default_configEjEEN6hipcub21CountingInputIteratorIjlEEN10test_utils21single_index_iteratorIjEENS5_3SumEjjEEvT1_mT4_T2_T3_
	.p2align	8
	.type	_ZN7rocprim6detail18single_scan_kernelILb1ENS0_19wrapped_scan_configINS_14default_configEjEEN6hipcub21CountingInputIteratorIjlEEN10test_utils21single_index_iteratorIjEENS5_3SumEjjEEvT1_mT4_T2_T3_,@function
_ZN7rocprim6detail18single_scan_kernelILb1ENS0_19wrapped_scan_configINS_14default_configEjEEN6hipcub21CountingInputIteratorIjlEEN10test_utils21single_index_iteratorIjEENS5_3SumEjjEEvT1_mT4_T2_T3_: ; @_ZN7rocprim6detail18single_scan_kernelILb1ENS0_19wrapped_scan_configINS_14default_configEjEEN6hipcub21CountingInputIteratorIjlEEN10test_utils21single_index_iteratorIjEENS5_3SumEjjEEvT1_mT4_T2_T3_
; %bb.0:
	s_load_dword s0, s[4:5], 0x0
	s_load_dword s1, s[4:5], 0x8
	s_load_dwordx4 s[24:27], s[4:5], 0x18
	s_load_dwordx2 s[22:23], s[4:5], 0x28
	v_or_b32_e32 v4, 0x80, v0
	s_waitcnt lgkmcnt(0)
	v_add_u32_e32 v1, s0, v0
	v_mov_b32_e32 v2, s0
	v_add_u32_e32 v5, 0x80, v1
	v_cmp_gt_u32_e64 s[14:15], s1, v4
	v_cndmask_b32_e64 v4, v2, v5, s[14:15]
	v_or_b32_e32 v5, 0x100, v0
	v_add_u32_e32 v6, 0x100, v1
	v_cmp_gt_u32_e64 s[12:13], s1, v5
	v_cndmask_b32_e64 v5, v2, v6, s[12:13]
	v_or_b32_e32 v6, 0x180, v0
	;; [unrolled: 4-line block ×5, first 2 shown]
	v_add_u32_e32 v10, 0x300, v1
	v_cmp_gt_u32_e32 vcc, s1, v9
	v_cndmask_b32_e32 v9, v2, v10, vcc
	v_or_b32_e32 v10, 0x380, v0
	v_add_u32_e32 v11, 0x380, v1
	v_cmp_gt_u32_e64 s[18:19], s1, v10
	v_cndmask_b32_e64 v10, v2, v11, s[18:19]
	v_or_b32_e32 v11, 0x400, v0
	v_add_u32_e32 v12, 0x400, v1
	v_cmp_gt_u32_e64 s[2:3], s1, v11
	v_cmp_gt_u32_e64 s[16:17], s1, v0
	v_cndmask_b32_e64 v11, v2, v12, s[2:3]
	v_or_b32_e32 v12, 0x480, v0
	v_cndmask_b32_e64 v3, v2, v1, s[16:17]
	v_add_u32_e32 v1, 0x480, v1
	v_cmp_gt_u32_e64 s[0:1], s1, v12
	v_cndmask_b32_e64 v2, v2, v1, s[0:1]
	v_lshlrev_b32_e32 v1, 2, v0
	ds_write2st64_b32 v1, v3, v4 offset1:2
	ds_write2st64_b32 v1, v5, v6 offset0:4 offset1:6
	ds_write2st64_b32 v1, v7, v8 offset0:8 offset1:10
	;; [unrolled: 1-line block ×4, first 2 shown]
	v_mad_u32_u24 v10, v0, 36, v1
	s_waitcnt lgkmcnt(0)
	s_barrier
	ds_read2_b64 v[6:9], v10 offset1:1
	ds_read2_b64 v[2:5], v10 offset0:2 offset1:3
	ds_read_b64 v[10:11], v10 offset:32
	v_cmp_gt_u32_e64 s[20:21], 64, v0
	s_waitcnt lgkmcnt(0)
	v_add_u32_e32 v12, v7, v6
	v_add3_u32 v12, v12, v8, v9
	v_add3_u32 v12, v12, v2, v3
	;; [unrolled: 1-line block ×4, first 2 shown]
	v_lshrrev_b32_e32 v12, 3, v0
	v_and_b32_e32 v12, 12, v12
	v_add_u32_e32 v12, v1, v12
	s_barrier
	ds_write_b32 v12, v11
	s_waitcnt lgkmcnt(0)
	s_barrier
	s_and_saveexec_b64 s[28:29], s[20:21]
	s_cbranch_execz .LBB124_2
; %bb.1:
	v_lshlrev_b32_e32 v12, 1, v0
	v_lshrrev_b32_e32 v13, 4, v0
	v_add_lshl_u32 v14, v13, v12, 2
	ds_read2_b32 v[12:13], v14 offset1:1
	v_mbcnt_lo_u32_b32 v15, -1, 0
	v_mbcnt_hi_u32_b32 v15, -1, v15
	v_and_b32_e32 v16, 15, v15
	v_cmp_ne_u32_e64 s[20:21], 0, v16
	s_waitcnt lgkmcnt(0)
	v_add_u32_e32 v17, v13, v12
	s_nop 1
	v_mov_b32_dpp v18, v17 row_shr:1 row_mask:0xf bank_mask:0xf
	v_cndmask_b32_e64 v18, 0, v18, s[20:21]
	v_add_u32_e32 v17, v18, v17
	v_cmp_lt_u32_e64 s[20:21], 1, v16
	s_nop 0
	v_mov_b32_dpp v18, v17 row_shr:2 row_mask:0xf bank_mask:0xf
	v_cndmask_b32_e64 v18, 0, v18, s[20:21]
	v_add_u32_e32 v17, v17, v18
	v_cmp_lt_u32_e64 s[20:21], 3, v16
	;; [unrolled: 5-line block ×3, first 2 shown]
	s_nop 0
	v_mov_b32_dpp v18, v17 row_shr:8 row_mask:0xf bank_mask:0xf
	v_cndmask_b32_e64 v16, 0, v18, s[20:21]
	v_add_u32_e32 v16, v17, v16
	v_bfe_i32 v18, v15, 4, 1
	v_cmp_lt_u32_e64 s[20:21], 31, v15
	v_mov_b32_dpp v17, v16 row_bcast:15 row_mask:0xf bank_mask:0xf
	v_and_b32_e32 v17, v18, v17
	v_add_u32_e32 v16, v16, v17
	v_and_b32_e32 v18, 64, v15
	s_nop 0
	v_mov_b32_dpp v17, v16 row_bcast:31 row_mask:0xf bank_mask:0xf
	v_cndmask_b32_e64 v17, 0, v17, s[20:21]
	v_add_u32_e32 v16, v16, v17
	v_add_u32_e32 v17, -1, v15
	v_cmp_lt_i32_e64 s[20:21], v17, v18
	v_cndmask_b32_e64 v15, v17, v15, s[20:21]
	v_lshlrev_b32_e32 v15, 2, v15
	ds_bpermute_b32 v15, v15, v16
	v_cmp_eq_u32_e64 s[20:21], 0, v0
	s_waitcnt lgkmcnt(0)
	v_add_u32_e32 v12, v15, v12
	v_cndmask_b32_e64 v11, v12, v11, s[20:21]
	v_add_u32_e32 v12, v11, v13
	ds_write2_b32 v14, v11, v12 offset1:1
.LBB124_2:
	s_or_b64 exec, exec, s[28:29]
	s_load_dword s28, s[4:5], 0x10
	v_mul_u32_u24_e32 v11, 36, v0
	v_cmp_ne_u32_e64 s[4:5], 0, v0
	s_waitcnt lgkmcnt(0)
	s_barrier
	v_mov_b32_e32 v12, s28
	s_and_saveexec_b64 s[20:21], s[4:5]
	s_cbranch_execz .LBB124_4
; %bb.3:
	v_add_u32_e32 v12, -1, v0
	v_lshrrev_b32_e32 v13, 5, v12
	v_add_lshl_u32 v12, v13, v12, 2
	ds_read_b32 v12, v12
	s_waitcnt lgkmcnt(0)
	v_add_u32_e32 v12, s28, v12
.LBB124_4:
	s_or_b64 exec, exec, s[20:21]
	v_add_u32_e32 v13, v12, v6
	v_add_u32_e32 v6, v13, v7
	;; [unrolled: 1-line block ×10, first 2 shown]
	s_barrier
	ds_write2_b64 v10, v[12:13], v[6:7] offset1:1
	ds_write2_b64 v10, v[8:9], v[2:3] offset0:2 offset1:3
	ds_write_b64 v10, v[4:5] offset:32
	v_mov_b32_e32 v3, s23
	v_add_co_u32_e64 v2, s[4:5], s22, v0
	v_addc_co_u32_e64 v3, s[4:5], 0, v3, s[4:5]
	v_cmp_eq_u64_e64 s[4:5], s[26:27], v[2:3]
	s_and_b64 s[16:17], s[16:17], s[4:5]
	s_movk_i32 s4, 0x80
	v_add_co_u32_e64 v4, s[4:5], s4, v2
	v_addc_co_u32_e64 v5, s[4:5], 0, v3, s[4:5]
	v_cmp_eq_u64_e64 s[4:5], s[26:27], v[4:5]
	s_and_b64 s[4:5], s[14:15], s[4:5]
	s_movk_i32 s14, 0x100
	;; [unrolled: 5-line block ×5, first 2 shown]
	v_add_co_u32_e64 v4, s[14:15], s14, v2
	v_addc_co_u32_e64 v5, s[14:15], 0, v3, s[14:15]
	v_cmp_eq_u64_e64 s[14:15], s[26:27], v[4:5]
	s_or_b64 s[16:17], s[16:17], s[4:5]
	s_and_b64 s[6:7], s[6:7], s[14:15]
	s_movk_i32 s14, 0x300
	s_or_b64 s[16:17], s[12:13], s[16:17]
	v_add_co_u32_e64 v4, s[14:15], s14, v2
	s_or_b64 s[16:17], s[10:11], s[16:17]
	v_addc_co_u32_e64 v5, s[14:15], 0, v3, s[14:15]
	s_or_b64 s[16:17], s[8:9], s[16:17]
	v_cmp_eq_u64_e64 s[14:15], s[26:27], v[4:5]
	s_or_b64 s[16:17], s[6:7], s[16:17]
	s_and_b64 s[14:15], vcc, s[14:15]
	s_or_b64 s[20:21], s[14:15], s[16:17]
	s_movk_i32 s16, 0x380
	v_add_co_u32_e32 v4, vcc, s16, v2
	v_addc_co_u32_e32 v5, vcc, 0, v3, vcc
	v_cmp_eq_u64_e32 vcc, s[26:27], v[4:5]
	s_and_b64 s[16:17], s[18:19], vcc
	s_or_b64 s[18:19], s[16:17], s[20:21]
	s_movk_i32 s20, 0x400
	v_add_co_u32_e32 v4, vcc, s20, v2
	v_addc_co_u32_e32 v5, vcc, 0, v3, vcc
	v_cmp_eq_u64_e32 vcc, s[26:27], v[4:5]
	s_and_b64 s[2:3], s[2:3], vcc
	v_add_co_u32_e32 v2, vcc, 0x480, v2
	v_addc_co_u32_e32 v3, vcc, 0, v3, vcc
	v_cmp_eq_u64_e32 vcc, s[26:27], v[2:3]
	s_or_b64 s[18:19], s[2:3], s[18:19]
	s_and_b64 vcc, s[0:1], vcc
	s_or_b64 s[0:1], vcc, s[18:19]
	s_waitcnt lgkmcnt(0)
	s_barrier
	s_and_saveexec_b64 s[18:19], s[0:1]
	s_cbranch_execz .LBB124_6
; %bb.5:
	ds_read2st64_b32 v[2:3], v1 offset1:2
	ds_read2st64_b32 v[4:5], v1 offset0:4 offset1:6
	ds_read2st64_b32 v[6:7], v1 offset0:16 offset1:18
	;; [unrolled: 1-line block ×4, first 2 shown]
	s_waitcnt lgkmcnt(4)
	v_cndmask_b32_e64 v2, v2, v3, s[4:5]
	s_waitcnt lgkmcnt(3)
	v_cndmask_b32_e64 v2, v2, v4, s[12:13]
	v_cndmask_b32_e64 v2, v2, v5, s[10:11]
	s_waitcnt lgkmcnt(1)
	v_cndmask_b32_e64 v2, v2, v8, s[8:9]
	;; [unrolled: 3-line block ×3, first 2 shown]
	v_cndmask_b32_e64 v0, v0, v1, s[16:17]
	v_cndmask_b32_e64 v0, v0, v6, s[2:3]
	v_mov_b32_e32 v10, 0
	v_cndmask_b32_e32 v0, v0, v7, vcc
	global_store_dword v10, v0, s[24:25]
.LBB124_6:
	s_endpgm
	.section	.rodata,"a",@progbits
	.p2align	6, 0x0
	.amdhsa_kernel _ZN7rocprim6detail18single_scan_kernelILb1ENS0_19wrapped_scan_configINS_14default_configEjEEN6hipcub21CountingInputIteratorIjlEEN10test_utils21single_index_iteratorIjEENS5_3SumEjjEEvT1_mT4_T2_T3_
		.amdhsa_group_segment_fixed_size 5120
		.amdhsa_private_segment_fixed_size 0
		.amdhsa_kernarg_size 52
		.amdhsa_user_sgpr_count 6
		.amdhsa_user_sgpr_private_segment_buffer 1
		.amdhsa_user_sgpr_dispatch_ptr 0
		.amdhsa_user_sgpr_queue_ptr 0
		.amdhsa_user_sgpr_kernarg_segment_ptr 1
		.amdhsa_user_sgpr_dispatch_id 0
		.amdhsa_user_sgpr_flat_scratch_init 0
		.amdhsa_user_sgpr_kernarg_preload_length 0
		.amdhsa_user_sgpr_kernarg_preload_offset 0
		.amdhsa_user_sgpr_private_segment_size 0
		.amdhsa_uses_dynamic_stack 0
		.amdhsa_system_sgpr_private_segment_wavefront_offset 0
		.amdhsa_system_sgpr_workgroup_id_x 1
		.amdhsa_system_sgpr_workgroup_id_y 0
		.amdhsa_system_sgpr_workgroup_id_z 0
		.amdhsa_system_sgpr_workgroup_info 0
		.amdhsa_system_vgpr_workitem_id 0
		.amdhsa_next_free_vgpr 19
		.amdhsa_next_free_sgpr 30
		.amdhsa_accum_offset 20
		.amdhsa_reserve_vcc 1
		.amdhsa_reserve_flat_scratch 0
		.amdhsa_float_round_mode_32 0
		.amdhsa_float_round_mode_16_64 0
		.amdhsa_float_denorm_mode_32 3
		.amdhsa_float_denorm_mode_16_64 3
		.amdhsa_dx10_clamp 1
		.amdhsa_ieee_mode 1
		.amdhsa_fp16_overflow 0
		.amdhsa_tg_split 0
		.amdhsa_exception_fp_ieee_invalid_op 0
		.amdhsa_exception_fp_denorm_src 0
		.amdhsa_exception_fp_ieee_div_zero 0
		.amdhsa_exception_fp_ieee_overflow 0
		.amdhsa_exception_fp_ieee_underflow 0
		.amdhsa_exception_fp_ieee_inexact 0
		.amdhsa_exception_int_div_zero 0
	.end_amdhsa_kernel
	.section	.text._ZN7rocprim6detail18single_scan_kernelILb1ENS0_19wrapped_scan_configINS_14default_configEjEEN6hipcub21CountingInputIteratorIjlEEN10test_utils21single_index_iteratorIjEENS5_3SumEjjEEvT1_mT4_T2_T3_,"axG",@progbits,_ZN7rocprim6detail18single_scan_kernelILb1ENS0_19wrapped_scan_configINS_14default_configEjEEN6hipcub21CountingInputIteratorIjlEEN10test_utils21single_index_iteratorIjEENS5_3SumEjjEEvT1_mT4_T2_T3_,comdat
.Lfunc_end124:
	.size	_ZN7rocprim6detail18single_scan_kernelILb1ENS0_19wrapped_scan_configINS_14default_configEjEEN6hipcub21CountingInputIteratorIjlEEN10test_utils21single_index_iteratorIjEENS5_3SumEjjEEvT1_mT4_T2_T3_, .Lfunc_end124-_ZN7rocprim6detail18single_scan_kernelILb1ENS0_19wrapped_scan_configINS_14default_configEjEEN6hipcub21CountingInputIteratorIjlEEN10test_utils21single_index_iteratorIjEENS5_3SumEjjEEvT1_mT4_T2_T3_
                                        ; -- End function
	.section	.AMDGPU.csdata,"",@progbits
; Kernel info:
; codeLenInByte = 1444
; NumSgprs: 34
; NumVgprs: 19
; NumAgprs: 0
; TotalNumVgprs: 19
; ScratchSize: 0
; MemoryBound: 0
; FloatMode: 240
; IeeeMode: 1
; LDSByteSize: 5120 bytes/workgroup (compile time only)
; SGPRBlocks: 4
; VGPRBlocks: 2
; NumSGPRsForWavesPerEU: 34
; NumVGPRsForWavesPerEU: 19
; AccumOffset: 20
; Occupancy: 6
; WaveLimiterHint : 0
; COMPUTE_PGM_RSRC2:SCRATCH_EN: 0
; COMPUTE_PGM_RSRC2:USER_SGPR: 6
; COMPUTE_PGM_RSRC2:TRAP_HANDLER: 0
; COMPUTE_PGM_RSRC2:TGID_X_EN: 1
; COMPUTE_PGM_RSRC2:TGID_Y_EN: 0
; COMPUTE_PGM_RSRC2:TGID_Z_EN: 0
; COMPUTE_PGM_RSRC2:TIDIG_COMP_CNT: 0
; COMPUTE_PGM_RSRC3_GFX90A:ACCUM_OFFSET: 4
; COMPUTE_PGM_RSRC3_GFX90A:TG_SPLIT: 0
	.section	.text._ZN7rocprim6detail31init_lookback_scan_state_kernelINS0_19lookback_scan_stateIlLb1ELb1EEEEEvT_jjPNS4_10value_typeE,"axG",@progbits,_ZN7rocprim6detail31init_lookback_scan_state_kernelINS0_19lookback_scan_stateIlLb1ELb1EEEEEvT_jjPNS4_10value_typeE,comdat
	.protected	_ZN7rocprim6detail31init_lookback_scan_state_kernelINS0_19lookback_scan_stateIlLb1ELb1EEEEEvT_jjPNS4_10value_typeE ; -- Begin function _ZN7rocprim6detail31init_lookback_scan_state_kernelINS0_19lookback_scan_stateIlLb1ELb1EEEEEvT_jjPNS4_10value_typeE
	.globl	_ZN7rocprim6detail31init_lookback_scan_state_kernelINS0_19lookback_scan_stateIlLb1ELb1EEEEEvT_jjPNS4_10value_typeE
	.p2align	8
	.type	_ZN7rocprim6detail31init_lookback_scan_state_kernelINS0_19lookback_scan_stateIlLb1ELb1EEEEEvT_jjPNS4_10value_typeE,@function
_ZN7rocprim6detail31init_lookback_scan_state_kernelINS0_19lookback_scan_stateIlLb1ELb1EEEEEvT_jjPNS4_10value_typeE: ; @_ZN7rocprim6detail31init_lookback_scan_state_kernelINS0_19lookback_scan_stateIlLb1ELb1EEEEEvT_jjPNS4_10value_typeE
; %bb.0:
	s_load_dword s7, s[4:5], 0x24
	s_load_dwordx2 s[8:9], s[4:5], 0x10
	s_load_dwordx4 s[0:3], s[4:5], 0x0
	s_waitcnt lgkmcnt(0)
	s_and_b32 s4, s7, 0xffff
	s_mul_i32 s6, s6, s4
	s_cmp_eq_u64 s[8:9], 0
	v_add_u32_e32 v0, s6, v0
	s_cbranch_scc1 .LBB125_10
; %bb.1:
	s_cmp_lt_u32 s3, s2
	s_cselect_b32 s4, s3, 0
	s_mov_b32 s7, 0
	v_cmp_eq_u32_e32 vcc, s4, v0
	s_and_saveexec_b64 s[4:5], vcc
	s_cbranch_execz .LBB125_9
; %bb.2:
	s_add_i32 s6, s3, 64
	s_lshl_b64 s[6:7], s[6:7], 4
	s_add_u32 s12, s0, s6
	s_addc_u32 s13, s1, s7
	v_pk_mov_b32 v[2:3], s[12:13], s[12:13] op_sel:[0,1]
	;;#ASMSTART
	global_load_dwordx4 v[2:5], v[2:3] off glc	
s_waitcnt vmcnt(0)
	;;#ASMEND
	v_mov_b32_e32 v7, 0
	v_and_b32_e32 v6, 0xff, v4
	s_mov_b64 s[10:11], 0
	v_cmp_eq_u64_e32 vcc, 0, v[6:7]
	s_and_saveexec_b64 s[6:7], vcc
	s_cbranch_execz .LBB125_8
; %bb.3:
	s_mov_b32 s3, 1
	v_pk_mov_b32 v[8:9], s[12:13], s[12:13] op_sel:[0,1]
.LBB125_4:                              ; =>This Loop Header: Depth=1
                                        ;     Child Loop BB125_5 Depth 2
	s_max_u32 s12, s3, 1
.LBB125_5:                              ;   Parent Loop BB125_4 Depth=1
                                        ; =>  This Inner Loop Header: Depth=2
	s_add_i32 s12, s12, -1
	s_cmp_eq_u32 s12, 0
	s_sleep 1
	s_cbranch_scc0 .LBB125_5
; %bb.6:                                ;   in Loop: Header=BB125_4 Depth=1
	s_cmp_lt_u32 s3, 32
	s_cselect_b64 s[12:13], -1, 0
	s_cmp_lg_u64 s[12:13], 0
	;;#ASMSTART
	global_load_dwordx4 v[2:5], v[8:9] off glc	
s_waitcnt vmcnt(0)
	;;#ASMEND
	v_and_b32_e32 v6, 0xff, v4
	s_addc_u32 s3, s3, 0
	v_cmp_ne_u64_e32 vcc, 0, v[6:7]
	s_or_b64 s[10:11], vcc, s[10:11]
	s_andn2_b64 exec, exec, s[10:11]
	s_cbranch_execnz .LBB125_4
; %bb.7:
	s_or_b64 exec, exec, s[10:11]
.LBB125_8:
	s_or_b64 exec, exec, s[6:7]
	v_mov_b32_e32 v1, 0
	global_store_dwordx2 v1, v[2:3], s[8:9]
.LBB125_9:
	s_or_b64 exec, exec, s[4:5]
.LBB125_10:
	v_cmp_gt_u32_e32 vcc, s2, v0
	s_and_saveexec_b64 s[2:3], vcc
	s_cbranch_execnz .LBB125_13
; %bb.11:
	s_or_b64 exec, exec, s[2:3]
	v_cmp_gt_u32_e32 vcc, 64, v0
	s_and_saveexec_b64 s[2:3], vcc
	s_cbranch_execnz .LBB125_14
.LBB125_12:
	s_endpgm
.LBB125_13:
	v_add_u32_e32 v2, 64, v0
	v_mov_b32_e32 v3, 0
	v_lshlrev_b64 v[4:5], 4, v[2:3]
	v_mov_b32_e32 v1, s1
	v_add_co_u32_e32 v6, vcc, s0, v4
	v_addc_co_u32_e32 v7, vcc, v1, v5, vcc
	v_mov_b32_e32 v2, v3
	v_mov_b32_e32 v4, v3
	;; [unrolled: 1-line block ×3, first 2 shown]
	global_store_dwordx4 v[6:7], v[2:5], off
	s_or_b64 exec, exec, s[2:3]
	v_cmp_gt_u32_e32 vcc, 64, v0
	s_and_saveexec_b64 s[2:3], vcc
	s_cbranch_execz .LBB125_12
.LBB125_14:
	v_mov_b32_e32 v1, 0
	v_lshlrev_b64 v[2:3], 4, v[0:1]
	v_mov_b32_e32 v0, s1
	v_add_co_u32_e32 v4, vcc, s0, v2
	v_addc_co_u32_e32 v5, vcc, v0, v3, vcc
	v_mov_b32_e32 v2, 0xff
	v_mov_b32_e32 v0, v1
	;; [unrolled: 1-line block ×3, first 2 shown]
	global_store_dwordx4 v[4:5], v[0:3], off
	s_endpgm
	.section	.rodata,"a",@progbits
	.p2align	6, 0x0
	.amdhsa_kernel _ZN7rocprim6detail31init_lookback_scan_state_kernelINS0_19lookback_scan_stateIlLb1ELb1EEEEEvT_jjPNS4_10value_typeE
		.amdhsa_group_segment_fixed_size 0
		.amdhsa_private_segment_fixed_size 0
		.amdhsa_kernarg_size 280
		.amdhsa_user_sgpr_count 6
		.amdhsa_user_sgpr_private_segment_buffer 1
		.amdhsa_user_sgpr_dispatch_ptr 0
		.amdhsa_user_sgpr_queue_ptr 0
		.amdhsa_user_sgpr_kernarg_segment_ptr 1
		.amdhsa_user_sgpr_dispatch_id 0
		.amdhsa_user_sgpr_flat_scratch_init 0
		.amdhsa_user_sgpr_kernarg_preload_length 0
		.amdhsa_user_sgpr_kernarg_preload_offset 0
		.amdhsa_user_sgpr_private_segment_size 0
		.amdhsa_uses_dynamic_stack 0
		.amdhsa_system_sgpr_private_segment_wavefront_offset 0
		.amdhsa_system_sgpr_workgroup_id_x 1
		.amdhsa_system_sgpr_workgroup_id_y 0
		.amdhsa_system_sgpr_workgroup_id_z 0
		.amdhsa_system_sgpr_workgroup_info 0
		.amdhsa_system_vgpr_workitem_id 0
		.amdhsa_next_free_vgpr 10
		.amdhsa_next_free_sgpr 14
		.amdhsa_accum_offset 12
		.amdhsa_reserve_vcc 1
		.amdhsa_reserve_flat_scratch 0
		.amdhsa_float_round_mode_32 0
		.amdhsa_float_round_mode_16_64 0
		.amdhsa_float_denorm_mode_32 3
		.amdhsa_float_denorm_mode_16_64 3
		.amdhsa_dx10_clamp 1
		.amdhsa_ieee_mode 1
		.amdhsa_fp16_overflow 0
		.amdhsa_tg_split 0
		.amdhsa_exception_fp_ieee_invalid_op 0
		.amdhsa_exception_fp_denorm_src 0
		.amdhsa_exception_fp_ieee_div_zero 0
		.amdhsa_exception_fp_ieee_overflow 0
		.amdhsa_exception_fp_ieee_underflow 0
		.amdhsa_exception_fp_ieee_inexact 0
		.amdhsa_exception_int_div_zero 0
	.end_amdhsa_kernel
	.section	.text._ZN7rocprim6detail31init_lookback_scan_state_kernelINS0_19lookback_scan_stateIlLb1ELb1EEEEEvT_jjPNS4_10value_typeE,"axG",@progbits,_ZN7rocprim6detail31init_lookback_scan_state_kernelINS0_19lookback_scan_stateIlLb1ELb1EEEEEvT_jjPNS4_10value_typeE,comdat
.Lfunc_end125:
	.size	_ZN7rocprim6detail31init_lookback_scan_state_kernelINS0_19lookback_scan_stateIlLb1ELb1EEEEEvT_jjPNS4_10value_typeE, .Lfunc_end125-_ZN7rocprim6detail31init_lookback_scan_state_kernelINS0_19lookback_scan_stateIlLb1ELb1EEEEEvT_jjPNS4_10value_typeE
                                        ; -- End function
	.section	.AMDGPU.csdata,"",@progbits
; Kernel info:
; codeLenInByte = 404
; NumSgprs: 18
; NumVgprs: 10
; NumAgprs: 0
; TotalNumVgprs: 10
; ScratchSize: 0
; MemoryBound: 0
; FloatMode: 240
; IeeeMode: 1
; LDSByteSize: 0 bytes/workgroup (compile time only)
; SGPRBlocks: 2
; VGPRBlocks: 1
; NumSGPRsForWavesPerEU: 18
; NumVGPRsForWavesPerEU: 10
; AccumOffset: 12
; Occupancy: 8
; WaveLimiterHint : 0
; COMPUTE_PGM_RSRC2:SCRATCH_EN: 0
; COMPUTE_PGM_RSRC2:USER_SGPR: 6
; COMPUTE_PGM_RSRC2:TRAP_HANDLER: 0
; COMPUTE_PGM_RSRC2:TGID_X_EN: 1
; COMPUTE_PGM_RSRC2:TGID_Y_EN: 0
; COMPUTE_PGM_RSRC2:TGID_Z_EN: 0
; COMPUTE_PGM_RSRC2:TIDIG_COMP_CNT: 0
; COMPUTE_PGM_RSRC3_GFX90A:ACCUM_OFFSET: 2
; COMPUTE_PGM_RSRC3_GFX90A:TG_SPLIT: 0
	.section	.text._ZN7rocprim6detail31init_lookback_scan_state_kernelINS0_19lookback_scan_stateIlLb0ELb1EEEEEvT_jjPNS4_10value_typeE,"axG",@progbits,_ZN7rocprim6detail31init_lookback_scan_state_kernelINS0_19lookback_scan_stateIlLb0ELb1EEEEEvT_jjPNS4_10value_typeE,comdat
	.protected	_ZN7rocprim6detail31init_lookback_scan_state_kernelINS0_19lookback_scan_stateIlLb0ELb1EEEEEvT_jjPNS4_10value_typeE ; -- Begin function _ZN7rocprim6detail31init_lookback_scan_state_kernelINS0_19lookback_scan_stateIlLb0ELb1EEEEEvT_jjPNS4_10value_typeE
	.globl	_ZN7rocprim6detail31init_lookback_scan_state_kernelINS0_19lookback_scan_stateIlLb0ELb1EEEEEvT_jjPNS4_10value_typeE
	.p2align	8
	.type	_ZN7rocprim6detail31init_lookback_scan_state_kernelINS0_19lookback_scan_stateIlLb0ELb1EEEEEvT_jjPNS4_10value_typeE,@function
_ZN7rocprim6detail31init_lookback_scan_state_kernelINS0_19lookback_scan_stateIlLb0ELb1EEEEEvT_jjPNS4_10value_typeE: ; @_ZN7rocprim6detail31init_lookback_scan_state_kernelINS0_19lookback_scan_stateIlLb0ELb1EEEEEvT_jjPNS4_10value_typeE
; %bb.0:
	s_load_dword s7, s[4:5], 0x24
	s_load_dwordx2 s[8:9], s[4:5], 0x10
	s_load_dwordx4 s[0:3], s[4:5], 0x0
	s_waitcnt lgkmcnt(0)
	s_and_b32 s4, s7, 0xffff
	s_mul_i32 s6, s6, s4
	s_cmp_eq_u64 s[8:9], 0
	v_add_u32_e32 v0, s6, v0
	s_cbranch_scc1 .LBB126_8
; %bb.1:
	s_cmp_lt_u32 s3, s2
	s_cselect_b32 s4, s3, 0
	s_mov_b32 s7, 0
	v_cmp_eq_u32_e32 vcc, s4, v0
	s_and_saveexec_b64 s[4:5], vcc
	s_cbranch_execz .LBB126_7
; %bb.2:
	s_add_i32 s6, s3, 64
	s_lshl_b64 s[6:7], s[6:7], 4
	s_add_u32 s12, s0, s6
	s_addc_u32 s13, s1, s7
	v_pk_mov_b32 v[2:3], s[12:13], s[12:13] op_sel:[0,1]
	;;#ASMSTART
	global_load_dwordx4 v[2:5], v[2:3] off glc	
s_waitcnt vmcnt(0)
	;;#ASMEND
	v_mov_b32_e32 v7, 0
	v_and_b32_e32 v6, 0xff, v4
	s_mov_b64 s[10:11], 0
	v_cmp_eq_u64_e32 vcc, 0, v[6:7]
	s_and_saveexec_b64 s[6:7], vcc
	s_cbranch_execz .LBB126_6
; %bb.3:
	v_pk_mov_b32 v[8:9], s[12:13], s[12:13] op_sel:[0,1]
.LBB126_4:                              ; =>This Inner Loop Header: Depth=1
	;;#ASMSTART
	global_load_dwordx4 v[2:5], v[8:9] off glc	
s_waitcnt vmcnt(0)
	;;#ASMEND
	v_and_b32_e32 v6, 0xff, v4
	v_cmp_ne_u64_e32 vcc, 0, v[6:7]
	s_or_b64 s[10:11], vcc, s[10:11]
	s_andn2_b64 exec, exec, s[10:11]
	s_cbranch_execnz .LBB126_4
; %bb.5:
	s_or_b64 exec, exec, s[10:11]
.LBB126_6:
	s_or_b64 exec, exec, s[6:7]
	v_mov_b32_e32 v1, 0
	global_store_dwordx2 v1, v[2:3], s[8:9]
.LBB126_7:
	s_or_b64 exec, exec, s[4:5]
.LBB126_8:
	v_cmp_gt_u32_e32 vcc, s2, v0
	s_and_saveexec_b64 s[2:3], vcc
	s_cbranch_execnz .LBB126_11
; %bb.9:
	s_or_b64 exec, exec, s[2:3]
	v_cmp_gt_u32_e32 vcc, 64, v0
	s_and_saveexec_b64 s[2:3], vcc
	s_cbranch_execnz .LBB126_12
.LBB126_10:
	s_endpgm
.LBB126_11:
	v_add_u32_e32 v2, 64, v0
	v_mov_b32_e32 v3, 0
	v_lshlrev_b64 v[4:5], 4, v[2:3]
	v_mov_b32_e32 v1, s1
	v_add_co_u32_e32 v6, vcc, s0, v4
	v_addc_co_u32_e32 v7, vcc, v1, v5, vcc
	v_mov_b32_e32 v2, v3
	v_mov_b32_e32 v4, v3
	;; [unrolled: 1-line block ×3, first 2 shown]
	global_store_dwordx4 v[6:7], v[2:5], off
	s_or_b64 exec, exec, s[2:3]
	v_cmp_gt_u32_e32 vcc, 64, v0
	s_and_saveexec_b64 s[2:3], vcc
	s_cbranch_execz .LBB126_10
.LBB126_12:
	v_mov_b32_e32 v1, 0
	v_lshlrev_b64 v[2:3], 4, v[0:1]
	v_mov_b32_e32 v0, s1
	v_add_co_u32_e32 v4, vcc, s0, v2
	v_addc_co_u32_e32 v5, vcc, v0, v3, vcc
	v_mov_b32_e32 v2, 0xff
	v_mov_b32_e32 v0, v1
	;; [unrolled: 1-line block ×3, first 2 shown]
	global_store_dwordx4 v[4:5], v[0:3], off
	s_endpgm
	.section	.rodata,"a",@progbits
	.p2align	6, 0x0
	.amdhsa_kernel _ZN7rocprim6detail31init_lookback_scan_state_kernelINS0_19lookback_scan_stateIlLb0ELb1EEEEEvT_jjPNS4_10value_typeE
		.amdhsa_group_segment_fixed_size 0
		.amdhsa_private_segment_fixed_size 0
		.amdhsa_kernarg_size 280
		.amdhsa_user_sgpr_count 6
		.amdhsa_user_sgpr_private_segment_buffer 1
		.amdhsa_user_sgpr_dispatch_ptr 0
		.amdhsa_user_sgpr_queue_ptr 0
		.amdhsa_user_sgpr_kernarg_segment_ptr 1
		.amdhsa_user_sgpr_dispatch_id 0
		.amdhsa_user_sgpr_flat_scratch_init 0
		.amdhsa_user_sgpr_kernarg_preload_length 0
		.amdhsa_user_sgpr_kernarg_preload_offset 0
		.amdhsa_user_sgpr_private_segment_size 0
		.amdhsa_uses_dynamic_stack 0
		.amdhsa_system_sgpr_private_segment_wavefront_offset 0
		.amdhsa_system_sgpr_workgroup_id_x 1
		.amdhsa_system_sgpr_workgroup_id_y 0
		.amdhsa_system_sgpr_workgroup_id_z 0
		.amdhsa_system_sgpr_workgroup_info 0
		.amdhsa_system_vgpr_workitem_id 0
		.amdhsa_next_free_vgpr 10
		.amdhsa_next_free_sgpr 14
		.amdhsa_accum_offset 12
		.amdhsa_reserve_vcc 1
		.amdhsa_reserve_flat_scratch 0
		.amdhsa_float_round_mode_32 0
		.amdhsa_float_round_mode_16_64 0
		.amdhsa_float_denorm_mode_32 3
		.amdhsa_float_denorm_mode_16_64 3
		.amdhsa_dx10_clamp 1
		.amdhsa_ieee_mode 1
		.amdhsa_fp16_overflow 0
		.amdhsa_tg_split 0
		.amdhsa_exception_fp_ieee_invalid_op 0
		.amdhsa_exception_fp_denorm_src 0
		.amdhsa_exception_fp_ieee_div_zero 0
		.amdhsa_exception_fp_ieee_overflow 0
		.amdhsa_exception_fp_ieee_underflow 0
		.amdhsa_exception_fp_ieee_inexact 0
		.amdhsa_exception_int_div_zero 0
	.end_amdhsa_kernel
	.section	.text._ZN7rocprim6detail31init_lookback_scan_state_kernelINS0_19lookback_scan_stateIlLb0ELb1EEEEEvT_jjPNS4_10value_typeE,"axG",@progbits,_ZN7rocprim6detail31init_lookback_scan_state_kernelINS0_19lookback_scan_stateIlLb0ELb1EEEEEvT_jjPNS4_10value_typeE,comdat
.Lfunc_end126:
	.size	_ZN7rocprim6detail31init_lookback_scan_state_kernelINS0_19lookback_scan_stateIlLb0ELb1EEEEEvT_jjPNS4_10value_typeE, .Lfunc_end126-_ZN7rocprim6detail31init_lookback_scan_state_kernelINS0_19lookback_scan_stateIlLb0ELb1EEEEEvT_jjPNS4_10value_typeE
                                        ; -- End function
	.section	.AMDGPU.csdata,"",@progbits
; Kernel info:
; codeLenInByte = 364
; NumSgprs: 18
; NumVgprs: 10
; NumAgprs: 0
; TotalNumVgprs: 10
; ScratchSize: 0
; MemoryBound: 0
; FloatMode: 240
; IeeeMode: 1
; LDSByteSize: 0 bytes/workgroup (compile time only)
; SGPRBlocks: 2
; VGPRBlocks: 1
; NumSGPRsForWavesPerEU: 18
; NumVGPRsForWavesPerEU: 10
; AccumOffset: 12
; Occupancy: 8
; WaveLimiterHint : 0
; COMPUTE_PGM_RSRC2:SCRATCH_EN: 0
; COMPUTE_PGM_RSRC2:USER_SGPR: 6
; COMPUTE_PGM_RSRC2:TRAP_HANDLER: 0
; COMPUTE_PGM_RSRC2:TGID_X_EN: 1
; COMPUTE_PGM_RSRC2:TGID_Y_EN: 0
; COMPUTE_PGM_RSRC2:TGID_Z_EN: 0
; COMPUTE_PGM_RSRC2:TIDIG_COMP_CNT: 0
; COMPUTE_PGM_RSRC3_GFX90A:ACCUM_OFFSET: 2
; COMPUTE_PGM_RSRC3_GFX90A:TG_SPLIT: 0
	.section	.text._ZN7rocprim6detail20lookback_scan_kernelILNS0_25lookback_scan_determinismE0ELb1ENS0_19wrapped_scan_configINS_14default_configElEEN6hipcub22TransformInputIteratorIiNS6_6CastOpIiEEPilEEPlNS6_3SumENS_12future_valueIlSC_EElNS0_19lookback_scan_stateIlLb1ELb1EEEEEvT2_T3_mT5_T4_T7_jPT6_SO_bb,"axG",@progbits,_ZN7rocprim6detail20lookback_scan_kernelILNS0_25lookback_scan_determinismE0ELb1ENS0_19wrapped_scan_configINS_14default_configElEEN6hipcub22TransformInputIteratorIiNS6_6CastOpIiEEPilEEPlNS6_3SumENS_12future_valueIlSC_EElNS0_19lookback_scan_stateIlLb1ELb1EEEEEvT2_T3_mT5_T4_T7_jPT6_SO_bb,comdat
	.protected	_ZN7rocprim6detail20lookback_scan_kernelILNS0_25lookback_scan_determinismE0ELb1ENS0_19wrapped_scan_configINS_14default_configElEEN6hipcub22TransformInputIteratorIiNS6_6CastOpIiEEPilEEPlNS6_3SumENS_12future_valueIlSC_EElNS0_19lookback_scan_stateIlLb1ELb1EEEEEvT2_T3_mT5_T4_T7_jPT6_SO_bb ; -- Begin function _ZN7rocprim6detail20lookback_scan_kernelILNS0_25lookback_scan_determinismE0ELb1ENS0_19wrapped_scan_configINS_14default_configElEEN6hipcub22TransformInputIteratorIiNS6_6CastOpIiEEPilEEPlNS6_3SumENS_12future_valueIlSC_EElNS0_19lookback_scan_stateIlLb1ELb1EEEEEvT2_T3_mT5_T4_T7_jPT6_SO_bb
	.globl	_ZN7rocprim6detail20lookback_scan_kernelILNS0_25lookback_scan_determinismE0ELb1ENS0_19wrapped_scan_configINS_14default_configElEEN6hipcub22TransformInputIteratorIiNS6_6CastOpIiEEPilEEPlNS6_3SumENS_12future_valueIlSC_EElNS0_19lookback_scan_stateIlLb1ELb1EEEEEvT2_T3_mT5_T4_T7_jPT6_SO_bb
	.p2align	8
	.type	_ZN7rocprim6detail20lookback_scan_kernelILNS0_25lookback_scan_determinismE0ELb1ENS0_19wrapped_scan_configINS_14default_configElEEN6hipcub22TransformInputIteratorIiNS6_6CastOpIiEEPilEEPlNS6_3SumENS_12future_valueIlSC_EElNS0_19lookback_scan_stateIlLb1ELb1EEEEEvT2_T3_mT5_T4_T7_jPT6_SO_bb,@function
_ZN7rocprim6detail20lookback_scan_kernelILNS0_25lookback_scan_determinismE0ELb1ENS0_19wrapped_scan_configINS_14default_configElEEN6hipcub22TransformInputIteratorIiNS6_6CastOpIiEEPilEEPlNS6_3SumENS_12future_valueIlSC_EElNS0_19lookback_scan_stateIlLb1ELb1EEEEEvT2_T3_mT5_T4_T7_jPT6_SO_bb: ; @_ZN7rocprim6detail20lookback_scan_kernelILNS0_25lookback_scan_determinismE0ELb1ENS0_19wrapped_scan_configINS_14default_configElEEN6hipcub22TransformInputIteratorIiNS6_6CastOpIiEEPilEEPlNS6_3SumENS_12future_valueIlSC_EElNS0_19lookback_scan_stateIlLb1ELb1EEEEEvT2_T3_mT5_T4_T7_jPT6_SO_bb
; %bb.0:
	s_endpgm
	.section	.rodata,"a",@progbits
	.p2align	6, 0x0
	.amdhsa_kernel _ZN7rocprim6detail20lookback_scan_kernelILNS0_25lookback_scan_determinismE0ELb1ENS0_19wrapped_scan_configINS_14default_configElEEN6hipcub22TransformInputIteratorIiNS6_6CastOpIiEEPilEEPlNS6_3SumENS_12future_valueIlSC_EElNS0_19lookback_scan_stateIlLb1ELb1EEEEEvT2_T3_mT5_T4_T7_jPT6_SO_bb
		.amdhsa_group_segment_fixed_size 0
		.amdhsa_private_segment_fixed_size 0
		.amdhsa_kernarg_size 84
		.amdhsa_user_sgpr_count 6
		.amdhsa_user_sgpr_private_segment_buffer 1
		.amdhsa_user_sgpr_dispatch_ptr 0
		.amdhsa_user_sgpr_queue_ptr 0
		.amdhsa_user_sgpr_kernarg_segment_ptr 1
		.amdhsa_user_sgpr_dispatch_id 0
		.amdhsa_user_sgpr_flat_scratch_init 0
		.amdhsa_user_sgpr_kernarg_preload_length 0
		.amdhsa_user_sgpr_kernarg_preload_offset 0
		.amdhsa_user_sgpr_private_segment_size 0
		.amdhsa_uses_dynamic_stack 0
		.amdhsa_system_sgpr_private_segment_wavefront_offset 0
		.amdhsa_system_sgpr_workgroup_id_x 1
		.amdhsa_system_sgpr_workgroup_id_y 0
		.amdhsa_system_sgpr_workgroup_id_z 0
		.amdhsa_system_sgpr_workgroup_info 0
		.amdhsa_system_vgpr_workitem_id 0
		.amdhsa_next_free_vgpr 1
		.amdhsa_next_free_sgpr 0
		.amdhsa_accum_offset 4
		.amdhsa_reserve_vcc 0
		.amdhsa_reserve_flat_scratch 0
		.amdhsa_float_round_mode_32 0
		.amdhsa_float_round_mode_16_64 0
		.amdhsa_float_denorm_mode_32 3
		.amdhsa_float_denorm_mode_16_64 3
		.amdhsa_dx10_clamp 1
		.amdhsa_ieee_mode 1
		.amdhsa_fp16_overflow 0
		.amdhsa_tg_split 0
		.amdhsa_exception_fp_ieee_invalid_op 0
		.amdhsa_exception_fp_denorm_src 0
		.amdhsa_exception_fp_ieee_div_zero 0
		.amdhsa_exception_fp_ieee_overflow 0
		.amdhsa_exception_fp_ieee_underflow 0
		.amdhsa_exception_fp_ieee_inexact 0
		.amdhsa_exception_int_div_zero 0
	.end_amdhsa_kernel
	.section	.text._ZN7rocprim6detail20lookback_scan_kernelILNS0_25lookback_scan_determinismE0ELb1ENS0_19wrapped_scan_configINS_14default_configElEEN6hipcub22TransformInputIteratorIiNS6_6CastOpIiEEPilEEPlNS6_3SumENS_12future_valueIlSC_EElNS0_19lookback_scan_stateIlLb1ELb1EEEEEvT2_T3_mT5_T4_T7_jPT6_SO_bb,"axG",@progbits,_ZN7rocprim6detail20lookback_scan_kernelILNS0_25lookback_scan_determinismE0ELb1ENS0_19wrapped_scan_configINS_14default_configElEEN6hipcub22TransformInputIteratorIiNS6_6CastOpIiEEPilEEPlNS6_3SumENS_12future_valueIlSC_EElNS0_19lookback_scan_stateIlLb1ELb1EEEEEvT2_T3_mT5_T4_T7_jPT6_SO_bb,comdat
.Lfunc_end127:
	.size	_ZN7rocprim6detail20lookback_scan_kernelILNS0_25lookback_scan_determinismE0ELb1ENS0_19wrapped_scan_configINS_14default_configElEEN6hipcub22TransformInputIteratorIiNS6_6CastOpIiEEPilEEPlNS6_3SumENS_12future_valueIlSC_EElNS0_19lookback_scan_stateIlLb1ELb1EEEEEvT2_T3_mT5_T4_T7_jPT6_SO_bb, .Lfunc_end127-_ZN7rocprim6detail20lookback_scan_kernelILNS0_25lookback_scan_determinismE0ELb1ENS0_19wrapped_scan_configINS_14default_configElEEN6hipcub22TransformInputIteratorIiNS6_6CastOpIiEEPilEEPlNS6_3SumENS_12future_valueIlSC_EElNS0_19lookback_scan_stateIlLb1ELb1EEEEEvT2_T3_mT5_T4_T7_jPT6_SO_bb
                                        ; -- End function
	.section	.AMDGPU.csdata,"",@progbits
; Kernel info:
; codeLenInByte = 4
; NumSgprs: 4
; NumVgprs: 0
; NumAgprs: 0
; TotalNumVgprs: 0
; ScratchSize: 0
; MemoryBound: 0
; FloatMode: 240
; IeeeMode: 1
; LDSByteSize: 0 bytes/workgroup (compile time only)
; SGPRBlocks: 0
; VGPRBlocks: 0
; NumSGPRsForWavesPerEU: 4
; NumVGPRsForWavesPerEU: 1
; AccumOffset: 4
; Occupancy: 8
; WaveLimiterHint : 0
; COMPUTE_PGM_RSRC2:SCRATCH_EN: 0
; COMPUTE_PGM_RSRC2:USER_SGPR: 6
; COMPUTE_PGM_RSRC2:TRAP_HANDLER: 0
; COMPUTE_PGM_RSRC2:TGID_X_EN: 1
; COMPUTE_PGM_RSRC2:TGID_Y_EN: 0
; COMPUTE_PGM_RSRC2:TGID_Z_EN: 0
; COMPUTE_PGM_RSRC2:TIDIG_COMP_CNT: 0
; COMPUTE_PGM_RSRC3_GFX90A:ACCUM_OFFSET: 0
; COMPUTE_PGM_RSRC3_GFX90A:TG_SPLIT: 0
	.section	.text._ZN7rocprim6detail20lookback_scan_kernelILNS0_25lookback_scan_determinismE0ELb1ENS0_19wrapped_scan_configINS_14default_configElEEN6hipcub22TransformInputIteratorIiNS6_6CastOpIiEEPilEEPlNS6_3SumENS_12future_valueIlSC_EElNS0_19lookback_scan_stateIlLb0ELb1EEEEEvT2_T3_mT5_T4_T7_jPT6_SO_bb,"axG",@progbits,_ZN7rocprim6detail20lookback_scan_kernelILNS0_25lookback_scan_determinismE0ELb1ENS0_19wrapped_scan_configINS_14default_configElEEN6hipcub22TransformInputIteratorIiNS6_6CastOpIiEEPilEEPlNS6_3SumENS_12future_valueIlSC_EElNS0_19lookback_scan_stateIlLb0ELb1EEEEEvT2_T3_mT5_T4_T7_jPT6_SO_bb,comdat
	.protected	_ZN7rocprim6detail20lookback_scan_kernelILNS0_25lookback_scan_determinismE0ELb1ENS0_19wrapped_scan_configINS_14default_configElEEN6hipcub22TransformInputIteratorIiNS6_6CastOpIiEEPilEEPlNS6_3SumENS_12future_valueIlSC_EElNS0_19lookback_scan_stateIlLb0ELb1EEEEEvT2_T3_mT5_T4_T7_jPT6_SO_bb ; -- Begin function _ZN7rocprim6detail20lookback_scan_kernelILNS0_25lookback_scan_determinismE0ELb1ENS0_19wrapped_scan_configINS_14default_configElEEN6hipcub22TransformInputIteratorIiNS6_6CastOpIiEEPilEEPlNS6_3SumENS_12future_valueIlSC_EElNS0_19lookback_scan_stateIlLb0ELb1EEEEEvT2_T3_mT5_T4_T7_jPT6_SO_bb
	.globl	_ZN7rocprim6detail20lookback_scan_kernelILNS0_25lookback_scan_determinismE0ELb1ENS0_19wrapped_scan_configINS_14default_configElEEN6hipcub22TransformInputIteratorIiNS6_6CastOpIiEEPilEEPlNS6_3SumENS_12future_valueIlSC_EElNS0_19lookback_scan_stateIlLb0ELb1EEEEEvT2_T3_mT5_T4_T7_jPT6_SO_bb
	.p2align	8
	.type	_ZN7rocprim6detail20lookback_scan_kernelILNS0_25lookback_scan_determinismE0ELb1ENS0_19wrapped_scan_configINS_14default_configElEEN6hipcub22TransformInputIteratorIiNS6_6CastOpIiEEPilEEPlNS6_3SumENS_12future_valueIlSC_EElNS0_19lookback_scan_stateIlLb0ELb1EEEEEvT2_T3_mT5_T4_T7_jPT6_SO_bb,@function
_ZN7rocprim6detail20lookback_scan_kernelILNS0_25lookback_scan_determinismE0ELb1ENS0_19wrapped_scan_configINS_14default_configElEEN6hipcub22TransformInputIteratorIiNS6_6CastOpIiEEPilEEPlNS6_3SumENS_12future_valueIlSC_EElNS0_19lookback_scan_stateIlLb0ELb1EEEEEvT2_T3_mT5_T4_T7_jPT6_SO_bb: ; @_ZN7rocprim6detail20lookback_scan_kernelILNS0_25lookback_scan_determinismE0ELb1ENS0_19wrapped_scan_configINS_14default_configElEEN6hipcub22TransformInputIteratorIiNS6_6CastOpIiEEPilEEPlNS6_3SumENS_12future_valueIlSC_EElNS0_19lookback_scan_stateIlLb0ELb1EEEEEvT2_T3_mT5_T4_T7_jPT6_SO_bb
; %bb.0:
	s_load_dwordx2 s[0:1], s[4:5], 0x20
	s_load_dword s2, s[4:5], 0x38
	s_load_dwordx2 s[18:19], s[4:5], 0x0
	s_load_dwordx4 s[12:15], s[4:5], 0x10
	s_mul_i32 s16, s6, 0x540
	s_waitcnt lgkmcnt(0)
	s_load_dwordx2 s[20:21], s[0:1], 0x0
	s_add_i32 s0, s2, -1
	s_mul_i32 s1, s0, 0x540
	s_sub_u32 s24, s14, s1
	s_subb_u32 s25, s15, 0
	s_mov_b32 s17, 0
	s_cmp_lg_u32 s6, s0
	s_cselect_b64 s[14:15], -1, 0
	s_lshl_b64 s[0:1], s[16:17], 2
	s_add_u32 s8, s18, s0
	s_addc_u32 s9, s19, s1
	s_mov_b64 s[0:1], -1
	s_and_b64 vcc, exec, s[14:15]
	v_lshlrev_b32_e32 v1, 2, v0
	v_lshlrev_b32_e32 v58, 3, v0
	s_cbranch_vccz .LBB128_2
; %bb.1:
	v_mov_b32_e32 v3, s9
	v_add_co_u32_e32 v5, vcc, s8, v1
	v_addc_co_u32_e32 v3, vcc, 0, v3, vcc
	s_movk_i32 s0, 0x1000
	v_add_co_u32_e32 v34, vcc, s0, v5
	v_addc_co_u32_e32 v35, vcc, 0, v3, vcc
	global_load_dword v2, v1, s[8:9]
	global_load_dword v4, v1, s[8:9] offset:256
	global_load_dword v6, v1, s[8:9] offset:512
	;; [unrolled: 1-line block ×15, first 2 shown]
	global_load_dword v36, v[34:35], off
	global_load_dword v38, v[34:35], off offset:256
	global_load_dword v40, v[34:35], off offset:512
	;; [unrolled: 1-line block ×4, first 2 shown]
	s_mov_b64 s[0:1], 0
	s_waitcnt vmcnt(20)
	v_ashrrev_i32_e32 v3, 31, v2
	s_waitcnt vmcnt(19)
	v_ashrrev_i32_e32 v5, 31, v4
	;; [unrolled: 2-line block ×14, first 2 shown]
	v_ashrrev_i32_e32 v27, 31, v26
	v_ashrrev_i32_e32 v29, 31, v28
	;; [unrolled: 1-line block ×4, first 2 shown]
	ds_write2st64_b64 v58, v[2:3], v[4:5] offset1:1
	ds_write2st64_b64 v58, v[6:7], v[8:9] offset0:2 offset1:3
	ds_write2st64_b64 v58, v[10:11], v[12:13] offset0:4 offset1:5
	;; [unrolled: 1-line block ×7, first 2 shown]
	s_waitcnt vmcnt(2)
	v_ashrrev_i32_e32 v41, 31, v40
	s_waitcnt vmcnt(1)
	v_ashrrev_i32_e32 v43, 31, v42
	;; [unrolled: 2-line block ×3, first 2 shown]
	ds_write2st64_b64 v58, v[36:37], v[38:39] offset0:16 offset1:17
	ds_write2st64_b64 v58, v[40:41], v[42:43] offset0:18 offset1:19
	ds_write_b64 v58, v[44:45] offset:10240
	s_waitcnt lgkmcnt(0)
	; wave barrier
.LBB128_2:
	s_andn2_b64 vcc, exec, s[0:1]
	v_cmp_gt_u32_e64 s[0:1], s24, v0
	s_cbranch_vccnz .LBB128_46
; %bb.3:
	s_load_dword s2, s[8:9], 0x0
	v_mov_b32_e32 v2, s9
	v_add_co_u32_e32 v4, vcc, s8, v1
	v_addc_co_u32_e32 v5, vcc, 0, v2, vcc
	s_waitcnt lgkmcnt(0)
	s_ashr_i32 s3, s2, 31
	v_pk_mov_b32 v[2:3], s[2:3], s[2:3] op_sel:[0,1]
	s_and_saveexec_b64 s[8:9], s[0:1]
	s_cbranch_execz .LBB128_5
; %bb.4:
	global_load_dword v2, v[4:5], off
	s_waitcnt vmcnt(0)
	v_ashrrev_i32_e32 v3, 31, v2
.LBB128_5:
	s_or_b64 exec, exec, s[8:9]
	v_or_b32_e32 v1, 64, v0
	v_cmp_gt_u32_e32 vcc, s24, v1
	v_pk_mov_b32 v[6:7], s[2:3], s[2:3] op_sel:[0,1]
	s_and_saveexec_b64 s[0:1], vcc
	s_cbranch_execz .LBB128_7
; %bb.6:
	global_load_dword v6, v[4:5], off offset:256
	s_waitcnt vmcnt(0)
	v_ashrrev_i32_e32 v7, 31, v6
.LBB128_7:
	s_or_b64 exec, exec, s[0:1]
	v_or_b32_e32 v1, 0x80, v0
	v_cmp_gt_u32_e32 vcc, s24, v1
	v_pk_mov_b32 v[8:9], s[2:3], s[2:3] op_sel:[0,1]
	s_and_saveexec_b64 s[0:1], vcc
	s_cbranch_execz .LBB128_9
; %bb.8:
	global_load_dword v8, v[4:5], off offset:512
	s_waitcnt vmcnt(0)
	v_ashrrev_i32_e32 v9, 31, v8
.LBB128_9:
	;; [unrolled: 11-line block ×15, first 2 shown]
	s_or_b64 exec, exec, s[0:1]
	v_or_b32_e32 v1, 0x400, v0
	v_cmp_gt_u32_e32 vcc, s24, v1
	v_pk_mov_b32 v[36:37], s[2:3], s[2:3] op_sel:[0,1]
	s_and_saveexec_b64 s[0:1], vcc
	s_cbranch_execz .LBB128_37
; %bb.36:
	v_add_co_u32_e32 v36, vcc, 0x1000, v4
	v_addc_co_u32_e32 v37, vcc, 0, v5, vcc
	global_load_dword v36, v[36:37], off
	s_waitcnt vmcnt(0)
	v_ashrrev_i32_e32 v37, 31, v36
.LBB128_37:
	s_or_b64 exec, exec, s[0:1]
	v_or_b32_e32 v1, 0x440, v0
	v_cmp_gt_u32_e32 vcc, s24, v1
	v_pk_mov_b32 v[38:39], s[2:3], s[2:3] op_sel:[0,1]
	s_and_saveexec_b64 s[0:1], vcc
	s_cbranch_execz .LBB128_39
; %bb.38:
	v_add_co_u32_e32 v38, vcc, 0x1000, v4
	v_addc_co_u32_e32 v39, vcc, 0, v5, vcc
	global_load_dword v38, v[38:39], off offset:256
	s_waitcnt vmcnt(0)
	v_ashrrev_i32_e32 v39, 31, v38
.LBB128_39:
	s_or_b64 exec, exec, s[0:1]
	v_or_b32_e32 v1, 0x480, v0
	v_cmp_gt_u32_e32 vcc, s24, v1
	v_pk_mov_b32 v[40:41], s[2:3], s[2:3] op_sel:[0,1]
	s_and_saveexec_b64 s[0:1], vcc
	s_cbranch_execz .LBB128_41
; %bb.40:
	v_add_co_u32_e32 v40, vcc, 0x1000, v4
	v_addc_co_u32_e32 v41, vcc, 0, v5, vcc
	global_load_dword v40, v[40:41], off offset:512
	s_waitcnt vmcnt(0)
	v_ashrrev_i32_e32 v41, 31, v40
.LBB128_41:
	;; [unrolled: 13-line block ×4, first 2 shown]
	s_or_b64 exec, exec, s[0:1]
	ds_write2st64_b64 v58, v[2:3], v[6:7] offset1:1
	ds_write2st64_b64 v58, v[8:9], v[10:11] offset0:2 offset1:3
	ds_write2st64_b64 v58, v[12:13], v[14:15] offset0:4 offset1:5
	;; [unrolled: 1-line block ×9, first 2 shown]
	ds_write_b64 v58, v[44:45] offset:10240
	s_waitcnt lgkmcnt(0)
	; wave barrier
.LBB128_46:
	v_mul_u32_u24_e32 v59, 21, v0
	v_lshlrev_b32_e32 v1, 3, v59
	s_waitcnt lgkmcnt(0)
	ds_read2_b64 v[38:41], v1 offset1:1
	ds_read2_b64 v[34:37], v1 offset0:2 offset1:3
	ds_read2_b64 v[30:33], v1 offset0:4 offset1:5
	;; [unrolled: 1-line block ×9, first 2 shown]
	ds_read_b64 v[50:51], v1 offset:160
	s_load_dwordx2 s[22:23], s[4:5], 0x30
	s_cmp_lg_u32 s6, 0
	v_mbcnt_lo_u32_b32 v60, -1, 0
	s_waitcnt lgkmcnt(0)
	; wave barrier
	s_waitcnt lgkmcnt(0)
	s_cbranch_scc0 .LBB128_71
; %bb.47:
	v_add_co_u32_e32 v1, vcc, v40, v38
	v_addc_co_u32_e32 v42, vcc, v41, v39, vcc
	v_add_co_u32_e32 v1, vcc, v1, v34
	v_addc_co_u32_e32 v42, vcc, v42, v35, vcc
	;; [unrolled: 2-line block ×20, first 2 shown]
	s_nop 0
	v_mov_b32_dpp v44, v42 row_shr:1 row_mask:0xf bank_mask:0xf
	v_add_co_u32_e32 v44, vcc, v42, v44
	v_addc_co_u32_e32 v46, vcc, 0, v43, vcc
	v_mbcnt_hi_u32_b32 v56, -1, v60
	v_mov_b32_dpp v45, v43 row_shr:1 row_mask:0xf bank_mask:0xf
	v_add_co_u32_e32 v47, vcc, 0, v44
	v_and_b32_e32 v1, 15, v56
	v_addc_co_u32_e32 v45, vcc, v45, v46, vcc
	v_cmp_eq_u32_e32 vcc, 0, v1
	v_cndmask_b32_e32 v44, v44, v42, vcc
	v_cndmask_b32_e32 v45, v45, v43, vcc
	v_cndmask_b32_e32 v46, v47, v42, vcc
	v_mov_b32_dpp v47, v44 row_shr:2 row_mask:0xf bank_mask:0xf
	v_mov_b32_dpp v48, v45 row_shr:2 row_mask:0xf bank_mask:0xf
	v_add_co_u32_e32 v47, vcc, v47, v46
	v_addc_co_u32_e32 v48, vcc, v48, v45, vcc
	v_cmp_lt_u32_e32 vcc, 1, v1
	v_cndmask_b32_e32 v44, v44, v47, vcc
	v_cndmask_b32_e32 v45, v45, v48, vcc
	v_cndmask_b32_e32 v46, v46, v47, vcc
	v_mov_b32_dpp v47, v44 row_shr:4 row_mask:0xf bank_mask:0xf
	v_mov_b32_dpp v48, v45 row_shr:4 row_mask:0xf bank_mask:0xf
	v_add_co_u32_e32 v47, vcc, v47, v46
	v_addc_co_u32_e32 v48, vcc, v48, v45, vcc
	v_cmp_lt_u32_e32 vcc, 3, v1
	;; [unrolled: 8-line block ×3, first 2 shown]
	v_cndmask_b32_e32 v49, v44, v47, vcc
	v_cndmask_b32_e32 v1, v45, v48, vcc
	;; [unrolled: 1-line block ×3, first 2 shown]
	v_mov_b32_dpp v45, v49 row_bcast:15 row_mask:0xf bank_mask:0xf
	v_mov_b32_dpp v46, v1 row_bcast:15 row_mask:0xf bank_mask:0xf
	v_add_co_u32_e32 v45, vcc, v45, v44
	v_and_b32_e32 v48, 16, v56
	v_addc_co_u32_e32 v47, vcc, v46, v1, vcc
	v_cmp_eq_u32_e32 vcc, 0, v48
	v_cndmask_b32_e32 v48, v47, v1, vcc
	v_cndmask_b32_e32 v46, v45, v49, vcc
	v_cmp_eq_u32_e64 s[0:1], 0, v56
	v_mov_b32_dpp v48, v48 row_bcast:31 row_mask:0xf bank_mask:0xf
	v_mov_b32_dpp v46, v46 row_bcast:31 row_mask:0xf bank_mask:0xf
	v_cmp_ne_u32_e64 s[2:3], 0, v56
	s_and_saveexec_b64 s[8:9], s[2:3]
; %bb.48:
	v_cndmask_b32_e32 v1, v47, v1, vcc
	v_cndmask_b32_e32 v42, v45, v44, vcc
	v_cmp_lt_u32_e32 vcc, 31, v56
	v_cndmask_b32_e32 v44, 0, v46, vcc
	v_cndmask_b32_e32 v43, 0, v48, vcc
	v_add_co_u32_e32 v42, vcc, v44, v42
	v_addc_co_u32_e32 v43, vcc, v43, v1, vcc
; %bb.49:
	s_or_b64 exec, exec, s[8:9]
	v_cmp_eq_u32_e32 vcc, 63, v0
	s_and_saveexec_b64 s[2:3], vcc
	s_cbranch_execz .LBB128_51
; %bb.50:
	v_mov_b32_e32 v1, 0
	ds_write_b64 v1, v[42:43]
.LBB128_51:
	s_or_b64 exec, exec, s[2:3]
	v_add_u32_e32 v1, -1, v56
	v_and_b32_e32 v44, 64, v56
	v_cmp_lt_i32_e32 vcc, v1, v44
	v_cndmask_b32_e32 v1, v1, v56, vcc
	v_lshlrev_b32_e32 v44, 2, v1
	ds_bpermute_b32 v1, v44, v42
	ds_bpermute_b32 v61, v44, v43
	v_cmp_gt_u32_e32 vcc, 64, v0
	s_waitcnt lgkmcnt(0)
	; wave barrier
	s_waitcnt lgkmcnt(0)
	s_and_saveexec_b64 s[10:11], vcc
	s_cbranch_execz .LBB128_70
; %bb.52:
	v_mov_b32_e32 v45, 0
	ds_read_b64 v[42:43], v45
	s_and_saveexec_b64 s[2:3], s[0:1]
	s_cbranch_execz .LBB128_54
; %bb.53:
	s_add_i32 s8, s6, 64
	s_mov_b32 s9, 0
	s_lshl_b64 s[8:9], s[8:9], 4
	s_add_u32 s8, s22, s8
	s_addc_u32 s9, s23, s9
	v_mov_b32_e32 v44, 1
	v_pk_mov_b32 v[46:47], s[8:9], s[8:9] op_sel:[0,1]
	s_waitcnt lgkmcnt(0)
	;;#ASMSTART
	global_store_dwordx4 v[46:47], v[42:45] off	
s_waitcnt vmcnt(0)
	;;#ASMEND
.LBB128_54:
	s_or_b64 exec, exec, s[2:3]
	v_xad_u32 v52, v56, -1, s6
	v_add_u32_e32 v44, 64, v52
	v_lshlrev_b64 v[46:47], 4, v[44:45]
	v_mov_b32_e32 v44, s23
	v_add_co_u32_e32 v54, vcc, s22, v46
	v_addc_co_u32_e32 v55, vcc, v44, v47, vcc
	;;#ASMSTART
	global_load_dwordx4 v[46:49], v[54:55] off glc	
s_waitcnt vmcnt(0)
	;;#ASMEND
	v_cmp_eq_u16_sdwa s[8:9], v48, v45 src0_sel:BYTE_0 src1_sel:DWORD
	s_and_saveexec_b64 s[2:3], s[8:9]
	s_cbranch_execz .LBB128_58
; %bb.55:
	s_mov_b64 s[8:9], 0
	v_mov_b32_e32 v44, 0
.LBB128_56:                             ; =>This Inner Loop Header: Depth=1
	;;#ASMSTART
	global_load_dwordx4 v[46:49], v[54:55] off glc	
s_waitcnt vmcnt(0)
	;;#ASMEND
	v_cmp_ne_u16_sdwa s[26:27], v48, v44 src0_sel:BYTE_0 src1_sel:DWORD
	s_or_b64 s[8:9], s[26:27], s[8:9]
	s_andn2_b64 exec, exec, s[8:9]
	s_cbranch_execnz .LBB128_56
; %bb.57:
	s_or_b64 exec, exec, s[8:9]
.LBB128_58:
	s_or_b64 exec, exec, s[2:3]
	v_mov_b32_e32 v62, 2
	v_cmp_eq_u16_sdwa s[2:3], v48, v62 src0_sel:BYTE_0 src1_sel:DWORD
	v_lshlrev_b64 v[44:45], v56, -1
	v_and_b32_e32 v49, s3, v45
	v_or_b32_e32 v49, 0x80000000, v49
	v_and_b32_e32 v53, s2, v44
	v_ffbl_b32_e32 v49, v49
	v_and_b32_e32 v54, 63, v56
	v_add_u32_e32 v49, 32, v49
	v_ffbl_b32_e32 v53, v53
	v_cmp_ne_u32_e32 vcc, 63, v54
	v_min_u32_e32 v49, v53, v49
	v_addc_co_u32_e32 v53, vcc, 0, v56, vcc
	v_lshlrev_b32_e32 v63, 2, v53
	ds_bpermute_b32 v55, v63, v46
	ds_bpermute_b32 v57, v63, v47
	v_cmp_gt_u32_e64 s[2:3], 62, v54
	v_add_u32_e32 v64, 1, v56
	v_cmp_gt_u32_e64 s[8:9], 60, v54
	s_waitcnt lgkmcnt(1)
	v_add_co_u32_e32 v55, vcc, v46, v55
	v_addc_co_u32_e32 v65, vcc, 0, v47, vcc
	v_add_co_u32_e32 v66, vcc, 0, v55
	s_waitcnt lgkmcnt(0)
	v_addc_co_u32_e32 v57, vcc, v57, v65, vcc
	v_cndmask_b32_e64 v65, 0, 1, s[2:3]
	v_cmp_le_u32_e32 vcc, v64, v49
	v_lshlrev_b32_e32 v65, 1, v65
	v_cndmask_b32_e32 v55, v46, v55, vcc
	v_add_lshl_u32 v65, v65, v56, 2
	v_cndmask_b32_e32 v57, v47, v57, vcc
	ds_bpermute_b32 v67, v65, v55
	ds_bpermute_b32 v69, v65, v57
	v_cndmask_b32_e32 v68, v46, v66, vcc
	v_add_u32_e32 v66, 2, v56
	v_mov_b32_e32 v53, 0
	s_waitcnt lgkmcnt(1)
	v_add_co_u32_e64 v67, s[2:3], v67, v68
	s_waitcnt lgkmcnt(0)
	v_addc_co_u32_e64 v69, s[2:3], v69, v57, s[2:3]
	v_cmp_le_u32_e64 s[2:3], v66, v49
	v_cndmask_b32_e64 v55, v55, v67, s[2:3]
	v_cndmask_b32_e64 v57, v57, v69, s[2:3]
	;; [unrolled: 1-line block ×4, first 2 shown]
	v_lshlrev_b32_e32 v67, 2, v67
	v_add_lshl_u32 v67, v67, v56, 2
	ds_bpermute_b32 v70, v67, v55
	ds_bpermute_b32 v71, v67, v57
	s_or_b64 s[8:9], vcc, s[2:3]
	v_add_u32_e32 v68, 4, v56
	v_cmp_gt_u32_e64 s[2:3], 56, v54
	s_waitcnt lgkmcnt(1)
	v_add_co_u32_e32 v70, vcc, v70, v69
	s_waitcnt lgkmcnt(0)
	v_addc_co_u32_e32 v71, vcc, v71, v57, vcc
	v_cmp_le_u32_e32 vcc, v68, v49
	v_cndmask_b32_e32 v57, v57, v71, vcc
	v_cndmask_b32_e32 v71, v69, v70, vcc
	v_cndmask_b32_e64 v69, 0, 1, s[2:3]
	v_lshlrev_b32_e32 v69, 3, v69
	v_cndmask_b32_e32 v55, v55, v70, vcc
	v_add_lshl_u32 v69, v69, v56, 2
	ds_bpermute_b32 v72, v69, v55
	ds_bpermute_b32 v73, v69, v57
	s_or_b64 s[8:9], vcc, s[8:9]
	v_add_u32_e32 v70, 8, v56
	v_cmp_gt_u32_e64 s[2:3], 48, v54
	s_waitcnt lgkmcnt(1)
	v_add_co_u32_e32 v72, vcc, v72, v71
	s_waitcnt lgkmcnt(0)
	v_addc_co_u32_e32 v73, vcc, v73, v57, vcc
	v_cmp_le_u32_e32 vcc, v70, v49
	v_cndmask_b32_e32 v75, v71, v72, vcc
	v_cndmask_b32_e64 v71, 0, 1, s[2:3]
	v_lshlrev_b32_e32 v71, 4, v71
	v_cndmask_b32_e32 v55, v55, v72, vcc
	v_add_lshl_u32 v71, v71, v56, 2
	v_cndmask_b32_e32 v57, v57, v73, vcc
	ds_bpermute_b32 v73, v71, v55
	ds_bpermute_b32 v74, v71, v57
	s_or_b64 s[2:3], vcc, s[8:9]
	v_add_u32_e32 v72, 16, v56
	s_waitcnt lgkmcnt(1)
	v_add_co_u32_e32 v76, vcc, v73, v75
	s_waitcnt lgkmcnt(0)
	v_addc_co_u32_e32 v74, vcc, v74, v57, vcc
	v_cmp_le_u32_e32 vcc, v72, v49
	s_or_b64 s[8:9], vcc, s[2:3]
	v_cmp_gt_u32_e64 s[2:3], 32, v54
	v_cndmask_b32_e64 v54, 0, 1, s[2:3]
	v_lshlrev_b32_e32 v54, 5, v54
	v_cndmask_b32_e32 v55, v55, v76, vcc
	v_add_lshl_u32 v73, v54, v56, 2
	v_cndmask_b32_e32 v54, v57, v74, vcc
	ds_bpermute_b32 v55, v73, v55
	ds_bpermute_b32 v57, v73, v54
	v_add_u32_e32 v74, 32, v56
	v_cndmask_b32_e32 v56, v75, v76, vcc
	v_cmp_le_u32_e32 vcc, v74, v49
	s_waitcnt lgkmcnt(1)
	v_cndmask_b32_e32 v55, 0, v55, vcc
	s_waitcnt lgkmcnt(0)
	v_cndmask_b32_e32 v49, 0, v57, vcc
	v_add_co_u32_e64 v55, s[2:3], v55, v56
	v_addc_co_u32_e64 v49, s[2:3], v49, v54, s[2:3]
	s_or_b64 vcc, vcc, s[8:9]
	v_cndmask_b32_e32 v47, v47, v49, vcc
	v_cndmask_b32_e32 v46, v46, v55, vcc
	s_branch .LBB128_60
.LBB128_59:                             ;   in Loop: Header=BB128_60 Depth=1
	s_or_b64 exec, exec, s[2:3]
	v_cmp_eq_u16_sdwa s[2:3], v48, v62 src0_sel:BYTE_0 src1_sel:DWORD
	v_and_b32_e32 v49, s3, v45
	v_or_b32_e32 v49, 0x80000000, v49
	ds_bpermute_b32 v57, v63, v46
	v_and_b32_e32 v56, s2, v44
	v_ffbl_b32_e32 v49, v49
	v_add_u32_e32 v49, 32, v49
	v_ffbl_b32_e32 v56, v56
	v_min_u32_e32 v49, v56, v49
	ds_bpermute_b32 v56, v63, v47
	s_waitcnt lgkmcnt(1)
	v_add_co_u32_e32 v57, vcc, v46, v57
	v_addc_co_u32_e32 v75, vcc, 0, v47, vcc
	v_add_co_u32_e32 v76, vcc, 0, v57
	s_waitcnt lgkmcnt(0)
	v_addc_co_u32_e32 v56, vcc, v56, v75, vcc
	v_cmp_le_u32_e32 vcc, v64, v49
	v_cndmask_b32_e32 v57, v46, v57, vcc
	ds_bpermute_b32 v75, v65, v57
	v_cndmask_b32_e32 v56, v47, v56, vcc
	ds_bpermute_b32 v77, v65, v56
	v_cndmask_b32_e32 v76, v46, v76, vcc
	v_subrev_u32_e32 v52, 64, v52
	s_waitcnt lgkmcnt(1)
	v_add_co_u32_e64 v75, s[2:3], v75, v76
	s_waitcnt lgkmcnt(0)
	v_addc_co_u32_e64 v77, s[2:3], v77, v56, s[2:3]
	v_cmp_le_u32_e64 s[2:3], v66, v49
	v_cndmask_b32_e64 v57, v57, v75, s[2:3]
	v_cndmask_b32_e64 v56, v56, v77, s[2:3]
	ds_bpermute_b32 v77, v67, v57
	v_cndmask_b32_e64 v75, v76, v75, s[2:3]
	ds_bpermute_b32 v76, v67, v56
	s_or_b64 s[2:3], vcc, s[2:3]
	s_waitcnt lgkmcnt(1)
	v_add_co_u32_e32 v77, vcc, v77, v75
	s_waitcnt lgkmcnt(0)
	v_addc_co_u32_e32 v76, vcc, v76, v56, vcc
	v_cmp_le_u32_e32 vcc, v68, v49
	v_cndmask_b32_e32 v57, v57, v77, vcc
	v_cndmask_b32_e32 v56, v56, v76, vcc
	ds_bpermute_b32 v76, v69, v57
	v_cndmask_b32_e32 v75, v75, v77, vcc
	ds_bpermute_b32 v77, v69, v56
	s_or_b64 s[2:3], vcc, s[2:3]
	s_waitcnt lgkmcnt(1)
	v_add_co_u32_e32 v76, vcc, v76, v75
	s_waitcnt lgkmcnt(0)
	v_addc_co_u32_e32 v77, vcc, v77, v56, vcc
	v_cmp_le_u32_e32 vcc, v70, v49
	v_cndmask_b32_e32 v57, v57, v76, vcc
	v_cndmask_b32_e32 v56, v56, v77, vcc
	ds_bpermute_b32 v77, v71, v57
	v_cndmask_b32_e32 v75, v75, v76, vcc
	ds_bpermute_b32 v76, v71, v56
	s_or_b64 s[2:3], vcc, s[2:3]
	s_waitcnt lgkmcnt(1)
	v_add_co_u32_e32 v77, vcc, v77, v75
	s_waitcnt lgkmcnt(0)
	v_addc_co_u32_e32 v76, vcc, v76, v56, vcc
	v_cmp_le_u32_e32 vcc, v72, v49
	v_cndmask_b32_e32 v57, v57, v77, vcc
	v_cndmask_b32_e32 v56, v56, v76, vcc
	ds_bpermute_b32 v57, v73, v57
	ds_bpermute_b32 v76, v73, v56
	s_or_b64 s[8:9], vcc, s[2:3]
	v_cndmask_b32_e32 v75, v75, v77, vcc
	v_cmp_le_u32_e32 vcc, v74, v49
	s_waitcnt lgkmcnt(1)
	v_cndmask_b32_e32 v57, 0, v57, vcc
	s_waitcnt lgkmcnt(0)
	v_cndmask_b32_e32 v49, 0, v76, vcc
	v_add_co_u32_e64 v57, s[2:3], v57, v75
	s_or_b64 vcc, vcc, s[8:9]
	v_addc_co_u32_e64 v49, s[2:3], v49, v56, s[2:3]
	v_cndmask_b32_e32 v46, v46, v57, vcc
	v_cndmask_b32_e32 v47, v47, v49, vcc
	v_add_co_u32_e32 v46, vcc, v46, v54
	v_addc_co_u32_e32 v47, vcc, v47, v55, vcc
.LBB128_60:                             ; =>This Loop Header: Depth=1
                                        ;     Child Loop BB128_63 Depth 2
	v_cmp_ne_u16_sdwa s[2:3], v48, v62 src0_sel:BYTE_0 src1_sel:DWORD
	v_cndmask_b32_e64 v48, 0, 1, s[2:3]
	;;#ASMSTART
	;;#ASMEND
	v_cmp_ne_u32_e32 vcc, 0, v48
	s_cmp_lg_u64 vcc, exec
	v_pk_mov_b32 v[54:55], v[46:47], v[46:47] op_sel:[0,1]
	s_cbranch_scc1 .LBB128_65
; %bb.61:                               ;   in Loop: Header=BB128_60 Depth=1
	v_lshlrev_b64 v[46:47], 4, v[52:53]
	v_mov_b32_e32 v48, s23
	v_add_co_u32_e32 v56, vcc, s22, v46
	v_addc_co_u32_e32 v57, vcc, v48, v47, vcc
	;;#ASMSTART
	global_load_dwordx4 v[46:49], v[56:57] off glc	
s_waitcnt vmcnt(0)
	;;#ASMEND
	v_cmp_eq_u16_sdwa s[8:9], v48, v53 src0_sel:BYTE_0 src1_sel:DWORD
	s_and_saveexec_b64 s[2:3], s[8:9]
	s_cbranch_execz .LBB128_59
; %bb.62:                               ;   in Loop: Header=BB128_60 Depth=1
	s_mov_b64 s[8:9], 0
.LBB128_63:                             ;   Parent Loop BB128_60 Depth=1
                                        ; =>  This Inner Loop Header: Depth=2
	;;#ASMSTART
	global_load_dwordx4 v[46:49], v[56:57] off glc	
s_waitcnt vmcnt(0)
	;;#ASMEND
	v_cmp_ne_u16_sdwa s[26:27], v48, v53 src0_sel:BYTE_0 src1_sel:DWORD
	s_or_b64 s[8:9], s[26:27], s[8:9]
	s_andn2_b64 exec, exec, s[8:9]
	s_cbranch_execnz .LBB128_63
; %bb.64:                               ;   in Loop: Header=BB128_60 Depth=1
	s_or_b64 exec, exec, s[8:9]
	s_branch .LBB128_59
.LBB128_65:                             ;   in Loop: Header=BB128_60 Depth=1
                                        ; implicit-def: $vgpr46_vgpr47
                                        ; implicit-def: $vgpr48
	s_cbranch_execz .LBB128_60
; %bb.66:
	s_and_saveexec_b64 s[2:3], s[0:1]
	s_cbranch_execz .LBB128_68
; %bb.67:
	s_add_i32 s0, s6, 64
	s_mov_b32 s1, 0
	s_lshl_b64 s[0:1], s[0:1], 4
	s_add_u32 s0, s22, s0
	v_add_co_u32_e32 v42, vcc, v54, v42
	s_addc_u32 s1, s23, s1
	v_addc_co_u32_e32 v43, vcc, v55, v43, vcc
	v_mov_b32_e32 v44, 2
	v_mov_b32_e32 v45, 0
	v_pk_mov_b32 v[46:47], s[0:1], s[0:1] op_sel:[0,1]
	;;#ASMSTART
	global_store_dwordx4 v[46:47], v[42:45] off	
s_waitcnt vmcnt(0)
	;;#ASMEND
.LBB128_68:
	s_or_b64 exec, exec, s[2:3]
	v_cmp_eq_u32_e32 vcc, 0, v0
	s_and_b64 exec, exec, vcc
	s_cbranch_execz .LBB128_70
; %bb.69:
	v_mov_b32_e32 v42, 0
	ds_write_b64 v42, v[54:55]
.LBB128_70:
	s_or_b64 exec, exec, s[10:11]
	v_mov_b32_e32 v42, 0
	s_waitcnt lgkmcnt(0)
	; wave barrier
	s_waitcnt lgkmcnt(0)
	ds_read_b64 v[42:43], v42
	v_cmp_ne_u32_e32 vcc, 0, v0
	v_cndmask_b32_e32 v1, 0, v1, vcc
	v_cndmask_b32_e32 v44, 0, v61, vcc
	s_waitcnt lgkmcnt(0)
	v_add_co_u32_e32 v42, vcc, v42, v1
	v_addc_co_u32_e32 v43, vcc, v43, v44, vcc
	s_load_dwordx4 s[8:11], s[4:5], 0x40
	s_branch .LBB128_81
.LBB128_71:
                                        ; implicit-def: $vgpr42_vgpr43
	s_load_dwordx4 s[8:11], s[4:5], 0x40
	s_cbranch_execz .LBB128_81
; %bb.72:
	s_load_dword s0, s[4:5], 0x50
	v_pk_mov_b32 v[44:45], s[20:21], s[20:21] op_sel:[0,1]
	s_waitcnt lgkmcnt(0)
	s_bitcmp0_b32 s0, 0
	s_cbranch_scc1 .LBB128_74
; %bb.73:
	v_mov_b32_e32 v1, 0
	global_load_dword v1, v1, s[18:19] offset:-4
	s_load_dwordx2 s[0:1], s[8:9], 0x0
	s_waitcnt lgkmcnt(0)
	v_mov_b32_e32 v42, s1
	s_waitcnt vmcnt(0)
	v_ashrrev_i32_e32 v43, 31, v1
	v_add_co_u32_e32 v44, vcc, s0, v1
	v_addc_co_u32_e32 v45, vcc, v42, v43, vcc
.LBB128_74:
	v_add_co_u32_e32 v1, vcc, v40, v38
	v_addc_co_u32_e32 v42, vcc, v41, v39, vcc
	v_add_co_u32_e32 v1, vcc, v1, v34
	v_addc_co_u32_e32 v42, vcc, v42, v35, vcc
	;; [unrolled: 2-line block ×20, first 2 shown]
	s_nop 0
	v_mov_b32_dpp v46, v42 row_shr:1 row_mask:0xf bank_mask:0xf
	v_add_co_u32_e32 v46, vcc, v42, v46
	v_addc_co_u32_e32 v49, vcc, 0, v43, vcc
	v_mbcnt_hi_u32_b32 v47, -1, v60
	v_mov_b32_dpp v48, v43 row_shr:1 row_mask:0xf bank_mask:0xf
	v_add_co_u32_e32 v50, vcc, 0, v46
	v_and_b32_e32 v1, 15, v47
	v_addc_co_u32_e32 v48, vcc, v48, v49, vcc
	v_cmp_eq_u32_e32 vcc, 0, v1
	v_cndmask_b32_e32 v46, v46, v42, vcc
	v_cndmask_b32_e32 v48, v48, v43, vcc
	v_cndmask_b32_e32 v49, v50, v42, vcc
	v_mov_b32_dpp v50, v46 row_shr:2 row_mask:0xf bank_mask:0xf
	v_mov_b32_dpp v51, v48 row_shr:2 row_mask:0xf bank_mask:0xf
	v_add_co_u32_e32 v50, vcc, v50, v49
	v_addc_co_u32_e32 v51, vcc, v51, v48, vcc
	v_cmp_lt_u32_e32 vcc, 1, v1
	v_cndmask_b32_e32 v46, v46, v50, vcc
	v_cndmask_b32_e32 v48, v48, v51, vcc
	v_cndmask_b32_e32 v49, v49, v50, vcc
	v_mov_b32_dpp v50, v46 row_shr:4 row_mask:0xf bank_mask:0xf
	v_mov_b32_dpp v51, v48 row_shr:4 row_mask:0xf bank_mask:0xf
	v_add_co_u32_e32 v50, vcc, v50, v49
	v_addc_co_u32_e32 v51, vcc, v51, v48, vcc
	v_cmp_lt_u32_e32 vcc, 3, v1
	;; [unrolled: 8-line block ×3, first 2 shown]
	v_cndmask_b32_e32 v52, v46, v50, vcc
	v_cndmask_b32_e32 v1, v48, v51, vcc
	;; [unrolled: 1-line block ×3, first 2 shown]
	v_mov_b32_dpp v48, v52 row_bcast:15 row_mask:0xf bank_mask:0xf
	v_mov_b32_dpp v49, v1 row_bcast:15 row_mask:0xf bank_mask:0xf
	v_and_b32_e32 v51, 16, v47
	v_add_co_u32_e32 v48, vcc, v48, v46
	v_addc_co_u32_e32 v50, vcc, v49, v1, vcc
	v_cmp_eq_u32_e64 s[0:1], 0, v51
	v_cndmask_b32_e64 v51, v50, v1, s[0:1]
	v_cndmask_b32_e64 v49, v48, v52, s[0:1]
	v_cmp_eq_u32_e32 vcc, 0, v47
	v_mov_b32_dpp v51, v51 row_bcast:31 row_mask:0xf bank_mask:0xf
	v_mov_b32_dpp v49, v49 row_bcast:31 row_mask:0xf bank_mask:0xf
	v_cmp_ne_u32_e64 s[2:3], 0, v47
	s_and_saveexec_b64 s[6:7], s[2:3]
; %bb.75:
	v_cndmask_b32_e64 v1, v50, v1, s[0:1]
	v_cndmask_b32_e64 v42, v48, v46, s[0:1]
	v_cmp_lt_u32_e64 s[0:1], 31, v47
	v_cndmask_b32_e64 v46, 0, v49, s[0:1]
	v_cndmask_b32_e64 v43, 0, v51, s[0:1]
	v_add_co_u32_e64 v42, s[0:1], v46, v42
	v_addc_co_u32_e64 v43, s[0:1], v43, v1, s[0:1]
; %bb.76:
	s_or_b64 exec, exec, s[6:7]
	v_cmp_eq_u32_e64 s[0:1], 63, v0
	s_and_saveexec_b64 s[2:3], s[0:1]
	s_cbranch_execz .LBB128_78
; %bb.77:
	v_mov_b32_e32 v1, 0
	ds_write_b64 v1, v[42:43]
.LBB128_78:
	s_or_b64 exec, exec, s[2:3]
	v_add_co_u32_e64 v1, s[0:1], v42, v44
	v_addc_co_u32_e64 v42, s[0:1], v43, v45, s[0:1]
	v_add_u32_e32 v43, -1, v47
	v_and_b32_e32 v46, 64, v47
	v_cmp_lt_i32_e64 s[0:1], v43, v46
	v_cndmask_b32_e64 v43, v43, v47, s[0:1]
	v_lshlrev_b32_e32 v43, 2, v43
	ds_bpermute_b32 v42, v43, v42
	ds_bpermute_b32 v1, v43, v1
	v_cmp_eq_u32_e64 s[0:1], 0, v0
	s_or_b64 vcc, s[0:1], vcc
	s_waitcnt lgkmcnt(0)
	v_cndmask_b32_e32 v43, v42, v45, vcc
	v_cndmask_b32_e32 v42, v1, v44, vcc
	; wave barrier
	s_and_saveexec_b64 s[2:3], s[0:1]
	s_cbranch_execz .LBB128_80
; %bb.79:
	v_mov_b32_e32 v49, 0
	ds_read_b64 v[42:43], v49
	s_add_u32 s0, s22, 0x400
	s_addc_u32 s1, s23, 0
	v_mov_b32_e32 v48, 2
	s_waitcnt lgkmcnt(0)
	v_add_co_u32_e32 v46, vcc, v42, v44
	v_addc_co_u32_e32 v47, vcc, v43, v45, vcc
	v_pk_mov_b32 v[42:43], s[0:1], s[0:1] op_sel:[0,1]
	;;#ASMSTART
	global_store_dwordx4 v[42:43], v[46:49] off	
s_waitcnt vmcnt(0)
	;;#ASMEND
	v_pk_mov_b32 v[42:43], v[44:45], v[44:45] op_sel:[0,1]
.LBB128_80:
	s_or_b64 exec, exec, s[2:3]
.LBB128_81:
	v_add_co_u32_e32 v44, vcc, v42, v38
	v_addc_co_u32_e32 v45, vcc, v43, v39, vcc
	v_add_co_u32_e32 v38, vcc, v44, v40
	v_addc_co_u32_e32 v39, vcc, v45, v41, vcc
	;; [unrolled: 2-line block ×19, first 2 shown]
	v_add_co_u32_e32 v4, vcc, v2, v4
	s_lshl_b64 s[0:1], s[16:17], 3
	v_addc_co_u32_e32 v5, vcc, v3, v5, vcc
	s_add_u32 s0, s12, s0
	s_addc_u32 s1, s13, s1
	s_mov_b64 s[2:3], -1
	s_and_b64 vcc, exec, s[14:15]
	s_waitcnt lgkmcnt(0)
	; wave barrier
	s_waitcnt lgkmcnt(0)
	s_cbranch_vccz .LBB128_83
; %bb.82:
	v_mul_u32_u24_e32 v1, 0xa8, v0
	s_movk_i32 s2, 0xa8
	ds_write2_b64 v1, v[42:43], v[44:45] offset1:1
	ds_write2_b64 v1, v[38:39], v[40:41] offset0:2 offset1:3
	ds_write2_b64 v1, v[34:35], v[36:37] offset0:4 offset1:5
	;; [unrolled: 1-line block ×9, first 2 shown]
	ds_write_b64 v1, v[4:5] offset:160
	v_mul_i32_i24_e32 v1, 0xffffff60, v0
	v_mad_u32_u24 v1, v0, s2, v1
	s_waitcnt lgkmcnt(0)
	; wave barrier
	s_waitcnt lgkmcnt(0)
	ds_read2st64_b64 v[46:49], v1 offset1:1
	ds_read2st64_b64 v[50:53], v1 offset0:2 offset1:3
	ds_read2st64_b64 v[54:57], v1 offset0:4 offset1:5
	;; [unrolled: 1-line block ×9, first 2 shown]
	ds_read_b64 v[8:9], v1 offset:10240
	v_mov_b32_e32 v1, s1
	v_add_co_u32_e32 v88, vcc, s0, v58
	v_addc_co_u32_e32 v1, vcc, 0, v1, vcc
	s_movk_i32 s2, 0x1000
	s_waitcnt lgkmcnt(10)
	global_store_dwordx2 v58, v[46:47], s[0:1]
	global_store_dwordx2 v58, v[48:49], s[0:1] offset:512
	s_waitcnt lgkmcnt(9)
	global_store_dwordx2 v58, v[50:51], s[0:1] offset:1024
	global_store_dwordx2 v58, v[52:53], s[0:1] offset:1536
	s_waitcnt lgkmcnt(8)
	global_store_dwordx2 v58, v[54:55], s[0:1] offset:2048
	;; [unrolled: 3-line block ×3, first 2 shown]
	global_store_dwordx2 v58, v[62:63], s[0:1] offset:3584
	v_add_co_u32_e32 v46, vcc, s2, v88
	v_addc_co_u32_e32 v47, vcc, 0, v1, vcc
	s_waitcnt lgkmcnt(6)
	global_store_dwordx2 v[46:47], v[64:65], off
	global_store_dwordx2 v[46:47], v[66:67], off offset:512
	s_waitcnt lgkmcnt(5)
	global_store_dwordx2 v[46:47], v[68:69], off offset:1024
	global_store_dwordx2 v[46:47], v[70:71], off offset:1536
	s_waitcnt lgkmcnt(4)
	global_store_dwordx2 v[46:47], v[72:73], off offset:2048
	;; [unrolled: 3-line block ×3, first 2 shown]
	global_store_dwordx2 v[46:47], v[78:79], off offset:3584
	v_add_co_u32_e32 v46, vcc, 0x2000, v88
	v_addc_co_u32_e32 v47, vcc, 0, v1, vcc
	s_waitcnt lgkmcnt(2)
	global_store_dwordx2 v[46:47], v[80:81], off
	global_store_dwordx2 v[46:47], v[82:83], off offset:512
	s_waitcnt lgkmcnt(1)
	global_store_dwordx2 v[46:47], v[84:85], off offset:1024
	global_store_dwordx2 v[46:47], v[86:87], off offset:1536
	s_waitcnt lgkmcnt(0)
	global_store_dwordx2 v[46:47], v[8:9], off offset:2048
	s_mov_b64 s[2:3], 0
.LBB128_83:
	s_andn2_b64 vcc, exec, s[2:3]
	s_cbranch_vccnz .LBB128_204
; %bb.84:
	v_mul_u32_u24_e32 v1, 0xa8, v0
	s_movk_i32 s2, 0xa8
	ds_write2_b64 v1, v[42:43], v[44:45] offset1:1
	ds_write2_b64 v1, v[38:39], v[40:41] offset0:2 offset1:3
	ds_write2_b64 v1, v[34:35], v[36:37] offset0:4 offset1:5
	;; [unrolled: 1-line block ×9, first 2 shown]
	ds_write_b64 v1, v[4:5] offset:160
	v_mul_i32_i24_e32 v2, 0xffffff60, v0
	v_mad_u32_u24 v42, v0, s2, v2
	s_waitcnt lgkmcnt(0)
	; wave barrier
	s_waitcnt lgkmcnt(0)
	ds_read2st64_b64 v[6:9], v42 offset1:1
	ds_read2st64_b64 v[10:13], v42 offset0:2 offset1:3
	ds_read2st64_b64 v[14:17], v42 offset0:4 offset1:5
	;; [unrolled: 1-line block ×9, first 2 shown]
	ds_read_b64 v[42:43], v42 offset:10240
	v_mov_b32_e32 v45, s1
	v_add_co_u32_e32 v44, vcc, s0, v58
	v_addc_co_u32_e32 v45, vcc, 0, v45, vcc
	v_mov_b32_e32 v1, 0
	v_cmp_gt_u32_e32 vcc, s24, v0
	s_and_saveexec_b64 s[0:1], vcc
	s_cbranch_execz .LBB128_86
; %bb.85:
	s_waitcnt lgkmcnt(10)
	global_store_dwordx2 v[44:45], v[6:7], off
.LBB128_86:
	s_or_b64 exec, exec, s[0:1]
	v_or_b32_e32 v46, 64, v0
	v_cmp_gt_u32_e32 vcc, s24, v46
	s_and_saveexec_b64 s[0:1], vcc
	s_cbranch_execz .LBB128_88
; %bb.87:
	s_waitcnt lgkmcnt(10)
	global_store_dwordx2 v[44:45], v[8:9], off offset:512
.LBB128_88:
	s_or_b64 exec, exec, s[0:1]
	v_or_b32_e32 v46, 0x80, v0
	v_cmp_gt_u32_e32 vcc, s24, v46
	s_and_saveexec_b64 s[0:1], vcc
	s_cbranch_execz .LBB128_90
; %bb.89:
	s_waitcnt lgkmcnt(9)
	global_store_dwordx2 v[44:45], v[10:11], off offset:1024
.LBB128_90:
	;; [unrolled: 9-line block ×7, first 2 shown]
	s_or_b64 exec, exec, s[0:1]
	v_or_b32_e32 v46, 0x200, v0
	v_cmp_gt_u32_e32 vcc, s24, v46
	s_and_saveexec_b64 s[0:1], vcc
	s_cbranch_execz .LBB128_102
; %bb.101:
	v_add_co_u32_e32 v46, vcc, 0x1000, v44
	v_addc_co_u32_e32 v47, vcc, 0, v45, vcc
	s_waitcnt lgkmcnt(6)
	global_store_dwordx2 v[46:47], v[18:19], off
.LBB128_102:
	s_or_b64 exec, exec, s[0:1]
	v_or_b32_e32 v46, 0x240, v0
	v_cmp_gt_u32_e32 vcc, s24, v46
	s_and_saveexec_b64 s[0:1], vcc
	s_cbranch_execz .LBB128_104
; %bb.103:
	v_add_co_u32_e32 v46, vcc, 0x1000, v44
	v_addc_co_u32_e32 v47, vcc, 0, v45, vcc
	s_waitcnt lgkmcnt(6)
	global_store_dwordx2 v[46:47], v[20:21], off offset:512
.LBB128_104:
	s_or_b64 exec, exec, s[0:1]
	v_or_b32_e32 v46, 0x280, v0
	v_cmp_gt_u32_e32 vcc, s24, v46
	s_and_saveexec_b64 s[0:1], vcc
	s_cbranch_execz .LBB128_106
; %bb.105:
	v_add_co_u32_e32 v46, vcc, 0x1000, v44
	v_addc_co_u32_e32 v47, vcc, 0, v45, vcc
	s_waitcnt lgkmcnt(5)
	global_store_dwordx2 v[46:47], v[2:3], off offset:1024
.LBB128_106:
	s_or_b64 exec, exec, s[0:1]
	v_or_b32_e32 v46, 0x2c0, v0
	v_cmp_gt_u32_e32 vcc, s24, v46
	s_and_saveexec_b64 s[0:1], vcc
	s_cbranch_execz .LBB128_108
; %bb.107:
	v_add_co_u32_e32 v46, vcc, 0x1000, v44
	v_addc_co_u32_e32 v47, vcc, 0, v45, vcc
	s_waitcnt lgkmcnt(5)
	global_store_dwordx2 v[46:47], v[4:5], off offset:1536
.LBB128_108:
	s_or_b64 exec, exec, s[0:1]
	v_or_b32_e32 v46, 0x300, v0
	v_cmp_gt_u32_e32 vcc, s24, v46
	s_and_saveexec_b64 s[0:1], vcc
	s_cbranch_execz .LBB128_110
; %bb.109:
	v_add_co_u32_e32 v46, vcc, 0x1000, v44
	v_addc_co_u32_e32 v47, vcc, 0, v45, vcc
	s_waitcnt lgkmcnt(4)
	global_store_dwordx2 v[46:47], v[22:23], off offset:2048
.LBB128_110:
	s_or_b64 exec, exec, s[0:1]
	v_or_b32_e32 v46, 0x340, v0
	v_cmp_gt_u32_e32 vcc, s24, v46
	s_and_saveexec_b64 s[0:1], vcc
	s_cbranch_execz .LBB128_112
; %bb.111:
	v_add_co_u32_e32 v46, vcc, 0x1000, v44
	v_addc_co_u32_e32 v47, vcc, 0, v45, vcc
	s_waitcnt lgkmcnt(4)
	global_store_dwordx2 v[46:47], v[24:25], off offset:2560
.LBB128_112:
	s_or_b64 exec, exec, s[0:1]
	v_or_b32_e32 v46, 0x380, v0
	v_cmp_gt_u32_e32 vcc, s24, v46
	s_and_saveexec_b64 s[0:1], vcc
	s_cbranch_execz .LBB128_114
; %bb.113:
	v_add_co_u32_e32 v46, vcc, 0x1000, v44
	v_addc_co_u32_e32 v47, vcc, 0, v45, vcc
	s_waitcnt lgkmcnt(3)
	global_store_dwordx2 v[46:47], v[30:31], off offset:3072
.LBB128_114:
	s_or_b64 exec, exec, s[0:1]
	v_or_b32_e32 v46, 0x3c0, v0
	v_cmp_gt_u32_e32 vcc, s24, v46
	s_and_saveexec_b64 s[0:1], vcc
	s_cbranch_execz .LBB128_116
; %bb.115:
	v_add_co_u32_e32 v46, vcc, 0x1000, v44
	v_addc_co_u32_e32 v47, vcc, 0, v45, vcc
	s_waitcnt lgkmcnt(3)
	global_store_dwordx2 v[46:47], v[32:33], off offset:3584
.LBB128_116:
	s_or_b64 exec, exec, s[0:1]
	v_or_b32_e32 v46, 0x400, v0
	v_cmp_gt_u32_e32 vcc, s24, v46
	s_and_saveexec_b64 s[0:1], vcc
	s_cbranch_execz .LBB128_118
; %bb.117:
	v_add_co_u32_e32 v46, vcc, 0x2000, v44
	v_addc_co_u32_e32 v47, vcc, 0, v45, vcc
	s_waitcnt lgkmcnt(2)
	global_store_dwordx2 v[46:47], v[38:39], off
.LBB128_118:
	s_or_b64 exec, exec, s[0:1]
	v_or_b32_e32 v46, 0x440, v0
	v_cmp_gt_u32_e32 vcc, s24, v46
	s_and_saveexec_b64 s[0:1], vcc
	s_cbranch_execz .LBB128_120
; %bb.119:
	v_add_co_u32_e32 v46, vcc, 0x2000, v44
	v_addc_co_u32_e32 v47, vcc, 0, v45, vcc
	s_waitcnt lgkmcnt(2)
	global_store_dwordx2 v[46:47], v[40:41], off offset:512
.LBB128_120:
	s_or_b64 exec, exec, s[0:1]
	v_or_b32_e32 v46, 0x480, v0
	v_cmp_gt_u32_e32 vcc, s24, v46
	s_and_saveexec_b64 s[0:1], vcc
	s_cbranch_execz .LBB128_122
; %bb.121:
	v_add_co_u32_e32 v46, vcc, 0x2000, v44
	v_addc_co_u32_e32 v47, vcc, 0, v45, vcc
	s_waitcnt lgkmcnt(1)
	global_store_dwordx2 v[46:47], v[34:35], off offset:1024
.LBB128_122:
	;; [unrolled: 11-line block ×4, first 2 shown]
	s_or_b64 exec, exec, s[0:1]
	s_load_dword s0, s[4:5], 0x50
	s_waitcnt lgkmcnt(0)
	s_bfe_u32 s0, s0, 0x10008
	s_cmp_eq_u32 s0, 0
	s_cbranch_scc1 .LBB128_204
; %bb.127:
	s_add_u32 s0, s24, -1
	s_addc_u32 s1, s25, -1
	s_add_u32 s2, 0, 0x30c26c00
	s_addc_u32 s3, 0, 44
	s_add_i32 s3, s3, 0xc30c2e0
	s_mul_hi_u32 s7, s2, 0xffffffeb
	s_sub_i32 s7, s7, s2
	s_mul_i32 s8, s3, 0xffffffeb
	s_mul_i32 s4, s2, 0xffffffeb
	s_add_i32 s7, s7, s8
	s_mul_hi_u32 s5, s3, s4
	s_mul_i32 s6, s3, s4
	s_mul_i32 s9, s2, s7
	s_mul_hi_u32 s4, s2, s4
	s_mul_hi_u32 s8, s2, s7
	s_add_u32 s4, s4, s9
	s_addc_u32 s8, 0, s8
	s_add_u32 s4, s4, s6
	s_mul_hi_u32 s9, s3, s7
	s_addc_u32 s4, s8, s5
	s_addc_u32 s5, s9, 0
	s_mul_i32 s6, s3, s7
	s_add_u32 s4, s4, s6
	v_mov_b32_e32 v44, s4
	s_addc_u32 s5, 0, s5
	v_add_co_u32_e32 v44, vcc, s2, v44
	s_cmp_lg_u64 vcc, 0
	s_addc_u32 s2, s3, s5
	v_readfirstlane_b32 s5, v44
	s_mul_i32 s4, s0, s2
	s_mul_hi_u32 s6, s0, s5
	s_mul_hi_u32 s3, s0, s2
	s_add_u32 s4, s6, s4
	s_addc_u32 s3, 0, s3
	s_mul_hi_u32 s7, s1, s5
	s_mul_i32 s5, s1, s5
	s_add_u32 s4, s4, s5
	s_mul_hi_u32 s6, s1, s2
	s_addc_u32 s3, s3, s7
	s_addc_u32 s4, s6, 0
	s_mul_i32 s2, s1, s2
	s_add_u32 s2, s3, s2
	s_addc_u32 s3, 0, s4
	s_add_u32 s4, s2, 1
	s_addc_u32 s5, s3, 0
	s_add_u32 s6, s2, 2
	s_mul_i32 s8, s3, 21
	s_mul_hi_u32 s9, s2, 21
	s_addc_u32 s7, s3, 0
	s_add_i32 s9, s9, s8
	s_mul_i32 s8, s2, 21
	v_mov_b32_e32 v44, s8
	v_sub_co_u32_e32 v44, vcc, s0, v44
	s_cmp_lg_u64 vcc, 0
	s_subb_u32 s8, s1, s9
	v_subrev_co_u32_e32 v45, vcc, 21, v44
	s_cmp_lg_u64 vcc, 0
	s_subb_u32 s9, s8, 0
	v_readfirstlane_b32 s12, v45
	s_cmp_gt_u32 s12, 20
	s_cselect_b32 s12, -1, 0
	s_cmp_eq_u32 s9, 0
	s_cselect_b32 s9, s12, -1
	s_cmp_lg_u32 s9, 0
	s_cselect_b32 s4, s6, s4
	v_readfirstlane_b32 s6, v44
	s_cselect_b32 s5, s7, s5
	s_cmp_gt_u32 s6, 20
	s_cselect_b32 s6, -1, 0
	s_cmp_eq_u32 s8, 0
	s_cselect_b32 s6, s6, -1
	s_cmp_lg_u32 s6, 0
	s_cselect_b32 s3, s5, s3
	s_cselect_b32 s2, s4, s2
	v_cmp_eq_u64_e32 vcc, s[2:3], v[0:1]
	s_and_saveexec_b64 s[2:3], vcc
	s_cbranch_execz .LBB128_204
; %bb.128:
	v_mul_hi_u32_u24_e32 v1, 21, v0
	v_mov_b32_e32 v44, s1
	v_sub_co_u32_e32 v0, vcc, s0, v59
	v_subb_co_u32_e32 v1, vcc, v44, v1, vcc
	v_cmp_lt_i64_e32 vcc, 10, v[0:1]
	s_and_saveexec_b64 s[0:1], vcc
	s_xor_b64 s[0:1], exec, s[0:1]
	s_cbranch_execz .LBB128_166
; %bb.129:
	v_cmp_lt_i64_e32 vcc, 15, v[0:1]
	s_and_saveexec_b64 s[2:3], vcc
	s_xor_b64 s[2:3], exec, s[2:3]
	s_cbranch_execz .LBB128_147
; %bb.130:
	;; [unrolled: 5-line block ×5, first 2 shown]
	v_mov_b32_e32 v0, 0
	global_store_dwordx2 v0, v[42:43], s[10:11]
                                        ; implicit-def: $vgpr34_vgpr35_vgpr36_vgpr37
.LBB128_134:
	s_andn2_saveexec_b64 s[8:9], s[8:9]
	s_cbranch_execz .LBB128_136
; %bb.135:
	v_mov_b32_e32 v0, 0
	global_store_dwordx2 v0, v[36:37], s[10:11]
.LBB128_136:
	s_or_b64 exec, exec, s[8:9]
                                        ; implicit-def: $vgpr34_vgpr35_vgpr36_vgpr37
.LBB128_137:
	s_andn2_saveexec_b64 s[6:7], s[6:7]
	s_cbranch_execz .LBB128_139
; %bb.138:
	v_mov_b32_e32 v0, 0
	global_store_dwordx2 v0, v[34:35], s[10:11]
.LBB128_139:
	s_or_b64 exec, exec, s[6:7]
                                        ; implicit-def: $vgpr38_vgpr39_vgpr40_vgpr41
                                        ; implicit-def: $vgpr0_vgpr1
.LBB128_140:
	s_andn2_saveexec_b64 s[4:5], s[4:5]
	s_cbranch_execz .LBB128_146
; %bb.141:
	v_cmp_lt_i64_e32 vcc, 16, v[0:1]
	s_and_saveexec_b64 s[6:7], vcc
	s_xor_b64 s[6:7], exec, s[6:7]
	s_cbranch_execz .LBB128_143
; %bb.142:
	v_mov_b32_e32 v0, 0
	global_store_dwordx2 v0, v[40:41], s[10:11]
                                        ; implicit-def: $vgpr38_vgpr39_vgpr40_vgpr41
.LBB128_143:
	s_andn2_saveexec_b64 s[6:7], s[6:7]
	s_cbranch_execz .LBB128_145
; %bb.144:
	v_mov_b32_e32 v0, 0
	global_store_dwordx2 v0, v[38:39], s[10:11]
.LBB128_145:
	s_or_b64 exec, exec, s[6:7]
.LBB128_146:
	s_or_b64 exec, exec, s[4:5]
                                        ; implicit-def: $vgpr0_vgpr1
                                        ; implicit-def: $vgpr2_vgpr3_vgpr4_vgpr5
                                        ; implicit-def: $vgpr22_vgpr23_vgpr24_vgpr25
                                        ; implicit-def: $vgpr30_vgpr31_vgpr32_vgpr33
.LBB128_147:
	s_andn2_saveexec_b64 s[2:3], s[2:3]
	s_cbranch_execz .LBB128_165
; %bb.148:
	v_cmp_lt_i64_e32 vcc, 12, v[0:1]
	s_and_saveexec_b64 s[4:5], vcc
	s_xor_b64 s[4:5], exec, s[4:5]
	s_cbranch_execz .LBB128_158
; %bb.149:
	v_cmp_lt_i64_e32 vcc, 13, v[0:1]
	s_and_saveexec_b64 s[6:7], vcc
	s_xor_b64 s[6:7], exec, s[6:7]
	;; [unrolled: 5-line block ×3, first 2 shown]
	s_cbranch_execz .LBB128_152
; %bb.151:
	v_mov_b32_e32 v0, 0
	global_store_dwordx2 v0, v[32:33], s[10:11]
                                        ; implicit-def: $vgpr30_vgpr31_vgpr32_vgpr33
.LBB128_152:
	s_andn2_saveexec_b64 s[8:9], s[8:9]
	s_cbranch_execz .LBB128_154
; %bb.153:
	v_mov_b32_e32 v0, 0
	global_store_dwordx2 v0, v[30:31], s[10:11]
.LBB128_154:
	s_or_b64 exec, exec, s[8:9]
                                        ; implicit-def: $vgpr22_vgpr23_vgpr24_vgpr25
.LBB128_155:
	s_andn2_saveexec_b64 s[6:7], s[6:7]
	s_cbranch_execz .LBB128_157
; %bb.156:
	v_mov_b32_e32 v0, 0
	global_store_dwordx2 v0, v[24:25], s[10:11]
.LBB128_157:
	s_or_b64 exec, exec, s[6:7]
                                        ; implicit-def: $vgpr2_vgpr3_vgpr4_vgpr5
                                        ; implicit-def: $vgpr0_vgpr1
                                        ; implicit-def: $vgpr22_vgpr23_vgpr24_vgpr25
.LBB128_158:
	s_andn2_saveexec_b64 s[4:5], s[4:5]
	s_cbranch_execz .LBB128_164
; %bb.159:
	v_cmp_lt_i64_e32 vcc, 11, v[0:1]
	s_and_saveexec_b64 s[6:7], vcc
	s_xor_b64 s[6:7], exec, s[6:7]
	s_cbranch_execz .LBB128_161
; %bb.160:
	v_mov_b32_e32 v0, 0
	global_store_dwordx2 v0, v[22:23], s[10:11]
                                        ; implicit-def: $vgpr2_vgpr3_vgpr4_vgpr5
.LBB128_161:
	s_andn2_saveexec_b64 s[6:7], s[6:7]
	s_cbranch_execz .LBB128_163
; %bb.162:
	v_mov_b32_e32 v0, 0
	global_store_dwordx2 v0, v[4:5], s[10:11]
.LBB128_163:
	s_or_b64 exec, exec, s[6:7]
.LBB128_164:
	s_or_b64 exec, exec, s[4:5]
.LBB128_165:
	s_or_b64 exec, exec, s[2:3]
                                        ; implicit-def: $vgpr0_vgpr1
                                        ; implicit-def: $vgpr26_vgpr27_vgpr28_vgpr29
                                        ; implicit-def: $vgpr10_vgpr11_vgpr12_vgpr13
                                        ; implicit-def: $vgpr6_vgpr7_vgpr8_vgpr9
                                        ; implicit-def: $vgpr18_vgpr19_vgpr20_vgpr21
                                        ; implicit-def: $vgpr14_vgpr15_vgpr16_vgpr17
                                        ; implicit-def: $vgpr2_vgpr3_vgpr4_vgpr5
.LBB128_166:
	s_andn2_saveexec_b64 s[0:1], s[0:1]
	s_cbranch_execz .LBB128_204
; %bb.167:
	v_cmp_lt_i64_e32 vcc, 5, v[0:1]
	s_and_saveexec_b64 s[0:1], vcc
	s_xor_b64 s[0:1], exec, s[0:1]
	s_cbranch_execz .LBB128_185
; %bb.168:
	v_cmp_lt_i64_e32 vcc, 7, v[0:1]
	s_and_saveexec_b64 s[2:3], vcc
	s_xor_b64 s[2:3], exec, s[2:3]
	;; [unrolled: 5-line block ×4, first 2 shown]
	s_cbranch_execz .LBB128_172
; %bb.171:
	v_mov_b32_e32 v0, 0
	global_store_dwordx2 v0, v[2:3], s[10:11]
                                        ; implicit-def: $vgpr18_vgpr19_vgpr20_vgpr21
.LBB128_172:
	s_andn2_saveexec_b64 s[6:7], s[6:7]
	s_cbranch_execz .LBB128_174
; %bb.173:
	v_mov_b32_e32 v0, 0
	global_store_dwordx2 v0, v[20:21], s[10:11]
.LBB128_174:
	s_or_b64 exec, exec, s[6:7]
                                        ; implicit-def: $vgpr18_vgpr19_vgpr20_vgpr21
.LBB128_175:
	s_andn2_saveexec_b64 s[4:5], s[4:5]
	s_cbranch_execz .LBB128_177
; %bb.176:
	v_mov_b32_e32 v0, 0
	global_store_dwordx2 v0, v[18:19], s[10:11]
.LBB128_177:
	s_or_b64 exec, exec, s[4:5]
                                        ; implicit-def: $vgpr26_vgpr27_vgpr28_vgpr29
                                        ; implicit-def: $vgpr0_vgpr1
.LBB128_178:
	s_andn2_saveexec_b64 s[2:3], s[2:3]
	s_cbranch_execz .LBB128_184
; %bb.179:
	v_cmp_lt_i64_e32 vcc, 6, v[0:1]
	s_and_saveexec_b64 s[4:5], vcc
	s_xor_b64 s[4:5], exec, s[4:5]
	s_cbranch_execz .LBB128_181
; %bb.180:
	v_mov_b32_e32 v0, 0
	global_store_dwordx2 v0, v[28:29], s[10:11]
                                        ; implicit-def: $vgpr26_vgpr27_vgpr28_vgpr29
.LBB128_181:
	s_andn2_saveexec_b64 s[4:5], s[4:5]
	s_cbranch_execz .LBB128_183
; %bb.182:
	v_mov_b32_e32 v0, 0
	global_store_dwordx2 v0, v[26:27], s[10:11]
.LBB128_183:
	s_or_b64 exec, exec, s[4:5]
.LBB128_184:
	s_or_b64 exec, exec, s[2:3]
                                        ; implicit-def: $vgpr0_vgpr1
                                        ; implicit-def: $vgpr10_vgpr11_vgpr12_vgpr13
                                        ; implicit-def: $vgpr6_vgpr7_vgpr8_vgpr9
                                        ; implicit-def: $vgpr14_vgpr15_vgpr16_vgpr17
.LBB128_185:
	s_andn2_saveexec_b64 s[0:1], s[0:1]
	s_cbranch_execz .LBB128_204
; %bb.186:
	v_cmp_lt_i64_e32 vcc, 2, v[0:1]
	s_and_saveexec_b64 s[0:1], vcc
	s_xor_b64 s[0:1], exec, s[0:1]
	s_cbranch_execz .LBB128_196
; %bb.187:
	v_cmp_lt_i64_e32 vcc, 3, v[0:1]
	s_and_saveexec_b64 s[2:3], vcc
	s_xor_b64 s[2:3], exec, s[2:3]
	;; [unrolled: 5-line block ×3, first 2 shown]
	s_cbranch_execz .LBB128_190
; %bb.189:
	v_mov_b32_e32 v0, 0
	global_store_dwordx2 v0, v[16:17], s[10:11]
                                        ; implicit-def: $vgpr14_vgpr15_vgpr16_vgpr17
.LBB128_190:
	s_andn2_saveexec_b64 s[4:5], s[4:5]
	s_cbranch_execz .LBB128_192
; %bb.191:
	v_mov_b32_e32 v0, 0
	global_store_dwordx2 v0, v[14:15], s[10:11]
.LBB128_192:
	s_or_b64 exec, exec, s[4:5]
                                        ; implicit-def: $vgpr10_vgpr11_vgpr12_vgpr13
.LBB128_193:
	s_andn2_saveexec_b64 s[2:3], s[2:3]
	s_cbranch_execz .LBB128_195
; %bb.194:
	v_mov_b32_e32 v0, 0
	global_store_dwordx2 v0, v[12:13], s[10:11]
.LBB128_195:
	s_or_b64 exec, exec, s[2:3]
                                        ; implicit-def: $vgpr0_vgpr1
                                        ; implicit-def: $vgpr10_vgpr11_vgpr12_vgpr13
                                        ; implicit-def: $vgpr6_vgpr7_vgpr8_vgpr9
.LBB128_196:
	s_andn2_saveexec_b64 s[0:1], s[0:1]
	s_cbranch_execz .LBB128_204
; %bb.197:
	v_cmp_lt_i64_e32 vcc, 1, v[0:1]
	s_and_saveexec_b64 s[0:1], vcc
	s_xor_b64 s[0:1], exec, s[0:1]
	s_cbranch_execz .LBB128_199
; %bb.198:
	v_mov_b32_e32 v0, 0
	global_store_dwordx2 v0, v[10:11], s[10:11]
                                        ; implicit-def: $vgpr6_vgpr7_vgpr8_vgpr9
                                        ; implicit-def: $vgpr0_vgpr1
.LBB128_199:
	s_andn2_saveexec_b64 s[0:1], s[0:1]
	s_cbranch_execz .LBB128_204
; %bb.200:
	v_cmp_ne_u64_e32 vcc, 1, v[0:1]
	s_and_saveexec_b64 s[0:1], vcc
	s_xor_b64 s[0:1], exec, s[0:1]
	s_cbranch_execz .LBB128_202
; %bb.201:
	v_mov_b32_e32 v0, 0
	global_store_dwordx2 v0, v[6:7], s[10:11]
                                        ; implicit-def: $vgpr6_vgpr7_vgpr8_vgpr9
.LBB128_202:
	s_andn2_saveexec_b64 s[0:1], s[0:1]
	s_cbranch_execz .LBB128_204
; %bb.203:
	v_mov_b32_e32 v0, 0
	global_store_dwordx2 v0, v[8:9], s[10:11]
.LBB128_204:
	s_endpgm
	.section	.rodata,"a",@progbits
	.p2align	6, 0x0
	.amdhsa_kernel _ZN7rocprim6detail20lookback_scan_kernelILNS0_25lookback_scan_determinismE0ELb1ENS0_19wrapped_scan_configINS_14default_configElEEN6hipcub22TransformInputIteratorIiNS6_6CastOpIiEEPilEEPlNS6_3SumENS_12future_valueIlSC_EElNS0_19lookback_scan_stateIlLb0ELb1EEEEEvT2_T3_mT5_T4_T7_jPT6_SO_bb
		.amdhsa_group_segment_fixed_size 10752
		.amdhsa_private_segment_fixed_size 0
		.amdhsa_kernarg_size 84
		.amdhsa_user_sgpr_count 6
		.amdhsa_user_sgpr_private_segment_buffer 1
		.amdhsa_user_sgpr_dispatch_ptr 0
		.amdhsa_user_sgpr_queue_ptr 0
		.amdhsa_user_sgpr_kernarg_segment_ptr 1
		.amdhsa_user_sgpr_dispatch_id 0
		.amdhsa_user_sgpr_flat_scratch_init 0
		.amdhsa_user_sgpr_kernarg_preload_length 0
		.amdhsa_user_sgpr_kernarg_preload_offset 0
		.amdhsa_user_sgpr_private_segment_size 0
		.amdhsa_uses_dynamic_stack 0
		.amdhsa_system_sgpr_private_segment_wavefront_offset 0
		.amdhsa_system_sgpr_workgroup_id_x 1
		.amdhsa_system_sgpr_workgroup_id_y 0
		.amdhsa_system_sgpr_workgroup_id_z 0
		.amdhsa_system_sgpr_workgroup_info 0
		.amdhsa_system_vgpr_workitem_id 0
		.amdhsa_next_free_vgpr 89
		.amdhsa_next_free_sgpr 28
		.amdhsa_accum_offset 92
		.amdhsa_reserve_vcc 1
		.amdhsa_reserve_flat_scratch 0
		.amdhsa_float_round_mode_32 0
		.amdhsa_float_round_mode_16_64 0
		.amdhsa_float_denorm_mode_32 3
		.amdhsa_float_denorm_mode_16_64 3
		.amdhsa_dx10_clamp 1
		.amdhsa_ieee_mode 1
		.amdhsa_fp16_overflow 0
		.amdhsa_tg_split 0
		.amdhsa_exception_fp_ieee_invalid_op 0
		.amdhsa_exception_fp_denorm_src 0
		.amdhsa_exception_fp_ieee_div_zero 0
		.amdhsa_exception_fp_ieee_overflow 0
		.amdhsa_exception_fp_ieee_underflow 0
		.amdhsa_exception_fp_ieee_inexact 0
		.amdhsa_exception_int_div_zero 0
	.end_amdhsa_kernel
	.section	.text._ZN7rocprim6detail20lookback_scan_kernelILNS0_25lookback_scan_determinismE0ELb1ENS0_19wrapped_scan_configINS_14default_configElEEN6hipcub22TransformInputIteratorIiNS6_6CastOpIiEEPilEEPlNS6_3SumENS_12future_valueIlSC_EElNS0_19lookback_scan_stateIlLb0ELb1EEEEEvT2_T3_mT5_T4_T7_jPT6_SO_bb,"axG",@progbits,_ZN7rocprim6detail20lookback_scan_kernelILNS0_25lookback_scan_determinismE0ELb1ENS0_19wrapped_scan_configINS_14default_configElEEN6hipcub22TransformInputIteratorIiNS6_6CastOpIiEEPilEEPlNS6_3SumENS_12future_valueIlSC_EElNS0_19lookback_scan_stateIlLb0ELb1EEEEEvT2_T3_mT5_T4_T7_jPT6_SO_bb,comdat
.Lfunc_end128:
	.size	_ZN7rocprim6detail20lookback_scan_kernelILNS0_25lookback_scan_determinismE0ELb1ENS0_19wrapped_scan_configINS_14default_configElEEN6hipcub22TransformInputIteratorIiNS6_6CastOpIiEEPilEEPlNS6_3SumENS_12future_valueIlSC_EElNS0_19lookback_scan_stateIlLb0ELb1EEEEEvT2_T3_mT5_T4_T7_jPT6_SO_bb, .Lfunc_end128-_ZN7rocprim6detail20lookback_scan_kernelILNS0_25lookback_scan_determinismE0ELb1ENS0_19wrapped_scan_configINS_14default_configElEEN6hipcub22TransformInputIteratorIiNS6_6CastOpIiEEPilEEPlNS6_3SumENS_12future_valueIlSC_EElNS0_19lookback_scan_stateIlLb0ELb1EEEEEvT2_T3_mT5_T4_T7_jPT6_SO_bb
                                        ; -- End function
	.section	.AMDGPU.csdata,"",@progbits
; Kernel info:
; codeLenInByte = 7632
; NumSgprs: 32
; NumVgprs: 89
; NumAgprs: 0
; TotalNumVgprs: 89
; ScratchSize: 0
; MemoryBound: 0
; FloatMode: 240
; IeeeMode: 1
; LDSByteSize: 10752 bytes/workgroup (compile time only)
; SGPRBlocks: 3
; VGPRBlocks: 11
; NumSGPRsForWavesPerEU: 32
; NumVGPRsForWavesPerEU: 89
; AccumOffset: 92
; Occupancy: 2
; WaveLimiterHint : 1
; COMPUTE_PGM_RSRC2:SCRATCH_EN: 0
; COMPUTE_PGM_RSRC2:USER_SGPR: 6
; COMPUTE_PGM_RSRC2:TRAP_HANDLER: 0
; COMPUTE_PGM_RSRC2:TGID_X_EN: 1
; COMPUTE_PGM_RSRC2:TGID_Y_EN: 0
; COMPUTE_PGM_RSRC2:TGID_Z_EN: 0
; COMPUTE_PGM_RSRC2:TIDIG_COMP_CNT: 0
; COMPUTE_PGM_RSRC3_GFX90A:ACCUM_OFFSET: 22
; COMPUTE_PGM_RSRC3_GFX90A:TG_SPLIT: 0
	.section	.text._ZN7rocprim6detail16transform_kernelINS0_24wrapped_transform_configINS_14default_configElEElPlS5_NS_8identityIlEEEEvT1_mT2_T3_,"axG",@progbits,_ZN7rocprim6detail16transform_kernelINS0_24wrapped_transform_configINS_14default_configElEElPlS5_NS_8identityIlEEEEvT1_mT2_T3_,comdat
	.protected	_ZN7rocprim6detail16transform_kernelINS0_24wrapped_transform_configINS_14default_configElEElPlS5_NS_8identityIlEEEEvT1_mT2_T3_ ; -- Begin function _ZN7rocprim6detail16transform_kernelINS0_24wrapped_transform_configINS_14default_configElEElPlS5_NS_8identityIlEEEEvT1_mT2_T3_
	.globl	_ZN7rocprim6detail16transform_kernelINS0_24wrapped_transform_configINS_14default_configElEElPlS5_NS_8identityIlEEEEvT1_mT2_T3_
	.p2align	8
	.type	_ZN7rocprim6detail16transform_kernelINS0_24wrapped_transform_configINS_14default_configElEElPlS5_NS_8identityIlEEEEvT1_mT2_T3_,@function
_ZN7rocprim6detail16transform_kernelINS0_24wrapped_transform_configINS_14default_configElEElPlS5_NS_8identityIlEEEEvT1_mT2_T3_: ; @_ZN7rocprim6detail16transform_kernelINS0_24wrapped_transform_configINS_14default_configElEElPlS5_NS_8identityIlEEEEvT1_mT2_T3_
; %bb.0:
	s_load_dword s7, s[4:5], 0x20
	s_load_dwordx4 s[0:3], s[4:5], 0x0
	s_load_dwordx2 s[8:9], s[4:5], 0x10
	s_lshl_b32 s10, s6, 9
	s_mov_b32 s11, 0
	s_waitcnt lgkmcnt(0)
	s_add_i32 s7, s7, -1
	s_lshl_b64 s[4:5], s[10:11], 3
	s_add_u32 s0, s0, s4
	s_addc_u32 s1, s1, s5
	v_lshlrev_b32_e32 v1, 3, v0
	v_mov_b32_e32 v2, s1
	v_add_co_u32_e32 v6, vcc, s0, v1
	s_cmp_lg_u32 s6, s7
	v_addc_co_u32_e32 v7, vcc, 0, v2, vcc
	s_cbranch_scc0 .LBB129_2
; %bb.1:
	global_load_dwordx2 v[2:3], v[6:7], off
	global_load_dwordx2 v[4:5], v[6:7], off offset:2048
	s_add_u32 s6, s8, s4
	s_addc_u32 s7, s9, s5
	s_waitcnt vmcnt(1)
	global_store_dwordx2 v1, v[2:3], s[6:7]
	s_mov_b64 s[6:7], -1
	s_cbranch_execz .LBB129_3
	s_branch .LBB129_10
.LBB129_2:
	s_mov_b64 s[6:7], 0
                                        ; implicit-def: $vgpr4_vgpr5
.LBB129_3:
	s_sub_i32 s2, s2, s10
	v_cmp_gt_u32_e32 vcc, s2, v0
                                        ; implicit-def: $vgpr2_vgpr3_vgpr4_vgpr5
	s_and_saveexec_b64 s[0:1], vcc
	s_cbranch_execz .LBB129_5
; %bb.4:
	global_load_dwordx2 v[2:3], v[6:7], off
.LBB129_5:
	s_or_b64 exec, exec, s[0:1]
	v_or_b32_e32 v0, 0x100, v0
	v_cmp_gt_u32_e64 s[0:1], s2, v0
	s_and_saveexec_b64 s[2:3], s[0:1]
	s_cbranch_execnz .LBB129_13
; %bb.6:
	s_or_b64 exec, exec, s[2:3]
	s_and_saveexec_b64 s[2:3], vcc
	s_cbranch_execnz .LBB129_14
.LBB129_7:
	s_or_b64 exec, exec, s[2:3]
	s_and_saveexec_b64 s[2:3], s[0:1]
.LBB129_8:
	s_or_b64 s[6:7], s[6:7], exec
.LBB129_9:
	s_or_b64 exec, exec, s[2:3]
.LBB129_10:
	s_and_saveexec_b64 s[0:1], s[6:7]
	s_cbranch_execnz .LBB129_12
; %bb.11:
	s_endpgm
.LBB129_12:
	s_add_u32 s0, s8, s4
	s_addc_u32 s1, s9, s5
	s_waitcnt vmcnt(0)
	global_store_dwordx2 v1, v[4:5], s[0:1] offset:2048
	s_endpgm
.LBB129_13:
	global_load_dwordx2 v[4:5], v[6:7], off offset:2048
	s_or_b64 exec, exec, s[2:3]
	s_and_saveexec_b64 s[2:3], vcc
	s_cbranch_execz .LBB129_7
.LBB129_14:
	s_add_u32 s10, s8, s4
	s_addc_u32 s11, s9, s5
	s_waitcnt vmcnt(0)
	global_store_dwordx2 v1, v[2:3], s[10:11]
	s_or_b64 exec, exec, s[2:3]
	s_and_saveexec_b64 s[2:3], s[0:1]
	s_cbranch_execnz .LBB129_8
	s_branch .LBB129_9
	.section	.rodata,"a",@progbits
	.p2align	6, 0x0
	.amdhsa_kernel _ZN7rocprim6detail16transform_kernelINS0_24wrapped_transform_configINS_14default_configElEElPlS5_NS_8identityIlEEEEvT1_mT2_T3_
		.amdhsa_group_segment_fixed_size 0
		.amdhsa_private_segment_fixed_size 0
		.amdhsa_kernarg_size 288
		.amdhsa_user_sgpr_count 6
		.amdhsa_user_sgpr_private_segment_buffer 1
		.amdhsa_user_sgpr_dispatch_ptr 0
		.amdhsa_user_sgpr_queue_ptr 0
		.amdhsa_user_sgpr_kernarg_segment_ptr 1
		.amdhsa_user_sgpr_dispatch_id 0
		.amdhsa_user_sgpr_flat_scratch_init 0
		.amdhsa_user_sgpr_kernarg_preload_length 0
		.amdhsa_user_sgpr_kernarg_preload_offset 0
		.amdhsa_user_sgpr_private_segment_size 0
		.amdhsa_uses_dynamic_stack 0
		.amdhsa_system_sgpr_private_segment_wavefront_offset 0
		.amdhsa_system_sgpr_workgroup_id_x 1
		.amdhsa_system_sgpr_workgroup_id_y 0
		.amdhsa_system_sgpr_workgroup_id_z 0
		.amdhsa_system_sgpr_workgroup_info 0
		.amdhsa_system_vgpr_workitem_id 0
		.amdhsa_next_free_vgpr 8
		.amdhsa_next_free_sgpr 12
		.amdhsa_accum_offset 8
		.amdhsa_reserve_vcc 1
		.amdhsa_reserve_flat_scratch 0
		.amdhsa_float_round_mode_32 0
		.amdhsa_float_round_mode_16_64 0
		.amdhsa_float_denorm_mode_32 3
		.amdhsa_float_denorm_mode_16_64 3
		.amdhsa_dx10_clamp 1
		.amdhsa_ieee_mode 1
		.amdhsa_fp16_overflow 0
		.amdhsa_tg_split 0
		.amdhsa_exception_fp_ieee_invalid_op 0
		.amdhsa_exception_fp_denorm_src 0
		.amdhsa_exception_fp_ieee_div_zero 0
		.amdhsa_exception_fp_ieee_overflow 0
		.amdhsa_exception_fp_ieee_underflow 0
		.amdhsa_exception_fp_ieee_inexact 0
		.amdhsa_exception_int_div_zero 0
	.end_amdhsa_kernel
	.section	.text._ZN7rocprim6detail16transform_kernelINS0_24wrapped_transform_configINS_14default_configElEElPlS5_NS_8identityIlEEEEvT1_mT2_T3_,"axG",@progbits,_ZN7rocprim6detail16transform_kernelINS0_24wrapped_transform_configINS_14default_configElEElPlS5_NS_8identityIlEEEEvT1_mT2_T3_,comdat
.Lfunc_end129:
	.size	_ZN7rocprim6detail16transform_kernelINS0_24wrapped_transform_configINS_14default_configElEElPlS5_NS_8identityIlEEEEvT1_mT2_T3_, .Lfunc_end129-_ZN7rocprim6detail16transform_kernelINS0_24wrapped_transform_configINS_14default_configElEElPlS5_NS_8identityIlEEEEvT1_mT2_T3_
                                        ; -- End function
	.section	.AMDGPU.csdata,"",@progbits
; Kernel info:
; codeLenInByte = 300
; NumSgprs: 16
; NumVgprs: 8
; NumAgprs: 0
; TotalNumVgprs: 8
; ScratchSize: 0
; MemoryBound: 1
; FloatMode: 240
; IeeeMode: 1
; LDSByteSize: 0 bytes/workgroup (compile time only)
; SGPRBlocks: 1
; VGPRBlocks: 0
; NumSGPRsForWavesPerEU: 16
; NumVGPRsForWavesPerEU: 8
; AccumOffset: 8
; Occupancy: 8
; WaveLimiterHint : 1
; COMPUTE_PGM_RSRC2:SCRATCH_EN: 0
; COMPUTE_PGM_RSRC2:USER_SGPR: 6
; COMPUTE_PGM_RSRC2:TRAP_HANDLER: 0
; COMPUTE_PGM_RSRC2:TGID_X_EN: 1
; COMPUTE_PGM_RSRC2:TGID_Y_EN: 0
; COMPUTE_PGM_RSRC2:TGID_Z_EN: 0
; COMPUTE_PGM_RSRC2:TIDIG_COMP_CNT: 0
; COMPUTE_PGM_RSRC3_GFX90A:ACCUM_OFFSET: 1
; COMPUTE_PGM_RSRC3_GFX90A:TG_SPLIT: 0
	.section	.text._ZN7rocprim6detail18single_scan_kernelILb1ENS0_19wrapped_scan_configINS_14default_configElEEN6hipcub22TransformInputIteratorIiNS5_6CastOpIiEEPilEEPlNS5_3SumENS_12future_valueIlSB_EElEEvT1_mT4_T2_T3_,"axG",@progbits,_ZN7rocprim6detail18single_scan_kernelILb1ENS0_19wrapped_scan_configINS_14default_configElEEN6hipcub22TransformInputIteratorIiNS5_6CastOpIiEEPilEEPlNS5_3SumENS_12future_valueIlSB_EElEEvT1_mT4_T2_T3_,comdat
	.protected	_ZN7rocprim6detail18single_scan_kernelILb1ENS0_19wrapped_scan_configINS_14default_configElEEN6hipcub22TransformInputIteratorIiNS5_6CastOpIiEEPilEEPlNS5_3SumENS_12future_valueIlSB_EElEEvT1_mT4_T2_T3_ ; -- Begin function _ZN7rocprim6detail18single_scan_kernelILb1ENS0_19wrapped_scan_configINS_14default_configElEEN6hipcub22TransformInputIteratorIiNS5_6CastOpIiEEPilEEPlNS5_3SumENS_12future_valueIlSB_EElEEvT1_mT4_T2_T3_
	.globl	_ZN7rocprim6detail18single_scan_kernelILb1ENS0_19wrapped_scan_configINS_14default_configElEEN6hipcub22TransformInputIteratorIiNS5_6CastOpIiEEPilEEPlNS5_3SumENS_12future_valueIlSB_EElEEvT1_mT4_T2_T3_
	.p2align	8
	.type	_ZN7rocprim6detail18single_scan_kernelILb1ENS0_19wrapped_scan_configINS_14default_configElEEN6hipcub22TransformInputIteratorIiNS5_6CastOpIiEEPilEEPlNS5_3SumENS_12future_valueIlSB_EElEEvT1_mT4_T2_T3_,@function
_ZN7rocprim6detail18single_scan_kernelILb1ENS0_19wrapped_scan_configINS_14default_configElEEN6hipcub22TransformInputIteratorIiNS5_6CastOpIiEEPilEEPlNS5_3SumENS_12future_valueIlSB_EElEEvT1_mT4_T2_T3_: ; @_ZN7rocprim6detail18single_scan_kernelILb1ENS0_19wrapped_scan_configINS_14default_configElEEN6hipcub22TransformInputIteratorIiNS5_6CastOpIiEEPilEEPlNS5_3SumENS_12future_valueIlSB_EElEEvT1_mT4_T2_T3_
; %bb.0:
	s_load_dwordx2 s[0:1], s[4:5], 0x0
	s_load_dwordx4 s[48:51], s[4:5], 0x10
	v_lshlrev_b32_e32 v1, 2, v0
	s_waitcnt lgkmcnt(0)
	s_load_dword s46, s[0:1], 0x0
	v_mov_b32_e32 v2, s1
	v_add_co_u32_e32 v4, vcc, s0, v1
	v_addc_co_u32_e32 v5, vcc, 0, v2, vcc
	s_waitcnt lgkmcnt(0)
	s_ashr_i32 s47, s46, 31
	v_cmp_gt_u32_e64 s[0:1], s48, v0
	v_pk_mov_b32 v[2:3], s[46:47], s[46:47] op_sel:[0,1]
	s_and_saveexec_b64 s[2:3], s[0:1]
	s_cbranch_execz .LBB130_2
; %bb.1:
	global_load_dword v2, v[4:5], off
	s_waitcnt vmcnt(0)
	v_ashrrev_i32_e32 v3, 31, v2
.LBB130_2:
	s_or_b64 exec, exec, s[2:3]
	v_or_b32_e32 v1, 64, v0
	v_cmp_gt_u32_e64 s[2:3], s48, v1
	v_pk_mov_b32 v[6:7], s[46:47], s[46:47] op_sel:[0,1]
	s_and_saveexec_b64 s[6:7], s[2:3]
	s_cbranch_execz .LBB130_4
; %bb.3:
	global_load_dword v6, v[4:5], off offset:256
	s_waitcnt vmcnt(0)
	v_ashrrev_i32_e32 v7, 31, v6
.LBB130_4:
	s_or_b64 exec, exec, s[6:7]
	v_or_b32_e32 v1, 0x80, v0
	v_cmp_gt_u32_e64 s[44:45], s48, v1
	v_pk_mov_b32 v[8:9], s[46:47], s[46:47] op_sel:[0,1]
	s_and_saveexec_b64 s[6:7], s[44:45]
	s_cbranch_execz .LBB130_6
; %bb.5:
	global_load_dword v8, v[4:5], off offset:512
	s_waitcnt vmcnt(0)
	v_ashrrev_i32_e32 v9, 31, v8
.LBB130_6:
	;; [unrolled: 11-line block ×15, first 2 shown]
	s_or_b64 exec, exec, s[34:35]
	v_or_b32_e32 v1, 0x400, v0
	v_cmp_gt_u32_e64 s[34:35], s48, v1
	v_pk_mov_b32 v[36:37], s[46:47], s[46:47] op_sel:[0,1]
	s_and_saveexec_b64 s[36:37], s[34:35]
	s_cbranch_execz .LBB130_34
; %bb.33:
	v_add_co_u32_e32 v36, vcc, 0x1000, v4
	v_addc_co_u32_e32 v37, vcc, 0, v5, vcc
	global_load_dword v36, v[36:37], off
	s_waitcnt vmcnt(0)
	v_ashrrev_i32_e32 v37, 31, v36
.LBB130_34:
	s_or_b64 exec, exec, s[36:37]
	v_or_b32_e32 v1, 0x440, v0
	v_cmp_gt_u32_e64 s[36:37], s48, v1
	v_pk_mov_b32 v[38:39], s[46:47], s[46:47] op_sel:[0,1]
	s_and_saveexec_b64 s[38:39], s[36:37]
	s_cbranch_execz .LBB130_36
; %bb.35:
	v_add_co_u32_e32 v38, vcc, 0x1000, v4
	v_addc_co_u32_e32 v39, vcc, 0, v5, vcc
	global_load_dword v38, v[38:39], off offset:256
	s_waitcnt vmcnt(0)
	v_ashrrev_i32_e32 v39, 31, v38
.LBB130_36:
	s_or_b64 exec, exec, s[38:39]
	v_or_b32_e32 v1, 0x480, v0
	v_cmp_gt_u32_e64 s[38:39], s48, v1
	v_pk_mov_b32 v[40:41], s[46:47], s[46:47] op_sel:[0,1]
	s_and_saveexec_b64 s[40:41], s[38:39]
	s_cbranch_execz .LBB130_38
; %bb.37:
	v_add_co_u32_e32 v40, vcc, 0x1000, v4
	v_addc_co_u32_e32 v41, vcc, 0, v5, vcc
	global_load_dword v40, v[40:41], off offset:512
	s_waitcnt vmcnt(0)
	v_ashrrev_i32_e32 v41, 31, v40
.LBB130_38:
	;; [unrolled: 13-line block ×3, first 2 shown]
	s_or_b64 exec, exec, s[42:43]
	s_load_dwordx2 s[52:53], s[4:5], 0x20
	v_or_b32_e32 v1, 0x500, v0
	v_cmp_gt_u32_e64 s[42:43], s48, v1
	v_pk_mov_b32 v[44:45], s[46:47], s[46:47] op_sel:[0,1]
	s_and_saveexec_b64 s[4:5], s[42:43]
	s_cbranch_execz .LBB130_42
; %bb.41:
	v_add_co_u32_e32 v4, vcc, 0x1000, v4
	v_addc_co_u32_e32 v5, vcc, 0, v5, vcc
	global_load_dword v44, v[4:5], off offset:1024
	s_waitcnt vmcnt(0)
	v_ashrrev_i32_e32 v45, 31, v44
.LBB130_42:
	s_or_b64 exec, exec, s[4:5]
	v_lshlrev_b32_e32 v46, 3, v0
	s_movk_i32 s4, 0xa0
	v_mad_u32_u24 v1, v0, s4, v46
	s_load_dwordx2 s[48:49], s[50:51], 0x0
	ds_write2st64_b64 v46, v[2:3], v[6:7] offset1:1
	ds_write2st64_b64 v46, v[8:9], v[10:11] offset0:2 offset1:3
	ds_write2st64_b64 v46, v[12:13], v[14:15] offset0:4 offset1:5
	;; [unrolled: 1-line block ×9, first 2 shown]
	ds_write_b64 v46, v[44:45] offset:10240
	s_waitcnt lgkmcnt(0)
	; wave barrier
	s_waitcnt lgkmcnt(0)
	ds_read2_b64 v[2:5], v1 offset1:1
	ds_read2_b64 v[6:9], v1 offset0:2 offset1:3
	ds_read2_b64 v[10:13], v1 offset0:4 offset1:5
	;; [unrolled: 1-line block ×9, first 2 shown]
	ds_read_b64 v[42:43], v1 offset:160
	s_waitcnt lgkmcnt(10)
	v_add_co_u32_e32 v1, vcc, v4, v2
	v_addc_co_u32_e32 v44, vcc, v5, v3, vcc
	s_waitcnt lgkmcnt(9)
	v_add_co_u32_e32 v1, vcc, v1, v6
	v_addc_co_u32_e32 v44, vcc, v44, v7, vcc
	v_add_co_u32_e32 v1, vcc, v1, v8
	v_addc_co_u32_e32 v44, vcc, v44, v9, vcc
	s_waitcnt lgkmcnt(8)
	v_add_co_u32_e32 v1, vcc, v1, v10
	v_addc_co_u32_e32 v44, vcc, v44, v11, vcc
	;; [unrolled: 5-line block ×10, first 2 shown]
	s_nop 0
	v_mov_b32_dpp v44, v42 row_shr:1 row_mask:0xf bank_mask:0xf
	v_add_co_u32_e32 v44, vcc, v42, v44
	v_mbcnt_lo_u32_b32 v1, -1, 0
	v_addc_co_u32_e32 v48, vcc, 0, v43, vcc
	v_mbcnt_hi_u32_b32 v45, -1, v1
	v_mov_b32_dpp v47, v43 row_shr:1 row_mask:0xf bank_mask:0xf
	v_add_co_u32_e32 v49, vcc, 0, v44
	v_and_b32_e32 v1, 15, v45
	v_addc_co_u32_e32 v47, vcc, v47, v48, vcc
	v_cmp_eq_u32_e32 vcc, 0, v1
	v_cndmask_b32_e32 v44, v44, v42, vcc
	v_cndmask_b32_e32 v47, v47, v43, vcc
	v_cndmask_b32_e32 v48, v49, v42, vcc
	v_mov_b32_dpp v49, v44 row_shr:2 row_mask:0xf bank_mask:0xf
	v_mov_b32_dpp v50, v47 row_shr:2 row_mask:0xf bank_mask:0xf
	v_add_co_u32_e32 v49, vcc, v49, v48
	v_addc_co_u32_e32 v50, vcc, v50, v47, vcc
	v_cmp_lt_u32_e32 vcc, 1, v1
	v_cndmask_b32_e32 v44, v44, v49, vcc
	v_cndmask_b32_e32 v47, v47, v50, vcc
	v_cndmask_b32_e32 v48, v48, v49, vcc
	v_mov_b32_dpp v49, v44 row_shr:4 row_mask:0xf bank_mask:0xf
	v_mov_b32_dpp v50, v47 row_shr:4 row_mask:0xf bank_mask:0xf
	v_add_co_u32_e32 v49, vcc, v49, v48
	v_addc_co_u32_e32 v50, vcc, v50, v47, vcc
	v_cmp_lt_u32_e32 vcc, 3, v1
	v_cndmask_b32_e32 v44, v44, v49, vcc
	v_cndmask_b32_e32 v47, v47, v50, vcc
	v_cndmask_b32_e32 v48, v48, v49, vcc
	v_mov_b32_dpp v49, v44 row_shr:8 row_mask:0xf bank_mask:0xf
	v_mov_b32_dpp v50, v47 row_shr:8 row_mask:0xf bank_mask:0xf
	v_add_co_u32_e32 v49, vcc, v49, v48
	v_addc_co_u32_e32 v50, vcc, v50, v47, vcc
	v_cmp_lt_u32_e32 vcc, 7, v1
	v_cndmask_b32_e32 v51, v44, v49, vcc
	v_cndmask_b32_e32 v1, v47, v50, vcc
	;; [unrolled: 1-line block ×3, first 2 shown]
	v_mov_b32_dpp v47, v51 row_bcast:15 row_mask:0xf bank_mask:0xf
	v_mov_b32_dpp v48, v1 row_bcast:15 row_mask:0xf bank_mask:0xf
	v_and_b32_e32 v50, 16, v45
	v_add_co_u32_e32 v47, vcc, v47, v44
	v_addc_co_u32_e32 v49, vcc, v48, v1, vcc
	v_cmp_eq_u32_e64 s[4:5], 0, v50
	v_cndmask_b32_e64 v50, v49, v1, s[4:5]
	v_cndmask_b32_e64 v48, v47, v51, s[4:5]
	v_cmp_eq_u32_e32 vcc, 0, v45
	v_mov_b32_dpp v50, v50 row_bcast:31 row_mask:0xf bank_mask:0xf
	v_mov_b32_dpp v48, v48 row_bcast:31 row_mask:0xf bank_mask:0xf
	v_cmp_ne_u32_e64 s[46:47], 0, v45
	s_waitcnt lgkmcnt(0)
	; wave barrier
	s_and_saveexec_b64 s[50:51], s[46:47]
; %bb.43:
	v_cndmask_b32_e64 v1, v49, v1, s[4:5]
	v_cndmask_b32_e64 v42, v47, v44, s[4:5]
	v_cmp_lt_u32_e64 s[4:5], 31, v45
	v_cndmask_b32_e64 v44, 0, v48, s[4:5]
	v_cndmask_b32_e64 v43, 0, v50, s[4:5]
	v_add_co_u32_e64 v42, s[4:5], v44, v42
	v_addc_co_u32_e64 v43, s[4:5], v43, v1, s[4:5]
; %bb.44:
	s_or_b64 exec, exec, s[50:51]
	v_mul_u32_u24_e32 v1, 0xa0, v0
	v_cmp_eq_u32_e64 s[4:5], 63, v0
	s_and_saveexec_b64 s[46:47], s[4:5]
	s_cbranch_execz .LBB130_46
; %bb.45:
	v_mov_b32_e32 v44, 0
	ds_write_b64 v44, v[42:43]
.LBB130_46:
	s_or_b64 exec, exec, s[46:47]
	v_mov_b32_e32 v44, s49
	v_add_co_u32_e64 v42, s[4:5], s48, v42
	v_addc_co_u32_e64 v43, s[4:5], v43, v44, s[4:5]
	v_add_u32_e32 v44, -1, v45
	v_and_b32_e32 v47, 64, v45
	v_cmp_lt_i32_e64 s[4:5], v44, v47
	v_cndmask_b32_e64 v44, v44, v45, s[4:5]
	v_lshlrev_b32_e32 v44, 2, v44
	ds_bpermute_b32 v43, v44, v43
	ds_bpermute_b32 v42, v44, v42
	v_cmp_eq_u32_e64 s[4:5], 0, v0
	v_mov_b32_e32 v0, s49
	s_or_b64 vcc, s[4:5], vcc
	s_waitcnt lgkmcnt(1)
	v_cndmask_b32_e32 v43, v43, v0, vcc
	v_mov_b32_e32 v0, s48
	s_waitcnt lgkmcnt(0)
	v_cndmask_b32_e32 v42, v42, v0, vcc
	v_add_co_u32_e32 v2, vcc, v42, v2
	v_addc_co_u32_e32 v3, vcc, v43, v3, vcc
	v_add_co_u32_e32 v4, vcc, v2, v4
	v_addc_co_u32_e32 v5, vcc, v3, v5, vcc
	;; [unrolled: 2-line block ×19, first 2 shown]
	v_add_co_u32_e32 v40, vcc, v38, v40
	v_add_u32_e32 v0, v46, v1
	s_waitcnt lgkmcnt(0)
	; wave barrier
	v_addc_co_u32_e32 v41, vcc, v39, v41, vcc
	s_waitcnt lgkmcnt(0)
	; wave barrier
	ds_write2_b64 v0, v[42:43], v[2:3] offset1:1
	ds_write2_b64 v0, v[4:5], v[6:7] offset0:2 offset1:3
	ds_write2_b64 v0, v[8:9], v[10:11] offset0:4 offset1:5
	;; [unrolled: 1-line block ×9, first 2 shown]
	ds_write_b64 v0, v[40:41] offset:160
	s_waitcnt lgkmcnt(0)
	; wave barrier
	s_waitcnt lgkmcnt(0)
	ds_read2st64_b64 v[36:39], v46 offset0:1 offset1:2
	ds_read2st64_b64 v[32:35], v46 offset0:3 offset1:4
	;; [unrolled: 1-line block ×10, first 2 shown]
	v_mov_b32_e32 v41, s53
	v_add_co_u32_e32 v40, vcc, s52, v46
	v_addc_co_u32_e32 v41, vcc, 0, v41, vcc
	s_and_saveexec_b64 s[4:5], s[0:1]
	s_cbranch_execnz .LBB130_68
; %bb.47:
	s_or_b64 exec, exec, s[4:5]
	s_and_saveexec_b64 s[0:1], s[2:3]
	s_cbranch_execnz .LBB130_69
.LBB130_48:
	s_or_b64 exec, exec, s[0:1]
	s_and_saveexec_b64 s[0:1], s[44:45]
	s_cbranch_execnz .LBB130_70
.LBB130_49:
	s_or_b64 exec, exec, s[0:1]
	s_and_saveexec_b64 s[0:1], s[6:7]
	s_cbranch_execnz .LBB130_71
.LBB130_50:
	s_or_b64 exec, exec, s[0:1]
	s_and_saveexec_b64 s[0:1], s[8:9]
	s_cbranch_execnz .LBB130_72
.LBB130_51:
	s_or_b64 exec, exec, s[0:1]
	s_and_saveexec_b64 s[0:1], s[10:11]
	s_cbranch_execnz .LBB130_73
.LBB130_52:
	s_or_b64 exec, exec, s[0:1]
	s_and_saveexec_b64 s[0:1], s[12:13]
	s_cbranch_execnz .LBB130_74
.LBB130_53:
	s_or_b64 exec, exec, s[0:1]
	s_and_saveexec_b64 s[0:1], s[14:15]
	s_cbranch_execnz .LBB130_75
.LBB130_54:
	s_or_b64 exec, exec, s[0:1]
	s_and_saveexec_b64 s[0:1], s[16:17]
	s_cbranch_execnz .LBB130_76
.LBB130_55:
	s_or_b64 exec, exec, s[0:1]
	s_and_saveexec_b64 s[0:1], s[18:19]
	s_cbranch_execnz .LBB130_77
.LBB130_56:
	s_or_b64 exec, exec, s[0:1]
	s_and_saveexec_b64 s[0:1], s[20:21]
	s_cbranch_execnz .LBB130_78
.LBB130_57:
	s_or_b64 exec, exec, s[0:1]
	s_and_saveexec_b64 s[0:1], s[22:23]
	s_cbranch_execnz .LBB130_79
.LBB130_58:
	s_or_b64 exec, exec, s[0:1]
	s_and_saveexec_b64 s[0:1], s[24:25]
	s_cbranch_execnz .LBB130_80
.LBB130_59:
	s_or_b64 exec, exec, s[0:1]
	s_and_saveexec_b64 s[0:1], s[26:27]
	s_cbranch_execnz .LBB130_81
.LBB130_60:
	s_or_b64 exec, exec, s[0:1]
	s_and_saveexec_b64 s[0:1], s[28:29]
	s_cbranch_execnz .LBB130_82
.LBB130_61:
	s_or_b64 exec, exec, s[0:1]
	s_and_saveexec_b64 s[0:1], s[30:31]
	s_cbranch_execnz .LBB130_83
.LBB130_62:
	s_or_b64 exec, exec, s[0:1]
	s_and_saveexec_b64 s[0:1], s[34:35]
	s_cbranch_execnz .LBB130_84
.LBB130_63:
	s_or_b64 exec, exec, s[0:1]
	s_and_saveexec_b64 s[0:1], s[36:37]
	s_cbranch_execnz .LBB130_85
.LBB130_64:
	s_or_b64 exec, exec, s[0:1]
	s_and_saveexec_b64 s[0:1], s[38:39]
	s_cbranch_execnz .LBB130_86
.LBB130_65:
	s_or_b64 exec, exec, s[0:1]
	s_and_saveexec_b64 s[0:1], s[40:41]
	s_cbranch_execnz .LBB130_87
.LBB130_66:
	s_or_b64 exec, exec, s[0:1]
	s_and_saveexec_b64 s[0:1], s[42:43]
	s_cbranch_execnz .LBB130_88
.LBB130_67:
	s_endpgm
.LBB130_68:
	ds_read_b64 v[42:43], v46
	s_waitcnt lgkmcnt(0)
	global_store_dwordx2 v[40:41], v[42:43], off
	s_or_b64 exec, exec, s[4:5]
	s_and_saveexec_b64 s[0:1], s[2:3]
	s_cbranch_execz .LBB130_48
.LBB130_69:
	s_waitcnt lgkmcnt(9)
	global_store_dwordx2 v[40:41], v[36:37], off offset:512
	s_or_b64 exec, exec, s[0:1]
	s_and_saveexec_b64 s[0:1], s[44:45]
	s_cbranch_execz .LBB130_49
.LBB130_70:
	s_waitcnt lgkmcnt(9)
	global_store_dwordx2 v[40:41], v[38:39], off offset:1024
	s_or_b64 exec, exec, s[0:1]
	s_and_saveexec_b64 s[0:1], s[6:7]
	s_cbranch_execz .LBB130_50
.LBB130_71:
	s_waitcnt lgkmcnt(8)
	global_store_dwordx2 v[40:41], v[32:33], off offset:1536
	s_or_b64 exec, exec, s[0:1]
	s_and_saveexec_b64 s[0:1], s[8:9]
	s_cbranch_execz .LBB130_51
.LBB130_72:
	s_waitcnt lgkmcnt(8)
	global_store_dwordx2 v[40:41], v[34:35], off offset:2048
	s_or_b64 exec, exec, s[0:1]
	s_and_saveexec_b64 s[0:1], s[10:11]
	s_cbranch_execz .LBB130_52
.LBB130_73:
	s_waitcnt lgkmcnt(7)
	global_store_dwordx2 v[40:41], v[28:29], off offset:2560
	s_or_b64 exec, exec, s[0:1]
	s_and_saveexec_b64 s[0:1], s[12:13]
	s_cbranch_execz .LBB130_53
.LBB130_74:
	s_waitcnt lgkmcnt(7)
	global_store_dwordx2 v[40:41], v[30:31], off offset:3072
	s_or_b64 exec, exec, s[0:1]
	s_and_saveexec_b64 s[0:1], s[14:15]
	s_cbranch_execz .LBB130_54
.LBB130_75:
	s_waitcnt lgkmcnt(6)
	global_store_dwordx2 v[40:41], v[24:25], off offset:3584
	s_or_b64 exec, exec, s[0:1]
	s_and_saveexec_b64 s[0:1], s[16:17]
	s_cbranch_execz .LBB130_55
.LBB130_76:
	s_waitcnt lgkmcnt(6)
	v_add_co_u32_e32 v24, vcc, 0x1000, v40
	v_addc_co_u32_e32 v25, vcc, 0, v41, vcc
	global_store_dwordx2 v[24:25], v[26:27], off
	s_or_b64 exec, exec, s[0:1]
	s_and_saveexec_b64 s[0:1], s[18:19]
	s_cbranch_execz .LBB130_56
.LBB130_77:
	s_waitcnt lgkmcnt(6)
	v_add_co_u32_e32 v24, vcc, 0x1000, v40
	v_addc_co_u32_e32 v25, vcc, 0, v41, vcc
	s_waitcnt lgkmcnt(5)
	global_store_dwordx2 v[24:25], v[20:21], off offset:512
	s_or_b64 exec, exec, s[0:1]
	s_and_saveexec_b64 s[0:1], s[20:21]
	s_cbranch_execz .LBB130_57
.LBB130_78:
	s_waitcnt lgkmcnt(5)
	v_add_co_u32_e32 v20, vcc, 0x1000, v40
	v_addc_co_u32_e32 v21, vcc, 0, v41, vcc
	global_store_dwordx2 v[20:21], v[22:23], off offset:1024
	s_or_b64 exec, exec, s[0:1]
	s_and_saveexec_b64 s[0:1], s[22:23]
	s_cbranch_execz .LBB130_58
.LBB130_79:
	s_waitcnt lgkmcnt(5)
	v_add_co_u32_e32 v20, vcc, 0x1000, v40
	v_addc_co_u32_e32 v21, vcc, 0, v41, vcc
	s_waitcnt lgkmcnt(4)
	global_store_dwordx2 v[20:21], v[16:17], off offset:1536
	s_or_b64 exec, exec, s[0:1]
	s_and_saveexec_b64 s[0:1], s[24:25]
	s_cbranch_execz .LBB130_59
.LBB130_80:
	s_waitcnt lgkmcnt(4)
	v_add_co_u32_e32 v16, vcc, 0x1000, v40
	v_addc_co_u32_e32 v17, vcc, 0, v41, vcc
	global_store_dwordx2 v[16:17], v[18:19], off offset:2048
	s_or_b64 exec, exec, s[0:1]
	s_and_saveexec_b64 s[0:1], s[26:27]
	s_cbranch_execz .LBB130_60
.LBB130_81:
	s_waitcnt lgkmcnt(4)
	v_add_co_u32_e32 v16, vcc, 0x1000, v40
	v_addc_co_u32_e32 v17, vcc, 0, v41, vcc
	s_waitcnt lgkmcnt(3)
	global_store_dwordx2 v[16:17], v[12:13], off offset:2560
	s_or_b64 exec, exec, s[0:1]
	s_and_saveexec_b64 s[0:1], s[28:29]
	s_cbranch_execz .LBB130_61
.LBB130_82:
	s_waitcnt lgkmcnt(3)
	v_add_co_u32_e32 v12, vcc, 0x1000, v40
	v_addc_co_u32_e32 v13, vcc, 0, v41, vcc
	global_store_dwordx2 v[12:13], v[14:15], off offset:3072
	s_or_b64 exec, exec, s[0:1]
	s_and_saveexec_b64 s[0:1], s[30:31]
	s_cbranch_execz .LBB130_62
.LBB130_83:
	s_waitcnt lgkmcnt(3)
	v_add_co_u32_e32 v12, vcc, 0x1000, v40
	v_addc_co_u32_e32 v13, vcc, 0, v41, vcc
	s_waitcnt lgkmcnt(2)
	global_store_dwordx2 v[12:13], v[8:9], off offset:3584
	s_or_b64 exec, exec, s[0:1]
	s_and_saveexec_b64 s[0:1], s[34:35]
	s_cbranch_execz .LBB130_63
.LBB130_84:
	s_waitcnt lgkmcnt(2)
	v_add_co_u32_e32 v8, vcc, 0x2000, v40
	v_addc_co_u32_e32 v9, vcc, 0, v41, vcc
	global_store_dwordx2 v[8:9], v[10:11], off
	s_or_b64 exec, exec, s[0:1]
	s_and_saveexec_b64 s[0:1], s[36:37]
	s_cbranch_execz .LBB130_64
.LBB130_85:
	s_waitcnt lgkmcnt(2)
	v_add_co_u32_e32 v8, vcc, 0x2000, v40
	v_addc_co_u32_e32 v9, vcc, 0, v41, vcc
	s_waitcnt lgkmcnt(1)
	global_store_dwordx2 v[8:9], v[4:5], off offset:512
	s_or_b64 exec, exec, s[0:1]
	s_and_saveexec_b64 s[0:1], s[38:39]
	s_cbranch_execz .LBB130_65
.LBB130_86:
	s_waitcnt lgkmcnt(1)
	v_add_co_u32_e32 v4, vcc, 0x2000, v40
	v_addc_co_u32_e32 v5, vcc, 0, v41, vcc
	global_store_dwordx2 v[4:5], v[6:7], off offset:1024
	s_or_b64 exec, exec, s[0:1]
	s_and_saveexec_b64 s[0:1], s[40:41]
	s_cbranch_execz .LBB130_66
.LBB130_87:
	s_waitcnt lgkmcnt(1)
	v_add_co_u32_e32 v4, vcc, 0x2000, v40
	v_addc_co_u32_e32 v5, vcc, 0, v41, vcc
	s_waitcnt lgkmcnt(0)
	global_store_dwordx2 v[4:5], v[0:1], off offset:1536
	s_or_b64 exec, exec, s[0:1]
	s_and_saveexec_b64 s[0:1], s[42:43]
	s_cbranch_execz .LBB130_67
.LBB130_88:
	s_waitcnt lgkmcnt(0)
	v_add_co_u32_e32 v0, vcc, 0x2000, v40
	v_addc_co_u32_e32 v1, vcc, 0, v41, vcc
	global_store_dwordx2 v[0:1], v[2:3], off offset:2048
	s_endpgm
	.section	.rodata,"a",@progbits
	.p2align	6, 0x0
	.amdhsa_kernel _ZN7rocprim6detail18single_scan_kernelILb1ENS0_19wrapped_scan_configINS_14default_configElEEN6hipcub22TransformInputIteratorIiNS5_6CastOpIiEEPilEEPlNS5_3SumENS_12future_valueIlSB_EElEEvT1_mT4_T2_T3_
		.amdhsa_group_segment_fixed_size 10752
		.amdhsa_private_segment_fixed_size 0
		.amdhsa_kernarg_size 44
		.amdhsa_user_sgpr_count 6
		.amdhsa_user_sgpr_private_segment_buffer 1
		.amdhsa_user_sgpr_dispatch_ptr 0
		.amdhsa_user_sgpr_queue_ptr 0
		.amdhsa_user_sgpr_kernarg_segment_ptr 1
		.amdhsa_user_sgpr_dispatch_id 0
		.amdhsa_user_sgpr_flat_scratch_init 0
		.amdhsa_user_sgpr_kernarg_preload_length 0
		.amdhsa_user_sgpr_kernarg_preload_offset 0
		.amdhsa_user_sgpr_private_segment_size 0
		.amdhsa_uses_dynamic_stack 0
		.amdhsa_system_sgpr_private_segment_wavefront_offset 0
		.amdhsa_system_sgpr_workgroup_id_x 1
		.amdhsa_system_sgpr_workgroup_id_y 0
		.amdhsa_system_sgpr_workgroup_id_z 0
		.amdhsa_system_sgpr_workgroup_info 0
		.amdhsa_system_vgpr_workitem_id 0
		.amdhsa_next_free_vgpr 52
		.amdhsa_next_free_sgpr 54
		.amdhsa_accum_offset 52
		.amdhsa_reserve_vcc 1
		.amdhsa_reserve_flat_scratch 0
		.amdhsa_float_round_mode_32 0
		.amdhsa_float_round_mode_16_64 0
		.amdhsa_float_denorm_mode_32 3
		.amdhsa_float_denorm_mode_16_64 3
		.amdhsa_dx10_clamp 1
		.amdhsa_ieee_mode 1
		.amdhsa_fp16_overflow 0
		.amdhsa_tg_split 0
		.amdhsa_exception_fp_ieee_invalid_op 0
		.amdhsa_exception_fp_denorm_src 0
		.amdhsa_exception_fp_ieee_div_zero 0
		.amdhsa_exception_fp_ieee_overflow 0
		.amdhsa_exception_fp_ieee_underflow 0
		.amdhsa_exception_fp_ieee_inexact 0
		.amdhsa_exception_int_div_zero 0
	.end_amdhsa_kernel
	.section	.text._ZN7rocprim6detail18single_scan_kernelILb1ENS0_19wrapped_scan_configINS_14default_configElEEN6hipcub22TransformInputIteratorIiNS5_6CastOpIiEEPilEEPlNS5_3SumENS_12future_valueIlSB_EElEEvT1_mT4_T2_T3_,"axG",@progbits,_ZN7rocprim6detail18single_scan_kernelILb1ENS0_19wrapped_scan_configINS_14default_configElEEN6hipcub22TransformInputIteratorIiNS5_6CastOpIiEEPilEEPlNS5_3SumENS_12future_valueIlSB_EElEEvT1_mT4_T2_T3_,comdat
.Lfunc_end130:
	.size	_ZN7rocprim6detail18single_scan_kernelILb1ENS0_19wrapped_scan_configINS_14default_configElEEN6hipcub22TransformInputIteratorIiNS5_6CastOpIiEEPilEEPlNS5_3SumENS_12future_valueIlSB_EElEEvT1_mT4_T2_T3_, .Lfunc_end130-_ZN7rocprim6detail18single_scan_kernelILb1ENS0_19wrapped_scan_configINS_14default_configElEEN6hipcub22TransformInputIteratorIiNS5_6CastOpIiEEPilEEPlNS5_3SumENS_12future_valueIlSB_EElEEvT1_mT4_T2_T3_
                                        ; -- End function
	.section	.AMDGPU.csdata,"",@progbits
; Kernel info:
; codeLenInByte = 3388
; NumSgprs: 58
; NumVgprs: 52
; NumAgprs: 0
; TotalNumVgprs: 52
; ScratchSize: 0
; MemoryBound: 0
; FloatMode: 240
; IeeeMode: 1
; LDSByteSize: 10752 bytes/workgroup (compile time only)
; SGPRBlocks: 7
; VGPRBlocks: 6
; NumSGPRsForWavesPerEU: 58
; NumVGPRsForWavesPerEU: 52
; AccumOffset: 52
; Occupancy: 2
; WaveLimiterHint : 0
; COMPUTE_PGM_RSRC2:SCRATCH_EN: 0
; COMPUTE_PGM_RSRC2:USER_SGPR: 6
; COMPUTE_PGM_RSRC2:TRAP_HANDLER: 0
; COMPUTE_PGM_RSRC2:TGID_X_EN: 1
; COMPUTE_PGM_RSRC2:TGID_Y_EN: 0
; COMPUTE_PGM_RSRC2:TGID_Z_EN: 0
; COMPUTE_PGM_RSRC2:TIDIG_COMP_CNT: 0
; COMPUTE_PGM_RSRC3_GFX90A:ACCUM_OFFSET: 12
; COMPUTE_PGM_RSRC3_GFX90A:TG_SPLIT: 0
	.section	.text._ZL18fill_initial_valueIlEvPT_S0_,"axG",@progbits,_ZL18fill_initial_valueIlEvPT_S0_,comdat
	.globl	_ZL18fill_initial_valueIlEvPT_S0_ ; -- Begin function _ZL18fill_initial_valueIlEvPT_S0_
	.p2align	8
	.type	_ZL18fill_initial_valueIlEvPT_S0_,@function
_ZL18fill_initial_valueIlEvPT_S0_:      ; @_ZL18fill_initial_valueIlEvPT_S0_
; %bb.0:
	s_load_dwordx4 s[0:3], s[4:5], 0x0
	v_mov_b32_e32 v2, 0
	s_waitcnt lgkmcnt(0)
	v_mov_b32_e32 v0, s2
	v_mov_b32_e32 v1, s3
	global_store_dwordx2 v2, v[0:1], s[0:1]
	s_endpgm
	.section	.rodata,"a",@progbits
	.p2align	6, 0x0
	.amdhsa_kernel _ZL18fill_initial_valueIlEvPT_S0_
		.amdhsa_group_segment_fixed_size 0
		.amdhsa_private_segment_fixed_size 0
		.amdhsa_kernarg_size 16
		.amdhsa_user_sgpr_count 6
		.amdhsa_user_sgpr_private_segment_buffer 1
		.amdhsa_user_sgpr_dispatch_ptr 0
		.amdhsa_user_sgpr_queue_ptr 0
		.amdhsa_user_sgpr_kernarg_segment_ptr 1
		.amdhsa_user_sgpr_dispatch_id 0
		.amdhsa_user_sgpr_flat_scratch_init 0
		.amdhsa_user_sgpr_kernarg_preload_length 0
		.amdhsa_user_sgpr_kernarg_preload_offset 0
		.amdhsa_user_sgpr_private_segment_size 0
		.amdhsa_uses_dynamic_stack 0
		.amdhsa_system_sgpr_private_segment_wavefront_offset 0
		.amdhsa_system_sgpr_workgroup_id_x 1
		.amdhsa_system_sgpr_workgroup_id_y 0
		.amdhsa_system_sgpr_workgroup_id_z 0
		.amdhsa_system_sgpr_workgroup_info 0
		.amdhsa_system_vgpr_workitem_id 0
		.amdhsa_next_free_vgpr 3
		.amdhsa_next_free_sgpr 6
		.amdhsa_accum_offset 4
		.amdhsa_reserve_vcc 0
		.amdhsa_reserve_flat_scratch 0
		.amdhsa_float_round_mode_32 0
		.amdhsa_float_round_mode_16_64 0
		.amdhsa_float_denorm_mode_32 3
		.amdhsa_float_denorm_mode_16_64 3
		.amdhsa_dx10_clamp 1
		.amdhsa_ieee_mode 1
		.amdhsa_fp16_overflow 0
		.amdhsa_tg_split 0
		.amdhsa_exception_fp_ieee_invalid_op 0
		.amdhsa_exception_fp_denorm_src 0
		.amdhsa_exception_fp_ieee_div_zero 0
		.amdhsa_exception_fp_ieee_overflow 0
		.amdhsa_exception_fp_ieee_underflow 0
		.amdhsa_exception_fp_ieee_inexact 0
		.amdhsa_exception_int_div_zero 0
	.end_amdhsa_kernel
	.section	.text._ZL18fill_initial_valueIlEvPT_S0_,"axG",@progbits,_ZL18fill_initial_valueIlEvPT_S0_,comdat
.Lfunc_end131:
	.size	_ZL18fill_initial_valueIlEvPT_S0_, .Lfunc_end131-_ZL18fill_initial_valueIlEvPT_S0_
                                        ; -- End function
	.section	.AMDGPU.csdata,"",@progbits
; Kernel info:
; codeLenInByte = 36
; NumSgprs: 10
; NumVgprs: 3
; NumAgprs: 0
; TotalNumVgprs: 3
; ScratchSize: 0
; MemoryBound: 0
; FloatMode: 240
; IeeeMode: 1
; LDSByteSize: 0 bytes/workgroup (compile time only)
; SGPRBlocks: 1
; VGPRBlocks: 0
; NumSGPRsForWavesPerEU: 10
; NumVGPRsForWavesPerEU: 3
; AccumOffset: 4
; Occupancy: 8
; WaveLimiterHint : 0
; COMPUTE_PGM_RSRC2:SCRATCH_EN: 0
; COMPUTE_PGM_RSRC2:USER_SGPR: 6
; COMPUTE_PGM_RSRC2:TRAP_HANDLER: 0
; COMPUTE_PGM_RSRC2:TGID_X_EN: 1
; COMPUTE_PGM_RSRC2:TGID_Y_EN: 0
; COMPUTE_PGM_RSRC2:TGID_Z_EN: 0
; COMPUTE_PGM_RSRC2:TIDIG_COMP_CNT: 0
; COMPUTE_PGM_RSRC3_GFX90A:ACCUM_OFFSET: 0
; COMPUTE_PGM_RSRC3_GFX90A:TG_SPLIT: 0
	.section	.text._ZN7rocprim6detail20lookback_scan_kernelILNS0_25lookback_scan_determinismE0ELb1ENS0_19wrapped_scan_configINS_14default_configE6__halfEEN6hipcub22TransformInputIteratorIS5_NS7_6CastOpIS5_EEPS5_lEESB_NS7_3MaxENS_12future_valueIS5_SB_EES5_NS0_19lookback_scan_stateIS5_Lb1ELb1EEEEEvT2_T3_mT5_T4_T7_jPT6_SO_bb,"axG",@progbits,_ZN7rocprim6detail20lookback_scan_kernelILNS0_25lookback_scan_determinismE0ELb1ENS0_19wrapped_scan_configINS_14default_configE6__halfEEN6hipcub22TransformInputIteratorIS5_NS7_6CastOpIS5_EEPS5_lEESB_NS7_3MaxENS_12future_valueIS5_SB_EES5_NS0_19lookback_scan_stateIS5_Lb1ELb1EEEEEvT2_T3_mT5_T4_T7_jPT6_SO_bb,comdat
	.protected	_ZN7rocprim6detail20lookback_scan_kernelILNS0_25lookback_scan_determinismE0ELb1ENS0_19wrapped_scan_configINS_14default_configE6__halfEEN6hipcub22TransformInputIteratorIS5_NS7_6CastOpIS5_EEPS5_lEESB_NS7_3MaxENS_12future_valueIS5_SB_EES5_NS0_19lookback_scan_stateIS5_Lb1ELb1EEEEEvT2_T3_mT5_T4_T7_jPT6_SO_bb ; -- Begin function _ZN7rocprim6detail20lookback_scan_kernelILNS0_25lookback_scan_determinismE0ELb1ENS0_19wrapped_scan_configINS_14default_configE6__halfEEN6hipcub22TransformInputIteratorIS5_NS7_6CastOpIS5_EEPS5_lEESB_NS7_3MaxENS_12future_valueIS5_SB_EES5_NS0_19lookback_scan_stateIS5_Lb1ELb1EEEEEvT2_T3_mT5_T4_T7_jPT6_SO_bb
	.globl	_ZN7rocprim6detail20lookback_scan_kernelILNS0_25lookback_scan_determinismE0ELb1ENS0_19wrapped_scan_configINS_14default_configE6__halfEEN6hipcub22TransformInputIteratorIS5_NS7_6CastOpIS5_EEPS5_lEESB_NS7_3MaxENS_12future_valueIS5_SB_EES5_NS0_19lookback_scan_stateIS5_Lb1ELb1EEEEEvT2_T3_mT5_T4_T7_jPT6_SO_bb
	.p2align	8
	.type	_ZN7rocprim6detail20lookback_scan_kernelILNS0_25lookback_scan_determinismE0ELb1ENS0_19wrapped_scan_configINS_14default_configE6__halfEEN6hipcub22TransformInputIteratorIS5_NS7_6CastOpIS5_EEPS5_lEESB_NS7_3MaxENS_12future_valueIS5_SB_EES5_NS0_19lookback_scan_stateIS5_Lb1ELb1EEEEEvT2_T3_mT5_T4_T7_jPT6_SO_bb,@function
_ZN7rocprim6detail20lookback_scan_kernelILNS0_25lookback_scan_determinismE0ELb1ENS0_19wrapped_scan_configINS_14default_configE6__halfEEN6hipcub22TransformInputIteratorIS5_NS7_6CastOpIS5_EEPS5_lEESB_NS7_3MaxENS_12future_valueIS5_SB_EES5_NS0_19lookback_scan_stateIS5_Lb1ELb1EEEEEvT2_T3_mT5_T4_T7_jPT6_SO_bb: ; @_ZN7rocprim6detail20lookback_scan_kernelILNS0_25lookback_scan_determinismE0ELb1ENS0_19wrapped_scan_configINS_14default_configE6__halfEEN6hipcub22TransformInputIteratorIS5_NS7_6CastOpIS5_EEPS5_lEESB_NS7_3MaxENS_12future_valueIS5_SB_EES5_NS0_19lookback_scan_stateIS5_Lb1ELb1EEEEEvT2_T3_mT5_T4_T7_jPT6_SO_bb
; %bb.0:
	s_endpgm
	.section	.rodata,"a",@progbits
	.p2align	6, 0x0
	.amdhsa_kernel _ZN7rocprim6detail20lookback_scan_kernelILNS0_25lookback_scan_determinismE0ELb1ENS0_19wrapped_scan_configINS_14default_configE6__halfEEN6hipcub22TransformInputIteratorIS5_NS7_6CastOpIS5_EEPS5_lEESB_NS7_3MaxENS_12future_valueIS5_SB_EES5_NS0_19lookback_scan_stateIS5_Lb1ELb1EEEEEvT2_T3_mT5_T4_T7_jPT6_SO_bb
		.amdhsa_group_segment_fixed_size 0
		.amdhsa_private_segment_fixed_size 0
		.amdhsa_kernarg_size 84
		.amdhsa_user_sgpr_count 6
		.amdhsa_user_sgpr_private_segment_buffer 1
		.amdhsa_user_sgpr_dispatch_ptr 0
		.amdhsa_user_sgpr_queue_ptr 0
		.amdhsa_user_sgpr_kernarg_segment_ptr 1
		.amdhsa_user_sgpr_dispatch_id 0
		.amdhsa_user_sgpr_flat_scratch_init 0
		.amdhsa_user_sgpr_kernarg_preload_length 0
		.amdhsa_user_sgpr_kernarg_preload_offset 0
		.amdhsa_user_sgpr_private_segment_size 0
		.amdhsa_uses_dynamic_stack 0
		.amdhsa_system_sgpr_private_segment_wavefront_offset 0
		.amdhsa_system_sgpr_workgroup_id_x 1
		.amdhsa_system_sgpr_workgroup_id_y 0
		.amdhsa_system_sgpr_workgroup_id_z 0
		.amdhsa_system_sgpr_workgroup_info 0
		.amdhsa_system_vgpr_workitem_id 0
		.amdhsa_next_free_vgpr 1
		.amdhsa_next_free_sgpr 0
		.amdhsa_accum_offset 4
		.amdhsa_reserve_vcc 0
		.amdhsa_reserve_flat_scratch 0
		.amdhsa_float_round_mode_32 0
		.amdhsa_float_round_mode_16_64 0
		.amdhsa_float_denorm_mode_32 3
		.amdhsa_float_denorm_mode_16_64 3
		.amdhsa_dx10_clamp 1
		.amdhsa_ieee_mode 1
		.amdhsa_fp16_overflow 0
		.amdhsa_tg_split 0
		.amdhsa_exception_fp_ieee_invalid_op 0
		.amdhsa_exception_fp_denorm_src 0
		.amdhsa_exception_fp_ieee_div_zero 0
		.amdhsa_exception_fp_ieee_overflow 0
		.amdhsa_exception_fp_ieee_underflow 0
		.amdhsa_exception_fp_ieee_inexact 0
		.amdhsa_exception_int_div_zero 0
	.end_amdhsa_kernel
	.section	.text._ZN7rocprim6detail20lookback_scan_kernelILNS0_25lookback_scan_determinismE0ELb1ENS0_19wrapped_scan_configINS_14default_configE6__halfEEN6hipcub22TransformInputIteratorIS5_NS7_6CastOpIS5_EEPS5_lEESB_NS7_3MaxENS_12future_valueIS5_SB_EES5_NS0_19lookback_scan_stateIS5_Lb1ELb1EEEEEvT2_T3_mT5_T4_T7_jPT6_SO_bb,"axG",@progbits,_ZN7rocprim6detail20lookback_scan_kernelILNS0_25lookback_scan_determinismE0ELb1ENS0_19wrapped_scan_configINS_14default_configE6__halfEEN6hipcub22TransformInputIteratorIS5_NS7_6CastOpIS5_EEPS5_lEESB_NS7_3MaxENS_12future_valueIS5_SB_EES5_NS0_19lookback_scan_stateIS5_Lb1ELb1EEEEEvT2_T3_mT5_T4_T7_jPT6_SO_bb,comdat
.Lfunc_end132:
	.size	_ZN7rocprim6detail20lookback_scan_kernelILNS0_25lookback_scan_determinismE0ELb1ENS0_19wrapped_scan_configINS_14default_configE6__halfEEN6hipcub22TransformInputIteratorIS5_NS7_6CastOpIS5_EEPS5_lEESB_NS7_3MaxENS_12future_valueIS5_SB_EES5_NS0_19lookback_scan_stateIS5_Lb1ELb1EEEEEvT2_T3_mT5_T4_T7_jPT6_SO_bb, .Lfunc_end132-_ZN7rocprim6detail20lookback_scan_kernelILNS0_25lookback_scan_determinismE0ELb1ENS0_19wrapped_scan_configINS_14default_configE6__halfEEN6hipcub22TransformInputIteratorIS5_NS7_6CastOpIS5_EEPS5_lEESB_NS7_3MaxENS_12future_valueIS5_SB_EES5_NS0_19lookback_scan_stateIS5_Lb1ELb1EEEEEvT2_T3_mT5_T4_T7_jPT6_SO_bb
                                        ; -- End function
	.section	.AMDGPU.csdata,"",@progbits
; Kernel info:
; codeLenInByte = 4
; NumSgprs: 4
; NumVgprs: 0
; NumAgprs: 0
; TotalNumVgprs: 0
; ScratchSize: 0
; MemoryBound: 0
; FloatMode: 240
; IeeeMode: 1
; LDSByteSize: 0 bytes/workgroup (compile time only)
; SGPRBlocks: 0
; VGPRBlocks: 0
; NumSGPRsForWavesPerEU: 4
; NumVGPRsForWavesPerEU: 1
; AccumOffset: 4
; Occupancy: 8
; WaveLimiterHint : 0
; COMPUTE_PGM_RSRC2:SCRATCH_EN: 0
; COMPUTE_PGM_RSRC2:USER_SGPR: 6
; COMPUTE_PGM_RSRC2:TRAP_HANDLER: 0
; COMPUTE_PGM_RSRC2:TGID_X_EN: 1
; COMPUTE_PGM_RSRC2:TGID_Y_EN: 0
; COMPUTE_PGM_RSRC2:TGID_Z_EN: 0
; COMPUTE_PGM_RSRC2:TIDIG_COMP_CNT: 0
; COMPUTE_PGM_RSRC3_GFX90A:ACCUM_OFFSET: 0
; COMPUTE_PGM_RSRC3_GFX90A:TG_SPLIT: 0
	.section	.text._ZN7rocprim6detail20lookback_scan_kernelILNS0_25lookback_scan_determinismE0ELb1ENS0_19wrapped_scan_configINS_14default_configE6__halfEEN6hipcub22TransformInputIteratorIS5_NS7_6CastOpIS5_EEPS5_lEESB_NS7_3MaxENS_12future_valueIS5_SB_EES5_NS0_19lookback_scan_stateIS5_Lb0ELb1EEEEEvT2_T3_mT5_T4_T7_jPT6_SO_bb,"axG",@progbits,_ZN7rocprim6detail20lookback_scan_kernelILNS0_25lookback_scan_determinismE0ELb1ENS0_19wrapped_scan_configINS_14default_configE6__halfEEN6hipcub22TransformInputIteratorIS5_NS7_6CastOpIS5_EEPS5_lEESB_NS7_3MaxENS_12future_valueIS5_SB_EES5_NS0_19lookback_scan_stateIS5_Lb0ELb1EEEEEvT2_T3_mT5_T4_T7_jPT6_SO_bb,comdat
	.protected	_ZN7rocprim6detail20lookback_scan_kernelILNS0_25lookback_scan_determinismE0ELb1ENS0_19wrapped_scan_configINS_14default_configE6__halfEEN6hipcub22TransformInputIteratorIS5_NS7_6CastOpIS5_EEPS5_lEESB_NS7_3MaxENS_12future_valueIS5_SB_EES5_NS0_19lookback_scan_stateIS5_Lb0ELb1EEEEEvT2_T3_mT5_T4_T7_jPT6_SO_bb ; -- Begin function _ZN7rocprim6detail20lookback_scan_kernelILNS0_25lookback_scan_determinismE0ELb1ENS0_19wrapped_scan_configINS_14default_configE6__halfEEN6hipcub22TransformInputIteratorIS5_NS7_6CastOpIS5_EEPS5_lEESB_NS7_3MaxENS_12future_valueIS5_SB_EES5_NS0_19lookback_scan_stateIS5_Lb0ELb1EEEEEvT2_T3_mT5_T4_T7_jPT6_SO_bb
	.globl	_ZN7rocprim6detail20lookback_scan_kernelILNS0_25lookback_scan_determinismE0ELb1ENS0_19wrapped_scan_configINS_14default_configE6__halfEEN6hipcub22TransformInputIteratorIS5_NS7_6CastOpIS5_EEPS5_lEESB_NS7_3MaxENS_12future_valueIS5_SB_EES5_NS0_19lookback_scan_stateIS5_Lb0ELb1EEEEEvT2_T3_mT5_T4_T7_jPT6_SO_bb
	.p2align	8
	.type	_ZN7rocprim6detail20lookback_scan_kernelILNS0_25lookback_scan_determinismE0ELb1ENS0_19wrapped_scan_configINS_14default_configE6__halfEEN6hipcub22TransformInputIteratorIS5_NS7_6CastOpIS5_EEPS5_lEESB_NS7_3MaxENS_12future_valueIS5_SB_EES5_NS0_19lookback_scan_stateIS5_Lb0ELb1EEEEEvT2_T3_mT5_T4_T7_jPT6_SO_bb,@function
_ZN7rocprim6detail20lookback_scan_kernelILNS0_25lookback_scan_determinismE0ELb1ENS0_19wrapped_scan_configINS_14default_configE6__halfEEN6hipcub22TransformInputIteratorIS5_NS7_6CastOpIS5_EEPS5_lEESB_NS7_3MaxENS_12future_valueIS5_SB_EES5_NS0_19lookback_scan_stateIS5_Lb0ELb1EEEEEvT2_T3_mT5_T4_T7_jPT6_SO_bb: ; @_ZN7rocprim6detail20lookback_scan_kernelILNS0_25lookback_scan_determinismE0ELb1ENS0_19wrapped_scan_configINS_14default_configE6__halfEEN6hipcub22TransformInputIteratorIS5_NS7_6CastOpIS5_EEPS5_lEESB_NS7_3MaxENS_12future_valueIS5_SB_EES5_NS0_19lookback_scan_stateIS5_Lb0ELb1EEEEEvT2_T3_mT5_T4_T7_jPT6_SO_bb
; %bb.0:
	s_load_dwordx2 s[0:1], s[4:5], 0x20
	s_load_dword s2, s[4:5], 0x38
	v_mov_b32_e32 v1, 0
	v_lshlrev_b32_e32 v20, 1, v0
	s_waitcnt lgkmcnt(0)
	global_load_ushort v1, v1, s[0:1]
	s_load_dwordx2 s[24:25], s[4:5], 0x0
	s_load_dwordx4 s[20:23], s[4:5], 0x10
	s_add_i32 s2, s2, -1
	s_mul_i32 s3, s2, 0x600
	s_mul_i32 s0, s6, 0x600
	s_mov_b32 s1, 0
	s_waitcnt lgkmcnt(0)
	s_sub_u32 s30, s22, s3
	s_subb_u32 s31, s23, 0
	s_cmp_lg_u32 s6, s2
	s_cselect_b64 s[18:19], -1, 0
	s_lshl_b64 s[22:23], s[0:1], 1
	s_add_u32 s2, s24, s22
	s_addc_u32 s3, s25, s23
	s_mov_b64 s[0:1], -1
	s_and_b64 vcc, exec, s[18:19]
	s_cbranch_vccz .LBB133_2
; %bb.1:
	global_load_ushort v2, v20, s[2:3]
	global_load_ushort v3, v20, s[2:3] offset:128
	global_load_ushort v4, v20, s[2:3] offset:256
	;; [unrolled: 1-line block ×23, first 2 shown]
	s_mov_b64 s[0:1], 0
	s_waitcnt vmcnt(23)
	ds_write_b16 v20, v2
	s_waitcnt vmcnt(22)
	ds_write_b16 v20, v3 offset:128
	s_waitcnt vmcnt(21)
	ds_write_b16 v20, v4 offset:256
	;; [unrolled: 2-line block ×23, first 2 shown]
	s_waitcnt lgkmcnt(0)
	; wave barrier
.LBB133_2:
	s_andn2_b64 vcc, exec, s[0:1]
	v_cmp_gt_u32_e64 s[0:1], s30, v0
	s_cbranch_vccnz .LBB133_52
; %bb.3:
	v_mov_b32_e32 v2, 0
	global_load_ushort v4, v2, s[2:3]
	v_mov_b32_e32 v3, s3
	v_add_co_u32_e32 v2, vcc, s2, v20
	v_addc_co_u32_e32 v3, vcc, 0, v3, vcc
	s_waitcnt vmcnt(0)
	v_mov_b32_e32 v5, v4
	s_and_saveexec_b64 s[2:3], s[0:1]
	s_cbranch_execz .LBB133_5
; %bb.4:
	global_load_ushort v5, v[2:3], off
.LBB133_5:
	s_or_b64 exec, exec, s[2:3]
	v_or_b32_e32 v6, 64, v0
	v_cmp_gt_u32_e32 vcc, s30, v6
	v_mov_b32_e32 v6, v4
	s_and_saveexec_b64 s[0:1], vcc
	s_cbranch_execz .LBB133_7
; %bb.6:
	global_load_ushort v6, v[2:3], off offset:128
.LBB133_7:
	s_or_b64 exec, exec, s[0:1]
	v_or_b32_e32 v7, 0x80, v0
	v_cmp_gt_u32_e32 vcc, s30, v7
	v_mov_b32_e32 v7, v4
	s_and_saveexec_b64 s[0:1], vcc
	s_cbranch_execz .LBB133_9
; %bb.8:
	global_load_ushort v7, v[2:3], off offset:256
.LBB133_9:
	;; [unrolled: 9-line block ×22, first 2 shown]
	s_or_b64 exec, exec, s[0:1]
	v_or_b32_e32 v29, 0x5c0, v0
	v_cmp_gt_u32_e32 vcc, s30, v29
	s_and_saveexec_b64 s[0:1], vcc
	s_cbranch_execz .LBB133_51
; %bb.50:
	global_load_ushort v4, v[2:3], off offset:2944
.LBB133_51:
	s_or_b64 exec, exec, s[0:1]
	s_waitcnt vmcnt(0)
	ds_write_b16 v20, v5
	ds_write_b16 v20, v6 offset:128
	ds_write_b16 v20, v7 offset:256
	ds_write_b16 v20, v8 offset:384
	ds_write_b16 v20, v9 offset:512
	ds_write_b16 v20, v10 offset:640
	ds_write_b16 v20, v11 offset:768
	ds_write_b16 v20, v12 offset:896
	ds_write_b16 v20, v13 offset:1024
	ds_write_b16 v20, v14 offset:1152
	ds_write_b16 v20, v15 offset:1280
	ds_write_b16 v20, v16 offset:1408
	ds_write_b16 v20, v17 offset:1536
	ds_write_b16 v20, v18 offset:1664
	ds_write_b16 v20, v19 offset:1792
	ds_write_b16 v20, v21 offset:1920
	ds_write_b16 v20, v22 offset:2048
	ds_write_b16 v20, v23 offset:2176
	ds_write_b16 v20, v24 offset:2304
	ds_write_b16 v20, v25 offset:2432
	ds_write_b16 v20, v26 offset:2560
	ds_write_b16 v20, v27 offset:2688
	ds_write_b16 v20, v28 offset:2816
	ds_write_b16 v20, v4 offset:2944
	s_waitcnt lgkmcnt(0)
	; wave barrier
.LBB133_52:
	v_mul_u32_u24_e32 v21, 24, v0
	v_lshlrev_b32_e32 v22, 1, v21
	s_waitcnt lgkmcnt(0)
	ds_read_b128 v[10:13], v22
	ds_read_b128 v[6:9], v22 offset:16
	ds_read_b128 v[2:5], v22 offset:32
	s_load_dwordx2 s[26:27], s[4:5], 0x30
	s_cmp_lg_u32 s6, 0
	v_mbcnt_lo_u32_b32 v35, -1, 0
	s_waitcnt lgkmcnt(0)
	v_lshrrev_b32_e32 v33, 16, v10
	v_lshrrev_b32_e32 v32, 16, v11
	;; [unrolled: 1-line block ×12, first 2 shown]
	v_cmp_lt_f16_e64 s[0:1], v10, v33
	v_cmp_eq_u32_e32 vcc, 63, v0
	s_waitcnt lgkmcnt(0)
	; wave barrier
	s_cbranch_scc0 .LBB133_75
; %bb.53:
	v_cndmask_b32_e64 v14, v10, v33, s[0:1]
	v_cmp_lt_f16_e64 s[0:1], v14, v11
	v_cndmask_b32_e64 v14, v14, v11, s[0:1]
	v_cmp_lt_f16_e64 s[0:1], v14, v32
	;; [unrolled: 2-line block ×22, first 2 shown]
	v_cndmask_b32_e64 v14, v14, v34, s[0:1]
	v_mbcnt_hi_u32_b32 v15, -1, v35
	v_and_b32_e32 v17, 0xffff, v14
	v_and_b32_e32 v16, 15, v15
	v_cmp_eq_u32_e64 s[0:1], 0, v16
	v_mov_b32_dpp v17, v17 row_shr:1 row_mask:0xf bank_mask:0xf
	v_cmp_gt_f16_e64 s[2:3], v14, v17
	s_or_b64 s[0:1], s[0:1], s[2:3]
	v_cndmask_b32_e64 v14, v17, v14, s[0:1]
	v_and_b32_e32 v17, 0xffff, v14
	s_nop 1
	v_mov_b32_dpp v17, v17 row_shr:2 row_mask:0xf bank_mask:0xf
	v_cmp_gt_f16_e64 s[0:1], v14, v17
	v_cndmask_b32_e64 v17, v17, v14, s[0:1]
	v_cmp_lt_u32_e64 s[0:1], 1, v16
	v_cndmask_b32_e64 v14, v14, v17, s[0:1]
	v_and_b32_e32 v17, 0xffff, v14
	s_nop 1
	v_mov_b32_dpp v17, v17 row_shr:4 row_mask:0xf bank_mask:0xf
	v_cmp_gt_f16_e64 s[0:1], v14, v17
	v_cndmask_b32_e64 v17, v17, v14, s[0:1]
	v_cmp_lt_u32_e64 s[0:1], 3, v16
	;; [unrolled: 7-line block ×3, first 2 shown]
	v_cndmask_b32_e64 v14, v14, v17, s[0:1]
	v_and_b32_e32 v16, 0xffff, v14
	v_and_b32_e32 v17, 16, v15
	v_cmp_eq_u32_e64 s[0:1], 0, v17
	v_mov_b32_dpp v16, v16 row_bcast:15 row_mask:0xf bank_mask:0xf
	v_cmp_gt_f16_e64 s[2:3], v14, v16
	s_or_b64 s[0:1], s[0:1], s[2:3]
	v_cndmask_b32_e64 v14, v16, v14, s[0:1]
	v_and_b32_e32 v16, 0xffff, v14
	s_nop 1
	v_mov_b32_dpp v16, v16 row_bcast:31 row_mask:0xf bank_mask:0xf
	v_cmp_gt_f16_e64 s[0:1], v14, v16
	v_cndmask_b32_e64 v16, v16, v14, s[0:1]
	v_cmp_lt_u32_e64 s[0:1], 31, v15
	v_cndmask_b32_e64 v14, v14, v16, s[0:1]
	s_and_saveexec_b64 s[0:1], vcc
	s_cbranch_execz .LBB133_55
; %bb.54:
	v_mov_b32_e32 v16, 0
	ds_write_b16 v16, v14
.LBB133_55:
	s_or_b64 exec, exec, s[0:1]
	v_add_u32_e32 v16, -1, v15
	v_and_b32_e32 v17, 64, v15
	v_cmp_lt_i32_e32 vcc, v16, v17
	v_cndmask_b32_e32 v16, v16, v15, vcc
	v_and_b32_e32 v14, 0xffff, v14
	v_lshlrev_b32_e32 v16, 2, v16
	ds_bpermute_b32 v36, v16, v14
	v_cmp_gt_u32_e32 vcc, 64, v0
	s_waitcnt lgkmcnt(0)
	; wave barrier
	s_waitcnt lgkmcnt(0)
	s_and_saveexec_b64 s[28:29], vcc
	s_cbranch_execz .LBB133_74
; %bb.56:
	v_mov_b32_e32 v17, 0
	ds_read_u16 v37, v17
	s_mov_b32 s9, 0
	v_cmp_eq_u32_e64 s[0:1], 0, v15
	s_and_saveexec_b64 s[2:3], s[0:1]
	s_cbranch_execz .LBB133_58
; %bb.57:
	s_add_i32 s8, s6, 64
	s_lshl_b64 s[8:9], s[8:9], 2
	s_add_u32 s8, s26, s8
	s_mov_b32 s7, 0x10000
	s_addc_u32 s9, s27, s9
	s_waitcnt lgkmcnt(0)
	v_or_b32_sdwa v14, v37, s7 dst_sel:DWORD dst_unused:UNUSED_PAD src0_sel:WORD_0 src1_sel:DWORD
	global_store_dword v17, v14, s[8:9]
.LBB133_58:
	s_or_b64 exec, exec, s[2:3]
	v_xad_u32 v14, v15, -1, s6
	v_add_u32_e32 v16, 64, v14
	v_lshlrev_b64 v[18:19], 2, v[16:17]
	v_mov_b32_e32 v16, s27
	v_add_co_u32_e32 v18, vcc, s26, v18
	v_addc_co_u32_e32 v19, vcc, v16, v19, vcc
	global_load_dword v50, v[18:19], off glc
	s_waitcnt vmcnt(0)
	v_lshrrev_b32_e32 v39, 16, v50
	v_cmp_eq_u16_sdwa s[8:9], v39, v17 src0_sel:BYTE_0 src1_sel:DWORD
	s_and_saveexec_b64 s[2:3], s[8:9]
	s_cbranch_execz .LBB133_62
; %bb.59:
	s_mov_b64 s[8:9], 0
	v_mov_b32_e32 v16, 0
.LBB133_60:                             ; =>This Inner Loop Header: Depth=1
	global_load_dword v50, v[18:19], off glc
	s_waitcnt vmcnt(0)
	v_lshrrev_b32_e32 v39, 16, v50
	v_cmp_ne_u16_sdwa s[10:11], v39, v16 src0_sel:BYTE_0 src1_sel:DWORD
	s_or_b64 s[8:9], s[10:11], s[8:9]
	s_andn2_b64 exec, exec, s[8:9]
	s_cbranch_execnz .LBB133_60
; %bb.61:
	s_or_b64 exec, exec, s[8:9]
.LBB133_62:
	s_or_b64 exec, exec, s[2:3]
	v_and_b32_e32 v51, 63, v15
	v_cmp_ne_u32_e32 vcc, 63, v51
	v_addc_co_u32_e32 v40, vcc, 0, v15, vcc
	v_and_b32_e32 v42, 0xffff, v50
	v_lshlrev_b32_e32 v40, 2, v40
	v_mov_b32_e32 v38, 2
	ds_bpermute_b32 v43, v40, v42
	v_cmp_eq_u16_sdwa s[2:3], v39, v38 src0_sel:BYTE_0 src1_sel:DWORD
	v_lshlrev_b64 v[16:17], v15, -1
	v_and_b32_e32 v18, s3, v17
	v_or_b32_e32 v18, 0x80000000, v18
	v_and_b32_e32 v19, s2, v16
	v_ffbl_b32_e32 v18, v18
	v_add_u32_e32 v18, 32, v18
	v_ffbl_b32_e32 v19, v19
	s_waitcnt lgkmcnt(0)
	v_cmp_gt_f16_e32 vcc, v50, v43
	v_min_u32_e32 v18, v19, v18
	v_add_u32_e32 v41, 1, v15
	v_cndmask_b32_e32 v19, v43, v50, vcc
	v_and_b32_e32 v43, 0xffff, v19
	v_cmp_le_u32_e32 vcc, v41, v18
	v_cmp_gt_u32_e64 s[2:3], 62, v51
	v_cndmask_b32_e32 v44, v42, v43, vcc
	v_cndmask_b32_e64 v42, 0, 1, s[2:3]
	v_lshlrev_b32_e32 v42, 1, v42
	v_add_lshl_u32 v42, v42, v15, 2
	ds_bpermute_b32 v45, v42, v44
	v_cndmask_b32_e32 v19, v50, v19, vcc
	v_add_u32_e32 v43, 2, v15
	v_cmp_gt_u32_e64 s[8:9], 60, v51
	v_cmp_gt_u32_e64 s[10:11], 56, v51
	s_waitcnt lgkmcnt(0)
	v_cmp_gt_f16_e64 s[2:3], v19, v45
	v_cndmask_b32_e64 v45, v45, v19, s[2:3]
	v_and_b32_e32 v46, 0xffff, v45
	v_cmp_le_u32_e64 s[2:3], v43, v18
	v_cndmask_b32_e64 v46, v44, v46, s[2:3]
	v_cndmask_b32_e64 v44, 0, 1, s[8:9]
	v_lshlrev_b32_e32 v44, 2, v44
	v_add_lshl_u32 v44, v44, v15, 2
	ds_bpermute_b32 v47, v44, v46
	v_cndmask_b32_e64 v19, v19, v45, s[2:3]
	v_add_u32_e32 v45, 4, v15
	v_cmp_gt_u32_e64 s[12:13], 48, v51
	v_cmp_gt_u32_e64 s[14:15], 32, v51
	s_waitcnt lgkmcnt(0)
	v_cmp_gt_f16_e64 s[8:9], v19, v47
	v_cndmask_b32_e64 v47, v47, v19, s[8:9]
	v_and_b32_e32 v48, 0xffff, v47
	v_cmp_le_u32_e64 s[8:9], v45, v18
	v_cndmask_b32_e64 v48, v46, v48, s[8:9]
	v_cndmask_b32_e64 v46, 0, 1, s[10:11]
	v_lshlrev_b32_e32 v46, 3, v46
	v_add_lshl_u32 v46, v46, v15, 2
	ds_bpermute_b32 v49, v46, v48
	v_cndmask_b32_e64 v19, v19, v47, s[8:9]
	v_add_u32_e32 v47, 8, v15
	v_cndmask_b32_e64 v51, 0, 1, s[14:15]
	v_lshlrev_b32_e32 v51, 5, v51
	s_waitcnt lgkmcnt(0)
	v_cmp_gt_f16_e64 s[10:11], v19, v49
	v_cndmask_b32_e64 v49, v49, v19, s[10:11]
	v_and_b32_e32 v52, 0xffff, v49
	v_cmp_le_u32_e64 s[10:11], v47, v18
	v_cndmask_b32_e64 v52, v48, v52, s[10:11]
	v_cndmask_b32_e64 v48, 0, 1, s[12:13]
	v_lshlrev_b32_e32 v48, 4, v48
	v_add_lshl_u32 v48, v48, v15, 2
	ds_bpermute_b32 v53, v48, v52
	v_cndmask_b32_e64 v19, v19, v49, s[10:11]
	v_add_u32_e32 v49, 16, v15
	v_add_lshl_u32 v51, v51, v15, 2
	s_waitcnt lgkmcnt(0)
	v_cmp_gt_f16_e64 s[12:13], v19, v53
	v_cndmask_b32_e64 v53, v53, v19, s[12:13]
	v_and_b32_e32 v54, 0xffff, v53
	v_cmp_le_u32_e64 s[12:13], v49, v18
	v_cndmask_b32_e64 v52, v52, v54, s[12:13]
	ds_bpermute_b32 v54, v51, v52
	v_add_u32_e32 v52, 32, v15
	v_cmp_le_u32_e64 s[16:17], v52, v18
	s_or_b64 s[2:3], s[2:3], s[16:17]
	s_or_b64 s[2:3], vcc, s[2:3]
	v_cndmask_b32_e64 v15, v19, v53, s[12:13]
	v_cmp_gt_u32_e64 s[14:15], v52, v18
	s_or_b64 s[2:3], s[8:9], s[2:3]
	s_waitcnt lgkmcnt(0)
	v_cmp_gt_f16_e32 vcc, v15, v54
	s_or_b64 s[2:3], s[10:11], s[2:3]
	s_or_b64 vcc, s[14:15], vcc
	v_cndmask_b32_e32 v15, v54, v15, vcc
	s_or_b64 vcc, s[12:13], s[2:3]
	v_cndmask_b32_e32 v18, v50, v15, vcc
	v_mov_b32_e32 v15, 0
	s_branch .LBB133_64
.LBB133_63:                             ;   in Loop: Header=BB133_64 Depth=1
	s_or_b64 exec, exec, s[2:3]
	v_and_b32_e32 v54, 0xffff, v53
	ds_bpermute_b32 v55, v40, v54
	v_cmp_eq_u16_sdwa s[2:3], v39, v38 src0_sel:BYTE_0 src1_sel:DWORD
	v_and_b32_e32 v18, s3, v17
	v_or_b32_e32 v18, 0x80000000, v18
	v_and_b32_e32 v19, s2, v16
	v_ffbl_b32_e32 v18, v18
	v_add_u32_e32 v18, 32, v18
	v_ffbl_b32_e32 v19, v19
	s_waitcnt lgkmcnt(0)
	v_cmp_gt_f16_e32 vcc, v53, v55
	v_min_u32_e32 v18, v19, v18
	v_cndmask_b32_e32 v19, v55, v53, vcc
	v_and_b32_e32 v55, 0xffff, v19
	v_cmp_le_u32_e32 vcc, v41, v18
	v_cndmask_b32_e32 v54, v54, v55, vcc
	ds_bpermute_b32 v55, v42, v54
	v_cndmask_b32_e32 v19, v53, v19, vcc
	v_cmp_le_u32_e64 s[16:17], v52, v18
	v_cmp_gt_u32_e64 s[14:15], v52, v18
	v_subrev_u32_e32 v14, 64, v14
	s_waitcnt lgkmcnt(0)
	v_cmp_gt_f16_e64 s[2:3], v19, v55
	v_cndmask_b32_e64 v55, v55, v19, s[2:3]
	v_and_b32_e32 v56, 0xffff, v55
	v_cmp_le_u32_e64 s[2:3], v43, v18
	v_cndmask_b32_e64 v54, v54, v56, s[2:3]
	ds_bpermute_b32 v56, v44, v54
	v_cndmask_b32_e64 v19, v19, v55, s[2:3]
	s_or_b64 s[2:3], s[2:3], s[16:17]
	s_or_b64 s[2:3], vcc, s[2:3]
	s_waitcnt lgkmcnt(0)
	v_cmp_gt_f16_e64 s[8:9], v19, v56
	v_cndmask_b32_e64 v55, v56, v19, s[8:9]
	v_and_b32_e32 v56, 0xffff, v55
	v_cmp_le_u32_e64 s[8:9], v45, v18
	v_cndmask_b32_e64 v54, v54, v56, s[8:9]
	ds_bpermute_b32 v56, v46, v54
	v_cndmask_b32_e64 v19, v19, v55, s[8:9]
	s_or_b64 s[2:3], s[8:9], s[2:3]
	s_waitcnt lgkmcnt(0)
	v_cmp_gt_f16_e64 s[10:11], v19, v56
	v_cndmask_b32_e64 v55, v56, v19, s[10:11]
	v_and_b32_e32 v56, 0xffff, v55
	v_cmp_le_u32_e64 s[10:11], v47, v18
	v_cndmask_b32_e64 v54, v54, v56, s[10:11]
	ds_bpermute_b32 v56, v48, v54
	v_cndmask_b32_e64 v19, v19, v55, s[10:11]
	s_or_b64 s[2:3], s[10:11], s[2:3]
	s_waitcnt lgkmcnt(0)
	v_cmp_gt_f16_e64 s[12:13], v19, v56
	v_cndmask_b32_e64 v55, v56, v19, s[12:13]
	v_and_b32_e32 v56, 0xffff, v55
	v_cmp_le_u32_e64 s[12:13], v49, v18
	v_cndmask_b32_e64 v54, v54, v56, s[12:13]
	ds_bpermute_b32 v54, v51, v54
	v_cndmask_b32_e64 v18, v19, v55, s[12:13]
	s_waitcnt lgkmcnt(0)
	v_cmp_gt_f16_e32 vcc, v18, v54
	s_or_b64 vcc, s[14:15], vcc
	v_cndmask_b32_e32 v18, v54, v18, vcc
	s_or_b64 vcc, s[12:13], s[2:3]
	v_cndmask_b32_e32 v18, v53, v18, vcc
	v_cmp_lt_f16_e32 vcc, v18, v50
	v_cndmask_b32_e32 v18, v18, v50, vcc
.LBB133_64:                             ; =>This Loop Header: Depth=1
                                        ;     Child Loop BB133_67 Depth 2
	v_cmp_ne_u16_sdwa s[2:3], v39, v38 src0_sel:BYTE_0 src1_sel:DWORD
	v_cndmask_b32_e64 v19, 0, 1, s[2:3]
	;;#ASMSTART
	;;#ASMEND
	v_cmp_ne_u32_e32 vcc, 0, v19
	s_cmp_lg_u64 vcc, exec
	v_mov_b32_e32 v50, v18
	s_cbranch_scc1 .LBB133_69
; %bb.65:                               ;   in Loop: Header=BB133_64 Depth=1
	v_lshlrev_b64 v[18:19], 2, v[14:15]
	v_mov_b32_e32 v39, s27
	v_add_co_u32_e32 v18, vcc, s26, v18
	v_addc_co_u32_e32 v19, vcc, v39, v19, vcc
	global_load_dword v53, v[18:19], off glc
	s_waitcnt vmcnt(0)
	v_lshrrev_b32_e32 v39, 16, v53
	v_cmp_eq_u16_sdwa s[8:9], v39, v15 src0_sel:BYTE_0 src1_sel:DWORD
	s_and_saveexec_b64 s[2:3], s[8:9]
	s_cbranch_execz .LBB133_63
; %bb.66:                               ;   in Loop: Header=BB133_64 Depth=1
	s_mov_b64 s[8:9], 0
.LBB133_67:                             ;   Parent Loop BB133_64 Depth=1
                                        ; =>  This Inner Loop Header: Depth=2
	global_load_dword v53, v[18:19], off glc
	s_waitcnt vmcnt(0)
	v_lshrrev_b32_e32 v39, 16, v53
	v_cmp_ne_u16_sdwa s[10:11], v39, v15 src0_sel:BYTE_0 src1_sel:DWORD
	s_or_b64 s[8:9], s[10:11], s[8:9]
	s_andn2_b64 exec, exec, s[8:9]
	s_cbranch_execnz .LBB133_67
; %bb.68:                               ;   in Loop: Header=BB133_64 Depth=1
	s_or_b64 exec, exec, s[8:9]
	s_branch .LBB133_63
.LBB133_69:                             ;   in Loop: Header=BB133_64 Depth=1
                                        ; implicit-def: $vgpr18
                                        ; implicit-def: $vgpr39
	s_cbranch_execz .LBB133_64
; %bb.70:
	s_and_saveexec_b64 s[2:3], s[0:1]
	s_cbranch_execz .LBB133_72
; %bb.71:
	s_add_i32 s0, s6, 64
	s_mov_b32 s1, 0
	s_lshl_b64 s[0:1], s[0:1], 2
	v_cmp_lt_f16_e32 vcc, v50, v37
	s_add_u32 s0, s26, s0
	v_cndmask_b32_e32 v15, v50, v37, vcc
	s_mov_b32 s6, 0x20000
	s_addc_u32 s1, s27, s1
	v_mov_b32_e32 v14, 0
	v_or_b32_sdwa v15, v15, s6 dst_sel:DWORD dst_unused:UNUSED_PAD src0_sel:WORD_0 src1_sel:DWORD
	global_store_dword v14, v15, s[0:1]
.LBB133_72:
	s_or_b64 exec, exec, s[2:3]
	v_cmp_eq_u32_e32 vcc, 0, v0
	s_and_b64 exec, exec, vcc
	s_cbranch_execz .LBB133_74
; %bb.73:
	v_mov_b32_e32 v14, 0
	ds_write_b16 v14, v50
.LBB133_74:
	s_or_b64 exec, exec, s[28:29]
	v_mov_b32_e32 v14, 0
	s_waitcnt lgkmcnt(0)
	; wave barrier
	s_waitcnt lgkmcnt(0)
	ds_read_u16 v14, v14
	s_waitcnt lgkmcnt(0)
	v_cmp_lt_f16_e32 vcc, v14, v36
	v_cndmask_b32_e32 v15, v14, v36, vcc
	v_cmp_eq_u32_e32 vcc, 0, v0
	v_cndmask_b32_e32 v15, v15, v14, vcc
	v_cmp_lt_f16_e32 vcc, v15, v10
	v_cndmask_b32_e32 v14, v15, v10, vcc
	v_cmp_lt_f16_e32 vcc, v14, v33
	;; [unrolled: 2-line block ×23, first 2 shown]
	v_cndmask_b32_e32 v53, v52, v5, vcc
	s_load_dwordx4 s[0:3], s[4:5], 0x40
	s_branch .LBB133_83
.LBB133_75:
                                        ; implicit-def: $vgpr15
                                        ; implicit-def: $vgpr14
                                        ; implicit-def: $vgpr16
                                        ; implicit-def: $vgpr17
                                        ; implicit-def: $vgpr18
                                        ; implicit-def: $vgpr19
                                        ; implicit-def: $vgpr37
                                        ; implicit-def: $vgpr39
                                        ; implicit-def: $vgpr36
                                        ; implicit-def: $vgpr38
                                        ; implicit-def: $vgpr40
                                        ; implicit-def: $vgpr41
                                        ; implicit-def: $vgpr42
                                        ; implicit-def: $vgpr43
                                        ; implicit-def: $vgpr45
                                        ; implicit-def: $vgpr47
                                        ; implicit-def: $vgpr44
                                        ; implicit-def: $vgpr46
                                        ; implicit-def: $vgpr48
                                        ; implicit-def: $vgpr49
                                        ; implicit-def: $vgpr50
                                        ; implicit-def: $vgpr51
                                        ; implicit-def: $vgpr52
                                        ; implicit-def: $vgpr53
	s_load_dwordx4 s[0:3], s[4:5], 0x40
	s_cbranch_execz .LBB133_83
; %bb.76:
	s_load_dword s6, s[4:5], 0x50
	s_waitcnt lgkmcnt(0)
	s_bitcmp0_b32 s6, 0
	s_cbranch_scc1 .LBB133_78
; %bb.77:
	s_waitcnt vmcnt(0)
	v_mov_b32_e32 v1, 0
	global_load_ushort v14, v1, s[24:25] offset:-2
	global_load_ushort v15, v1, s[0:1]
	s_waitcnt vmcnt(0)
	v_cmp_lt_f16_e32 vcc, v15, v14
	v_cndmask_b32_e32 v1, v15, v14, vcc
.LBB133_78:
	v_cmp_lt_f16_e32 vcc, v10, v33
	v_cndmask_b32_e32 v14, v10, v33, vcc
	v_cmp_lt_f16_e32 vcc, v14, v11
	v_cndmask_b32_e32 v14, v14, v11, vcc
	;; [unrolled: 2-line block ×23, first 2 shown]
	v_mbcnt_hi_u32_b32 v14, -1, v35
	v_and_b32_e32 v17, 0xffff, v15
	v_and_b32_e32 v16, 15, v14
	v_cmp_eq_u32_e32 vcc, 0, v16
	v_mov_b32_dpp v17, v17 row_shr:1 row_mask:0xf bank_mask:0xf
	v_cmp_gt_f16_e64 s[0:1], v15, v17
	s_or_b64 vcc, vcc, s[0:1]
	v_cndmask_b32_e32 v15, v17, v15, vcc
	v_and_b32_e32 v17, 0xffff, v15
	s_nop 1
	v_mov_b32_dpp v17, v17 row_shr:2 row_mask:0xf bank_mask:0xf
	v_cmp_gt_f16_e32 vcc, v15, v17
	v_cndmask_b32_e32 v17, v17, v15, vcc
	v_cmp_lt_u32_e32 vcc, 1, v16
	v_cndmask_b32_e32 v15, v15, v17, vcc
	v_and_b32_e32 v17, 0xffff, v15
	s_nop 1
	v_mov_b32_dpp v17, v17 row_shr:4 row_mask:0xf bank_mask:0xf
	v_cmp_gt_f16_e32 vcc, v15, v17
	v_cndmask_b32_e32 v17, v17, v15, vcc
	v_cmp_lt_u32_e32 vcc, 3, v16
	;; [unrolled: 7-line block ×3, first 2 shown]
	v_cndmask_b32_e32 v15, v15, v17, vcc
	v_and_b32_e32 v16, 0xffff, v15
	v_and_b32_e32 v17, 16, v14
	v_cmp_eq_u32_e32 vcc, 0, v17
	v_mov_b32_dpp v16, v16 row_bcast:15 row_mask:0xf bank_mask:0xf
	v_cmp_gt_f16_e64 s[0:1], v15, v16
	s_or_b64 vcc, vcc, s[0:1]
	v_cndmask_b32_e32 v15, v16, v15, vcc
	v_and_b32_e32 v16, 0xffff, v15
	s_nop 1
	v_mov_b32_dpp v16, v16 row_bcast:31 row_mask:0xf bank_mask:0xf
	v_cmp_gt_f16_e32 vcc, v15, v16
	v_cndmask_b32_e32 v16, v16, v15, vcc
	v_cmp_lt_u32_e32 vcc, 31, v14
	v_cndmask_b32_e32 v15, v15, v16, vcc
	v_cmp_eq_u32_e32 vcc, 63, v0
	s_and_saveexec_b64 s[0:1], vcc
	s_cbranch_execz .LBB133_80
; %bb.79:
	v_mov_b32_e32 v16, 0
	ds_write_b16 v16, v15
.LBB133_80:
	s_or_b64 exec, exec, s[0:1]
	s_waitcnt vmcnt(0)
	v_cmp_gt_f16_e32 vcc, v15, v1
	v_add_u32_e32 v16, -1, v14
	v_and_b32_e32 v17, 64, v14
	v_cndmask_b32_e32 v15, v1, v15, vcc
	v_cmp_lt_i32_e32 vcc, v16, v17
	v_cndmask_b32_e32 v16, v16, v14, vcc
	v_and_b32_e32 v15, 0xffff, v15
	v_lshlrev_b32_e32 v16, 2, v16
	ds_bpermute_b32 v15, v16, v15
	v_cmp_eq_u32_e32 vcc, 0, v14
	v_cmp_eq_u32_e64 s[0:1], 0, v0
	s_waitcnt lgkmcnt(0)
	; wave barrier
	s_waitcnt lgkmcnt(0)
	v_cndmask_b32_e32 v15, v15, v1, vcc
	v_cndmask_b32_e64 v14, v15, v1, s[0:1]
	v_cmp_lt_f16_e32 vcc, v14, v10
	v_cndmask_b32_e32 v14, v14, v10, vcc
	v_cmp_lt_f16_e32 vcc, v14, v33
	v_cndmask_b32_e32 v16, v14, v33, vcc
	;; [unrolled: 2-line block ×22, first 2 shown]
	v_cmp_lt_f16_e32 vcc, v52, v5
	s_and_saveexec_b64 s[6:7], s[0:1]
	s_cbranch_execz .LBB133_82
; %bb.81:
	v_mov_b32_e32 v2, 0
	ds_read_u16 v3, v2
	s_mov_b32 s8, 0x20000
	v_mov_b32_e32 v15, v1
	s_waitcnt lgkmcnt(0)
	v_cmp_gt_f16_e64 s[0:1], v3, v1
	v_cndmask_b32_e64 v3, v1, v3, s[0:1]
	v_or_b32_sdwa v3, v3, s8 dst_sel:DWORD dst_unused:UNUSED_PAD src0_sel:WORD_0 src1_sel:DWORD
	global_store_dword v2, v3, s[26:27] offset:256
.LBB133_82:
	s_or_b64 exec, exec, s[6:7]
	v_cndmask_b32_e32 v53, v52, v5, vcc
.LBB133_83:
	s_waitcnt lgkmcnt(0)
	s_add_u32 s0, s20, s22
	s_addc_u32 s1, s21, s23
	s_mov_b64 s[6:7], -1
	s_and_b64 vcc, exec, s[18:19]
	s_waitcnt lgkmcnt(0)
	; wave barrier
	s_cbranch_vccz .LBB133_85
; %bb.84:
	s_mov_b32 s6, 0x5040100
	v_perm_b32 v5, v39, v37, s6
	v_perm_b32 v4, v19, v18, s6
	;; [unrolled: 1-line block ×4, first 2 shown]
	ds_write_b128 v22, v[2:5]
	v_perm_b32 v5, v47, v45, s6
	v_perm_b32 v4, v43, v42, s6
	;; [unrolled: 1-line block ×4, first 2 shown]
	ds_write_b128 v22, v[2:5] offset:16
	v_perm_b32 v5, v53, v52, s6
	v_perm_b32 v4, v51, v50, s6
	;; [unrolled: 1-line block ×4, first 2 shown]
	ds_write_b128 v22, v[2:5] offset:32
	s_waitcnt lgkmcnt(0)
	; wave barrier
	s_waitcnt vmcnt(0) lgkmcnt(0)
	ds_read_u16 v1, v20
	ds_read_u16 v2, v20 offset:128
	ds_read_u16 v3, v20 offset:256
	;; [unrolled: 1-line block ×23, first 2 shown]
	s_waitcnt lgkmcnt(14)
	global_store_short v20, v1, s[0:1]
	global_store_short v20, v2, s[0:1] offset:128
	global_store_short v20, v3, s[0:1] offset:256
	;; [unrolled: 1-line block ×9, first 2 shown]
	s_waitcnt lgkmcnt(13)
	global_store_short v20, v11, s[0:1] offset:1280
	s_waitcnt lgkmcnt(12)
	global_store_short v20, v12, s[0:1] offset:1408
	;; [unrolled: 2-line block ×14, first 2 shown]
	s_mov_b64 s[6:7], 0
.LBB133_85:
	s_andn2_b64 vcc, exec, s[6:7]
	s_cbranch_vccnz .LBB133_142
; %bb.86:
	s_mov_b32 s6, 0x5040100
	v_perm_b32 v5, v39, v37, s6
	v_perm_b32 v4, v19, v18, s6
	;; [unrolled: 1-line block ×4, first 2 shown]
	ds_write_b128 v22, v[2:5]
	v_perm_b32 v5, v47, v45, s6
	v_perm_b32 v4, v43, v42, s6
	;; [unrolled: 1-line block ×4, first 2 shown]
	ds_write_b128 v22, v[2:5] offset:16
	v_perm_b32 v5, v53, v52, s6
	v_perm_b32 v4, v51, v50, s6
	v_perm_b32 v3, v49, v48, s6
	v_perm_b32 v2, v46, v44, s6
	s_movk_i32 s6, 0xffd2
	ds_write_b128 v22, v[2:5] offset:32
	v_mad_i32_i24 v2, v0, s6, v22
	s_waitcnt lgkmcnt(0)
	; wave barrier
	s_waitcnt lgkmcnt(0)
	ds_read_u16 v5, v2
	ds_read_u16 v4, v2 offset:128
	ds_read_u16 v7, v2 offset:256
	;; [unrolled: 1-line block ×23, first 2 shown]
	v_mov_b32_e32 v3, s1
	v_add_co_u32_e32 v2, vcc, s0, v20
	v_addc_co_u32_e32 v3, vcc, 0, v3, vcc
	s_waitcnt vmcnt(0)
	v_mov_b32_e32 v1, 0
	v_cmp_gt_u32_e32 vcc, s30, v0
	s_and_saveexec_b64 s[0:1], vcc
	s_cbranch_execz .LBB133_88
; %bb.87:
	s_waitcnt lgkmcnt(14)
	global_store_short v[2:3], v5, off
.LBB133_88:
	s_or_b64 exec, exec, s[0:1]
	v_or_b32_e32 v20, 64, v0
	v_cmp_gt_u32_e32 vcc, s30, v20
	s_and_saveexec_b64 s[0:1], vcc
	s_cbranch_execz .LBB133_90
; %bb.89:
	s_waitcnt lgkmcnt(14)
	global_store_short v[2:3], v4, off offset:128
.LBB133_90:
	s_or_b64 exec, exec, s[0:1]
	v_or_b32_e32 v20, 0x80, v0
	v_cmp_gt_u32_e32 vcc, s30, v20
	s_and_saveexec_b64 s[0:1], vcc
	s_cbranch_execz .LBB133_92
; %bb.91:
	s_waitcnt lgkmcnt(14)
	global_store_short v[2:3], v7, off offset:256
.LBB133_92:
	s_or_b64 exec, exec, s[0:1]
	v_or_b32_e32 v20, 0xc0, v0
	v_cmp_gt_u32_e32 vcc, s30, v20
	s_and_saveexec_b64 s[0:1], vcc
	s_cbranch_execz .LBB133_94
; %bb.93:
	s_waitcnt lgkmcnt(14)
	global_store_short v[2:3], v8, off offset:384
.LBB133_94:
	s_or_b64 exec, exec, s[0:1]
	v_or_b32_e32 v20, 0x100, v0
	v_cmp_gt_u32_e32 vcc, s30, v20
	s_and_saveexec_b64 s[0:1], vcc
	s_cbranch_execz .LBB133_96
; %bb.95:
	s_waitcnt lgkmcnt(14)
	global_store_short v[2:3], v6, off offset:512
.LBB133_96:
	s_or_b64 exec, exec, s[0:1]
	v_or_b32_e32 v20, 0x140, v0
	v_cmp_gt_u32_e32 vcc, s30, v20
	s_and_saveexec_b64 s[0:1], vcc
	s_cbranch_execz .LBB133_98
; %bb.97:
	s_waitcnt lgkmcnt(14)
	global_store_short v[2:3], v9, off offset:640
.LBB133_98:
	s_or_b64 exec, exec, s[0:1]
	v_or_b32_e32 v20, 0x180, v0
	v_cmp_gt_u32_e32 vcc, s30, v20
	s_and_saveexec_b64 s[0:1], vcc
	s_cbranch_execz .LBB133_100
; %bb.99:
	s_waitcnt lgkmcnt(14)
	global_store_short v[2:3], v17, off offset:768
.LBB133_100:
	s_or_b64 exec, exec, s[0:1]
	v_or_b32_e32 v20, 0x1c0, v0
	v_cmp_gt_u32_e32 vcc, s30, v20
	s_and_saveexec_b64 s[0:1], vcc
	s_cbranch_execz .LBB133_102
; %bb.101:
	s_waitcnt lgkmcnt(14)
	global_store_short v[2:3], v15, off offset:896
.LBB133_102:
	s_or_b64 exec, exec, s[0:1]
	v_or_b32_e32 v20, 0x200, v0
	v_cmp_gt_u32_e32 vcc, s30, v20
	s_and_saveexec_b64 s[0:1], vcc
	s_cbranch_execz .LBB133_104
; %bb.103:
	s_waitcnt lgkmcnt(14)
	global_store_short v[2:3], v16, off offset:1024
.LBB133_104:
	s_or_b64 exec, exec, s[0:1]
	v_or_b32_e32 v20, 0x240, v0
	v_cmp_gt_u32_e32 vcc, s30, v20
	s_and_saveexec_b64 s[0:1], vcc
	s_cbranch_execz .LBB133_106
; %bb.105:
	s_waitcnt lgkmcnt(14)
	global_store_short v[2:3], v25, off offset:1152
.LBB133_106:
	s_or_b64 exec, exec, s[0:1]
	v_or_b32_e32 v20, 0x280, v0
	v_cmp_gt_u32_e32 vcc, s30, v20
	s_and_saveexec_b64 s[0:1], vcc
	s_cbranch_execz .LBB133_108
; %bb.107:
	s_waitcnt lgkmcnt(13)
	global_store_short v[2:3], v22, off offset:1280
.LBB133_108:
	s_or_b64 exec, exec, s[0:1]
	v_or_b32_e32 v20, 0x2c0, v0
	v_cmp_gt_u32_e32 vcc, s30, v20
	s_and_saveexec_b64 s[0:1], vcc
	s_cbranch_execz .LBB133_110
; %bb.109:
	s_waitcnt lgkmcnt(12)
	global_store_short v[2:3], v19, off offset:1408
.LBB133_110:
	s_or_b64 exec, exec, s[0:1]
	v_or_b32_e32 v20, 0x300, v0
	v_cmp_gt_u32_e32 vcc, s30, v20
	s_and_saveexec_b64 s[0:1], vcc
	s_cbranch_execz .LBB133_112
; %bb.111:
	s_waitcnt lgkmcnt(11)
	global_store_short v[2:3], v18, off offset:1536
.LBB133_112:
	s_or_b64 exec, exec, s[0:1]
	v_or_b32_e32 v20, 0x340, v0
	v_cmp_gt_u32_e32 vcc, s30, v20
	s_and_saveexec_b64 s[0:1], vcc
	s_cbranch_execz .LBB133_114
; %bb.113:
	s_waitcnt lgkmcnt(10)
	global_store_short v[2:3], v13, off offset:1664
.LBB133_114:
	s_or_b64 exec, exec, s[0:1]
	v_or_b32_e32 v20, 0x380, v0
	v_cmp_gt_u32_e32 vcc, s30, v20
	s_and_saveexec_b64 s[0:1], vcc
	s_cbranch_execz .LBB133_116
; %bb.115:
	s_waitcnt lgkmcnt(9)
	global_store_short v[2:3], v14, off offset:1792
.LBB133_116:
	s_or_b64 exec, exec, s[0:1]
	v_or_b32_e32 v20, 0x3c0, v0
	v_cmp_gt_u32_e32 vcc, s30, v20
	s_and_saveexec_b64 s[0:1], vcc
	s_cbranch_execz .LBB133_118
; %bb.117:
	s_waitcnt lgkmcnt(8)
	global_store_short v[2:3], v10, off offset:1920
.LBB133_118:
	s_or_b64 exec, exec, s[0:1]
	v_or_b32_e32 v20, 0x400, v0
	v_cmp_gt_u32_e32 vcc, s30, v20
	s_and_saveexec_b64 s[0:1], vcc
	s_cbranch_execz .LBB133_120
; %bb.119:
	s_waitcnt lgkmcnt(7)
	global_store_short v[2:3], v24, off offset:2048
.LBB133_120:
	s_or_b64 exec, exec, s[0:1]
	v_or_b32_e32 v20, 0x440, v0
	v_cmp_gt_u32_e32 vcc, s30, v20
	s_and_saveexec_b64 s[0:1], vcc
	s_cbranch_execz .LBB133_122
; %bb.121:
	s_waitcnt lgkmcnt(6)
	global_store_short v[2:3], v27, off offset:2176
.LBB133_122:
	s_or_b64 exec, exec, s[0:1]
	v_or_b32_e32 v20, 0x480, v0
	v_cmp_gt_u32_e32 vcc, s30, v20
	s_and_saveexec_b64 s[0:1], vcc
	s_cbranch_execz .LBB133_124
; %bb.123:
	s_waitcnt lgkmcnt(5)
	global_store_short v[2:3], v26, off offset:2304
.LBB133_124:
	s_or_b64 exec, exec, s[0:1]
	v_or_b32_e32 v20, 0x4c0, v0
	v_cmp_gt_u32_e32 vcc, s30, v20
	s_and_saveexec_b64 s[0:1], vcc
	s_cbranch_execz .LBB133_126
; %bb.125:
	s_waitcnt lgkmcnt(4)
	global_store_short v[2:3], v23, off offset:2432
.LBB133_126:
	s_or_b64 exec, exec, s[0:1]
	v_or_b32_e32 v20, 0x500, v0
	v_cmp_gt_u32_e32 vcc, s30, v20
	s_and_saveexec_b64 s[0:1], vcc
	s_cbranch_execz .LBB133_128
; %bb.127:
	s_waitcnt lgkmcnt(3)
	global_store_short v[2:3], v12, off offset:2560
.LBB133_128:
	s_or_b64 exec, exec, s[0:1]
	v_or_b32_e32 v20, 0x540, v0
	v_cmp_gt_u32_e32 vcc, s30, v20
	s_and_saveexec_b64 s[0:1], vcc
	s_cbranch_execz .LBB133_130
; %bb.129:
	s_waitcnt lgkmcnt(2)
	global_store_short v[2:3], v11, off offset:2688
.LBB133_130:
	s_or_b64 exec, exec, s[0:1]
	v_or_b32_e32 v20, 0x580, v0
	v_cmp_gt_u32_e32 vcc, s30, v20
	s_and_saveexec_b64 s[0:1], vcc
	s_cbranch_execz .LBB133_132
; %bb.131:
	s_waitcnt lgkmcnt(1)
	global_store_short v[2:3], v28, off offset:2816
.LBB133_132:
	s_or_b64 exec, exec, s[0:1]
	v_or_b32_e32 v20, 0x5c0, v0
	v_cmp_gt_u32_e32 vcc, s30, v20
	s_and_saveexec_b64 s[0:1], vcc
	s_cbranch_execz .LBB133_134
; %bb.133:
	s_waitcnt lgkmcnt(0)
	global_store_short v[2:3], v29, off offset:2944
.LBB133_134:
	s_or_b64 exec, exec, s[0:1]
	s_load_dword s0, s[4:5], 0x50
	s_waitcnt lgkmcnt(0)
	s_bfe_u32 s0, s0, 0x10008
	s_cmp_eq_u32 s0, 0
	s_cbranch_scc1 .LBB133_142
; %bb.135:
	s_add_u32 s0, s30, -1
	s_addc_u32 s1, s31, -1
	s_add_u32 s4, 0, 0xaaaa0000
	s_addc_u32 s5, 0, 42
	s_add_i32 s5, s5, 0xaaaaa80
	s_mul_hi_u32 s9, s4, 0xffffffe8
	s_sub_i32 s9, s9, s4
	s_mul_i32 s10, s5, 0xffffffe8
	s_mul_i32 s6, s4, 0xffffffe8
	s_add_i32 s9, s9, s10
	s_mul_hi_u32 s7, s5, s6
	s_mul_i32 s8, s5, s6
	s_mul_i32 s11, s4, s9
	s_mul_hi_u32 s6, s4, s6
	s_mul_hi_u32 s10, s4, s9
	s_add_u32 s6, s6, s11
	s_addc_u32 s10, 0, s10
	s_add_u32 s6, s6, s8
	s_mul_hi_u32 s11, s5, s9
	s_addc_u32 s6, s10, s7
	s_addc_u32 s7, s11, 0
	s_mul_i32 s8, s5, s9
	s_add_u32 s6, s6, s8
	v_mov_b32_e32 v2, s6
	s_addc_u32 s7, 0, s7
	v_add_co_u32_e32 v2, vcc, s4, v2
	s_cmp_lg_u64 vcc, 0
	s_addc_u32 s4, s5, s7
	v_readfirstlane_b32 s7, v2
	s_mul_i32 s6, s0, s4
	s_mul_hi_u32 s8, s0, s7
	s_mul_hi_u32 s5, s0, s4
	s_add_u32 s6, s8, s6
	s_addc_u32 s5, 0, s5
	s_mul_hi_u32 s9, s1, s7
	s_mul_i32 s7, s1, s7
	s_add_u32 s6, s6, s7
	s_mul_hi_u32 s8, s1, s4
	s_addc_u32 s5, s5, s9
	s_addc_u32 s6, s8, 0
	s_mul_i32 s4, s1, s4
	s_add_u32 s4, s5, s4
	s_addc_u32 s5, 0, s6
	s_add_u32 s6, s4, 1
	s_addc_u32 s7, s5, 0
	s_add_u32 s8, s4, 2
	s_mul_i32 s10, s5, 24
	s_mul_hi_u32 s11, s4, 24
	s_addc_u32 s9, s5, 0
	s_add_i32 s11, s11, s10
	s_mul_i32 s10, s4, 24
	v_mov_b32_e32 v2, s10
	v_sub_co_u32_e32 v2, vcc, s0, v2
	s_cmp_lg_u64 vcc, 0
	s_subb_u32 s10, s1, s11
	v_subrev_co_u32_e32 v3, vcc, 24, v2
	s_cmp_lg_u64 vcc, 0
	s_subb_u32 s11, s10, 0
	v_readfirstlane_b32 s12, v3
	s_cmp_gt_u32 s12, 23
	s_cselect_b32 s12, -1, 0
	s_cmp_eq_u32 s11, 0
	s_cselect_b32 s11, s12, -1
	s_cmp_lg_u32 s11, 0
	s_cselect_b32 s6, s8, s6
	v_readfirstlane_b32 s8, v2
	s_cselect_b32 s7, s9, s7
	s_cmp_gt_u32 s8, 23
	s_cselect_b32 s8, -1, 0
	s_cmp_eq_u32 s10, 0
	s_cselect_b32 s8, s8, -1
	s_cmp_lg_u32 s8, 0
	s_cselect_b32 s5, s7, s5
	s_cselect_b32 s4, s6, s4
	v_cmp_eq_u64_e32 vcc, s[4:5], v[0:1]
	s_and_saveexec_b64 s[4:5], vcc
	s_cbranch_execz .LBB133_142
; %bb.136:
	v_mul_hi_u32_u24_e32 v1, 24, v0
	v_mov_b32_e32 v2, s1
	v_sub_co_u32_e32 v0, vcc, s0, v21
	v_subb_co_u32_e32 v1, vcc, v2, v1, vcc
	v_cmp_lt_i64_e32 vcc, 11, v[0:1]
	s_mov_b64 s[0:1], 0
	s_mov_b64 s[10:11], 0
	s_mov_b64 s[8:9], 0
	s_mov_b64 s[6:7], 0
	s_and_saveexec_b64 s[4:5], vcc
	s_xor_b64 s[4:5], exec, s[4:5]
	s_cbranch_execnz .LBB133_143
; %bb.137:
	s_andn2_saveexec_b64 s[4:5], s[4:5]
	s_cbranch_execnz .LBB133_188
.LBB133_138:
	s_or_b64 exec, exec, s[4:5]
	s_and_saveexec_b64 s[4:5], s[10:11]
	s_cbranch_execnz .LBB133_205
.LBB133_139:
	s_or_b64 exec, exec, s[4:5]
	s_and_saveexec_b64 s[4:5], s[8:9]
	s_cbranch_execnz .LBB133_206
.LBB133_140:
	s_or_b64 exec, exec, s[4:5]
	s_and_saveexec_b64 s[4:5], s[6:7]
	s_xor_b64 s[4:5], exec, s[4:5]
	s_cbranch_execnz .LBB133_207
.LBB133_141:
	s_or_b64 exec, exec, s[4:5]
	s_and_b64 exec, exec, s[0:1]
	s_cbranch_execnz .LBB133_208
.LBB133_142:
	s_endpgm
.LBB133_143:
	v_cmp_lt_i64_e32 vcc, 17, v[0:1]
	s_and_saveexec_b64 s[12:13], vcc
	s_xor_b64 s[12:13], exec, s[12:13]
	s_cbranch_execz .LBB133_165
; %bb.144:
	v_cmp_lt_i64_e32 vcc, 20, v[0:1]
                                        ; implicit-def: $vgpr10
	s_and_saveexec_b64 s[14:15], vcc
	s_xor_b64 s[14:15], exec, s[14:15]
	s_cbranch_execz .LBB133_154
; %bb.145:
	v_cmp_lt_i64_e32 vcc, 21, v[0:1]
	s_mov_b64 s[16:17], 0
                                        ; implicit-def: $vgpr10
	s_and_saveexec_b64 s[6:7], vcc
	s_xor_b64 s[6:7], exec, s[6:7]
	s_cbranch_execz .LBB133_151
; %bb.146:
	v_cmp_lt_i64_e32 vcc, 22, v[0:1]
	s_and_saveexec_b64 s[16:17], vcc
	s_xor_b64 s[16:17], exec, s[16:17]
	s_cbranch_execz .LBB133_148
; %bb.147:
	v_mov_b32_e32 v2, 0
	global_store_short v2, v29, s[2:3]
                                        ; implicit-def: $vgpr28
.LBB133_148:
	s_or_saveexec_b64 s[16:17], s[16:17]
	s_mov_b64 s[18:19], 0
	s_xor_b64 exec, exec, s[16:17]
; %bb.149:
	s_mov_b64 s[18:19], exec
; %bb.150:
	s_or_b64 exec, exec, s[16:17]
	s_and_b64 s[16:17], s[18:19], exec
	v_mov_b32_e32 v10, v28
                                        ; implicit-def: $vgpr11
.LBB133_151:
	s_andn2_saveexec_b64 s[6:7], s[6:7]
; %bb.152:
	s_mov_b64 s[8:9], exec
                                        ; implicit-def: $vgpr10
; %bb.153:
	s_or_b64 exec, exec, s[6:7]
	s_and_b64 s[6:7], s[16:17], exec
	s_and_b64 s[8:9], s[8:9], exec
                                        ; implicit-def: $vgpr26
                                        ; implicit-def: $vgpr12
                                        ; implicit-def: $vgpr23
.LBB133_154:
	s_andn2_saveexec_b64 s[14:15], s[14:15]
	s_cbranch_execz .LBB133_164
; %bb.155:
	v_cmp_lt_i64_e32 vcc, 18, v[0:1]
	s_mov_b64 s[16:17], 0
	s_and_saveexec_b64 s[10:11], vcc
	s_xor_b64 s[10:11], exec, s[10:11]
	s_cbranch_execz .LBB133_161
; %bb.156:
	v_cmp_lt_i64_e32 vcc, 19, v[0:1]
	s_and_saveexec_b64 s[18:19], vcc
	s_xor_b64 s[18:19], exec, s[18:19]
; %bb.157:
	s_mov_b64 s[16:17], exec
                                        ; implicit-def: $vgpr23
; %bb.158:
	s_andn2_saveexec_b64 s[18:19], s[18:19]
	s_cbranch_execz .LBB133_160
; %bb.159:
	v_mov_b32_e32 v2, 0
	global_store_short v2, v23, s[2:3]
                                        ; implicit-def: $vgpr12
.LBB133_160:
	s_or_b64 exec, exec, s[18:19]
	s_and_b64 s[16:17], s[16:17], exec
                                        ; implicit-def: $vgpr26
.LBB133_161:
	s_andn2_saveexec_b64 s[10:11], s[10:11]
	s_cbranch_execz .LBB133_163
; %bb.162:
	v_mov_b32_e32 v2, 0
	global_store_short v2, v26, s[2:3]
                                        ; implicit-def: $vgpr12
.LBB133_163:
	s_or_b64 exec, exec, s[10:11]
	s_and_b64 s[10:11], s[16:17], exec
                                        ; implicit-def: $vgpr10
                                        ; implicit-def: $vgpr11
.LBB133_164:
	s_or_b64 exec, exec, s[14:15]
	s_and_b64 s[6:7], s[6:7], exec
	s_and_b64 s[8:9], s[8:9], exec
	;; [unrolled: 1-line block ×3, first 2 shown]
                                        ; implicit-def: $vgpr18
                                        ; implicit-def: $vgpr13
                                        ; implicit-def: $vgpr14
                                        ; implicit-def: $vgpr24
                                        ; implicit-def: $vgpr27
.LBB133_165:
	s_andn2_saveexec_b64 s[12:13], s[12:13]
	s_cbranch_execz .LBB133_187
; %bb.166:
	v_cmp_lt_i64_e32 vcc, 14, v[0:1]
	s_mov_b64 s[14:15], s[6:7]
	s_and_saveexec_b64 s[16:17], vcc
	s_xor_b64 s[16:17], exec, s[16:17]
	s_cbranch_execz .LBB133_176
; %bb.167:
	v_cmp_lt_i64_e32 vcc, 15, v[0:1]
	s_and_saveexec_b64 s[14:15], vcc
	s_xor_b64 s[14:15], exec, s[14:15]
	s_cbranch_execz .LBB133_173
; %bb.168:
	v_cmp_lt_i64_e32 vcc, 16, v[0:1]
	s_and_saveexec_b64 s[18:19], vcc
	s_xor_b64 s[18:19], exec, s[18:19]
	s_cbranch_execz .LBB133_170
; %bb.169:
	v_mov_b32_e32 v2, 0
	global_store_short v2, v27, s[2:3]
                                        ; implicit-def: $vgpr24
.LBB133_170:
	s_andn2_saveexec_b64 s[18:19], s[18:19]
	s_cbranch_execz .LBB133_172
; %bb.171:
	v_mov_b32_e32 v2, 0
	global_store_short v2, v24, s[2:3]
.LBB133_172:
	s_or_b64 exec, exec, s[18:19]
                                        ; implicit-def: $vgpr10
.LBB133_173:
	s_or_saveexec_b64 s[14:15], s[14:15]
	s_mov_b64 s[18:19], s[6:7]
	s_xor_b64 exec, exec, s[14:15]
; %bb.174:
	s_or_b64 s[18:19], s[6:7], exec
; %bb.175:
	s_or_b64 exec, exec, s[14:15]
	s_andn2_b64 s[14:15], s[6:7], exec
	s_and_b64 s[18:19], s[18:19], exec
	s_or_b64 s[14:15], s[14:15], s[18:19]
                                        ; implicit-def: $vgpr18
                                        ; implicit-def: $vgpr13
                                        ; implicit-def: $vgpr14
.LBB133_176:
	s_or_saveexec_b64 s[16:17], s[16:17]
	s_mov_b64 s[18:19], s[8:9]
                                        ; implicit-def: $vgpr11
	s_xor_b64 exec, exec, s[16:17]
	s_cbranch_execz .LBB133_186
; %bb.177:
	v_cmp_lt_i64_e32 vcc, 12, v[0:1]
	s_mov_b64 s[20:21], s[8:9]
	s_mov_b64 s[22:23], s[14:15]
                                        ; implicit-def: $vgpr10
                                        ; implicit-def: $vgpr11
	s_and_saveexec_b64 s[18:19], vcc
	s_xor_b64 s[18:19], exec, s[18:19]
	s_cbranch_execz .LBB133_183
; %bb.178:
	v_cmp_lt_i64_e32 vcc, 13, v[0:1]
	s_mov_b64 s[20:21], s[14:15]
	s_and_saveexec_b64 s[22:23], vcc
	s_xor_b64 s[22:23], exec, s[22:23]
; %bb.179:
	s_or_b64 s[20:21], s[14:15], exec
                                        ; implicit-def: $vgpr13
; %bb.180:
	s_or_saveexec_b64 s[22:23], s[22:23]
	s_mov_b64 s[24:25], s[8:9]
	s_xor_b64 exec, exec, s[22:23]
; %bb.181:
	s_or_b64 s[24:25], s[8:9], exec
                                        ; implicit-def: $vgpr14
; %bb.182:
	s_or_b64 exec, exec, s[22:23]
	s_andn2_b64 s[22:23], s[14:15], exec
	s_and_b64 s[20:21], s[20:21], exec
	s_or_b64 s[22:23], s[22:23], s[20:21]
	s_andn2_b64 s[20:21], s[8:9], exec
	s_and_b64 s[24:25], s[24:25], exec
	s_or_b64 s[20:21], s[20:21], s[24:25]
	v_mov_b32_e32 v10, v14
	v_mov_b32_e32 v11, v13
                                        ; implicit-def: $vgpr18
.LBB133_183:
	s_andn2_saveexec_b64 s[18:19], s[18:19]
; %bb.184:
	s_or_b64 s[20:21], s[20:21], exec
                                        ; implicit-def: $vgpr10
	v_mov_b32_e32 v11, v18
; %bb.185:
	s_or_b64 exec, exec, s[18:19]
	s_andn2_b64 s[14:15], s[14:15], exec
	s_and_b64 s[18:19], s[22:23], exec
	s_or_b64 s[14:15], s[14:15], s[18:19]
	s_andn2_b64 s[18:19], s[8:9], exec
	s_and_b64 s[20:21], s[20:21], exec
	s_or_b64 s[18:19], s[18:19], s[20:21]
.LBB133_186:
	s_or_b64 exec, exec, s[16:17]
	s_andn2_b64 s[6:7], s[6:7], exec
	s_and_b64 s[14:15], s[14:15], exec
	s_or_b64 s[6:7], s[6:7], s[14:15]
	s_andn2_b64 s[8:9], s[8:9], exec
	s_and_b64 s[14:15], s[18:19], exec
	s_or_b64 s[8:9], s[8:9], s[14:15]
                                        ; implicit-def: $vgpr12
.LBB133_187:
	s_or_b64 exec, exec, s[12:13]
	s_and_b64 s[6:7], s[6:7], exec
	s_and_b64 s[8:9], s[8:9], exec
	;; [unrolled: 1-line block ×3, first 2 shown]
                                        ; implicit-def: $vgpr17
                                        ; implicit-def: $vgpr15
                                        ; implicit-def: $vgpr16
                                        ; implicit-def: $vgpr25
                                        ; implicit-def: $vgpr22
                                        ; implicit-def: $vgpr19
	s_andn2_saveexec_b64 s[4:5], s[4:5]
	s_cbranch_execz .LBB133_138
.LBB133_188:
	v_cmp_lt_i64_e32 vcc, 5, v[0:1]
	s_mov_b64 s[14:15], -1
	s_mov_b64 s[12:13], s[10:11]
	s_mov_b64 s[16:17], s[8:9]
	;; [unrolled: 1-line block ×3, first 2 shown]
                                        ; implicit-def: $vgpr10
                                        ; implicit-def: $vgpr11
                                        ; implicit-def: $vgpr12
	s_and_saveexec_b64 s[0:1], vcc
	s_cbranch_execz .LBB133_204
; %bb.189:
	v_cmp_lt_i64_e32 vcc, 8, v[0:1]
	s_mov_b64 s[12:13], s[10:11]
                                        ; implicit-def: $vgpr12
	s_and_saveexec_b64 s[14:15], vcc
	s_xor_b64 s[14:15], exec, s[14:15]
	s_cbranch_execz .LBB133_199
; %bb.190:
	v_cmp_lt_i64_e32 vcc, 9, v[0:1]
	s_and_saveexec_b64 s[12:13], vcc
	s_xor_b64 s[12:13], exec, s[12:13]
	s_cbranch_execz .LBB133_196
; %bb.191:
	v_cmp_lt_i64_e32 vcc, 10, v[0:1]
	s_and_saveexec_b64 s[16:17], vcc
	s_xor_b64 s[16:17], exec, s[16:17]
; %bb.192:
                                        ; implicit-def: $vgpr22
; %bb.193:
	s_andn2_saveexec_b64 s[16:17], s[16:17]
; %bb.194:
	v_mov_b32_e32 v19, v22
; %bb.195:
	s_or_b64 exec, exec, s[16:17]
                                        ; implicit-def: $vgpr25
.LBB133_196:
	s_andn2_saveexec_b64 s[12:13], s[12:13]
; %bb.197:
	v_mov_b32_e32 v19, v25
; %bb.198:
	s_or_b64 exec, exec, s[12:13]
	s_or_b64 s[12:13], s[10:11], exec
	v_mov_b32_e32 v12, v19
                                        ; implicit-def: $vgpr17
                                        ; implicit-def: $vgpr15
                                        ; implicit-def: $vgpr16
.LBB133_199:
	s_or_saveexec_b64 s[14:15], s[14:15]
	s_mov_b64 s[16:17], s[8:9]
	s_mov_b64 s[20:21], s[6:7]
                                        ; implicit-def: $vgpr10
                                        ; implicit-def: $vgpr11
	s_xor_b64 exec, exec, s[14:15]
	s_cbranch_execz .LBB133_203
; %bb.200:
	v_cmp_lt_i64_e32 vcc, 6, v[0:1]
	s_mov_b64 s[20:21], -1
	s_mov_b64 s[18:19], s[12:13]
	s_mov_b64 s[16:17], s[8:9]
	s_and_saveexec_b64 s[22:23], vcc
; %bb.201:
	v_cmp_lt_i64_e32 vcc, 7, v[0:1]
	s_andn2_b64 s[18:19], s[12:13], exec
	s_and_b64 s[24:25], vcc, exec
	s_xor_b64 s[20:21], exec, -1
	s_or_b64 s[16:17], s[8:9], exec
	s_or_b64 s[18:19], s[18:19], s[24:25]
                                        ; implicit-def: $vgpr17
; %bb.202:
	s_or_b64 exec, exec, s[22:23]
	s_andn2_b64 s[22:23], s[6:7], exec
	s_and_b64 s[20:21], s[20:21], exec
	s_or_b64 s[20:21], s[22:23], s[20:21]
	s_andn2_b64 s[22:23], s[8:9], exec
	s_and_b64 s[16:17], s[16:17], exec
	s_andn2_b64 s[12:13], s[12:13], exec
	s_and_b64 s[18:19], s[18:19], exec
	s_or_b64 s[16:17], s[22:23], s[16:17]
	s_or_b64 s[12:13], s[12:13], s[18:19]
	v_mov_b32_e32 v10, v17
	v_mov_b32_e32 v11, v15
	;; [unrolled: 1-line block ×3, first 2 shown]
.LBB133_203:
	s_or_b64 exec, exec, s[14:15]
	s_andn2_b64 s[18:19], s[6:7], exec
	s_and_b64 s[20:21], s[20:21], exec
	s_or_b64 s[18:19], s[18:19], s[20:21]
	s_andn2_b64 s[20:21], s[8:9], exec
	s_and_b64 s[16:17], s[16:17], exec
	s_or_b64 s[16:17], s[20:21], s[16:17]
	s_andn2_b64 s[20:21], s[10:11], exec
	s_and_b64 s[12:13], s[12:13], exec
	s_xor_b64 s[14:15], exec, -1
	s_or_b64 s[12:13], s[20:21], s[12:13]
.LBB133_204:
	s_or_b64 exec, exec, s[0:1]
	s_and_b64 s[0:1], s[14:15], exec
	s_andn2_b64 s[6:7], s[6:7], exec
	s_and_b64 s[14:15], s[18:19], exec
	s_or_b64 s[6:7], s[6:7], s[14:15]
	s_andn2_b64 s[8:9], s[8:9], exec
	s_and_b64 s[14:15], s[16:17], exec
	s_andn2_b64 s[10:11], s[10:11], exec
	s_and_b64 s[12:13], s[12:13], exec
	s_or_b64 s[8:9], s[8:9], s[14:15]
	s_or_b64 s[10:11], s[10:11], s[12:13]
	s_or_b64 exec, exec, s[4:5]
	s_and_saveexec_b64 s[4:5], s[10:11]
	s_cbranch_execz .LBB133_139
.LBB133_205:
	v_mov_b32_e32 v2, 0
	s_andn2_b64 s[8:9], s[8:9], exec
	global_store_short v2, v12, s[2:3]
                                        ; implicit-def: $vgpr10
                                        ; implicit-def: $vgpr11
	s_or_b64 exec, exec, s[4:5]
	s_and_saveexec_b64 s[4:5], s[8:9]
	s_cbranch_execz .LBB133_140
.LBB133_206:
	v_mov_b32_e32 v2, 0
	global_store_short v2, v11, s[2:3]
                                        ; implicit-def: $vgpr10
	s_or_b64 exec, exec, s[4:5]
	s_and_saveexec_b64 s[4:5], s[6:7]
	s_xor_b64 s[4:5], exec, s[4:5]
	s_cbranch_execz .LBB133_141
.LBB133_207:
	v_mov_b32_e32 v2, 0
	global_store_short v2, v10, s[2:3]
	s_or_b64 exec, exec, s[4:5]
	s_and_b64 exec, exec, s[0:1]
	s_cbranch_execz .LBB133_142
.LBB133_208:
	v_cmp_lt_i64_e32 vcc, 2, v[0:1]
	s_and_saveexec_b64 s[0:1], vcc
	s_xor_b64 s[0:1], exec, s[0:1]
	s_cbranch_execz .LBB133_218
; %bb.209:
	v_cmp_lt_i64_e32 vcc, 3, v[0:1]
	s_and_saveexec_b64 s[4:5], vcc
	s_xor_b64 s[4:5], exec, s[4:5]
	s_cbranch_execz .LBB133_215
; %bb.210:
	;; [unrolled: 5-line block ×3, first 2 shown]
	v_mov_b32_e32 v0, 0
	global_store_short v0, v9, s[2:3]
                                        ; implicit-def: $vgpr6
.LBB133_212:
	s_andn2_saveexec_b64 s[6:7], s[6:7]
	s_cbranch_execz .LBB133_214
; %bb.213:
	v_mov_b32_e32 v0, 0
	global_store_short v0, v6, s[2:3]
.LBB133_214:
	s_or_b64 exec, exec, s[6:7]
                                        ; implicit-def: $vgpr8
.LBB133_215:
	s_andn2_saveexec_b64 s[4:5], s[4:5]
	s_cbranch_execz .LBB133_217
; %bb.216:
	v_mov_b32_e32 v0, 0
	global_store_short v0, v8, s[2:3]
.LBB133_217:
	s_or_b64 exec, exec, s[4:5]
                                        ; implicit-def: $vgpr0_vgpr1
                                        ; implicit-def: $vgpr7
                                        ; implicit-def: $vgpr4
                                        ; implicit-def: $vgpr5
.LBB133_218:
	s_andn2_saveexec_b64 s[0:1], s[0:1]
	s_cbranch_execz .LBB133_142
; %bb.219:
	v_cmp_lt_i64_e32 vcc, 1, v[0:1]
	s_and_saveexec_b64 s[0:1], vcc
	s_xor_b64 s[0:1], exec, s[0:1]
	s_cbranch_execz .LBB133_221
; %bb.220:
	v_mov_b32_e32 v0, 0
	global_store_short v0, v7, s[2:3]
                                        ; implicit-def: $vgpr4
                                        ; implicit-def: $vgpr0_vgpr1
                                        ; implicit-def: $vgpr5
.LBB133_221:
	s_andn2_saveexec_b64 s[0:1], s[0:1]
	s_cbranch_execz .LBB133_142
; %bb.222:
	v_cmp_ne_u64_e32 vcc, 1, v[0:1]
	s_and_saveexec_b64 s[0:1], vcc
	s_xor_b64 s[0:1], exec, s[0:1]
	s_cbranch_execz .LBB133_224
; %bb.223:
	v_mov_b32_e32 v0, 0
	global_store_short v0, v5, s[2:3]
                                        ; implicit-def: $vgpr4
.LBB133_224:
	s_andn2_saveexec_b64 s[0:1], s[0:1]
	s_cbranch_execz .LBB133_142
; %bb.225:
	v_mov_b32_e32 v0, 0
	global_store_short v0, v4, s[2:3]
	s_endpgm
	.section	.rodata,"a",@progbits
	.p2align	6, 0x0
	.amdhsa_kernel _ZN7rocprim6detail20lookback_scan_kernelILNS0_25lookback_scan_determinismE0ELb1ENS0_19wrapped_scan_configINS_14default_configE6__halfEEN6hipcub22TransformInputIteratorIS5_NS7_6CastOpIS5_EEPS5_lEESB_NS7_3MaxENS_12future_valueIS5_SB_EES5_NS0_19lookback_scan_stateIS5_Lb0ELb1EEEEEvT2_T3_mT5_T4_T7_jPT6_SO_bb
		.amdhsa_group_segment_fixed_size 3072
		.amdhsa_private_segment_fixed_size 0
		.amdhsa_kernarg_size 84
		.amdhsa_user_sgpr_count 6
		.amdhsa_user_sgpr_private_segment_buffer 1
		.amdhsa_user_sgpr_dispatch_ptr 0
		.amdhsa_user_sgpr_queue_ptr 0
		.amdhsa_user_sgpr_kernarg_segment_ptr 1
		.amdhsa_user_sgpr_dispatch_id 0
		.amdhsa_user_sgpr_flat_scratch_init 0
		.amdhsa_user_sgpr_kernarg_preload_length 0
		.amdhsa_user_sgpr_kernarg_preload_offset 0
		.amdhsa_user_sgpr_private_segment_size 0
		.amdhsa_uses_dynamic_stack 0
		.amdhsa_system_sgpr_private_segment_wavefront_offset 0
		.amdhsa_system_sgpr_workgroup_id_x 1
		.amdhsa_system_sgpr_workgroup_id_y 0
		.amdhsa_system_sgpr_workgroup_id_z 0
		.amdhsa_system_sgpr_workgroup_info 0
		.amdhsa_system_vgpr_workitem_id 0
		.amdhsa_next_free_vgpr 57
		.amdhsa_next_free_sgpr 32
		.amdhsa_accum_offset 60
		.amdhsa_reserve_vcc 1
		.amdhsa_reserve_flat_scratch 0
		.amdhsa_float_round_mode_32 0
		.amdhsa_float_round_mode_16_64 0
		.amdhsa_float_denorm_mode_32 3
		.amdhsa_float_denorm_mode_16_64 3
		.amdhsa_dx10_clamp 1
		.amdhsa_ieee_mode 1
		.amdhsa_fp16_overflow 0
		.amdhsa_tg_split 0
		.amdhsa_exception_fp_ieee_invalid_op 0
		.amdhsa_exception_fp_denorm_src 0
		.amdhsa_exception_fp_ieee_div_zero 0
		.amdhsa_exception_fp_ieee_overflow 0
		.amdhsa_exception_fp_ieee_underflow 0
		.amdhsa_exception_fp_ieee_inexact 0
		.amdhsa_exception_int_div_zero 0
	.end_amdhsa_kernel
	.section	.text._ZN7rocprim6detail20lookback_scan_kernelILNS0_25lookback_scan_determinismE0ELb1ENS0_19wrapped_scan_configINS_14default_configE6__halfEEN6hipcub22TransformInputIteratorIS5_NS7_6CastOpIS5_EEPS5_lEESB_NS7_3MaxENS_12future_valueIS5_SB_EES5_NS0_19lookback_scan_stateIS5_Lb0ELb1EEEEEvT2_T3_mT5_T4_T7_jPT6_SO_bb,"axG",@progbits,_ZN7rocprim6detail20lookback_scan_kernelILNS0_25lookback_scan_determinismE0ELb1ENS0_19wrapped_scan_configINS_14default_configE6__halfEEN6hipcub22TransformInputIteratorIS5_NS7_6CastOpIS5_EEPS5_lEESB_NS7_3MaxENS_12future_valueIS5_SB_EES5_NS0_19lookback_scan_stateIS5_Lb0ELb1EEEEEvT2_T3_mT5_T4_T7_jPT6_SO_bb,comdat
.Lfunc_end133:
	.size	_ZN7rocprim6detail20lookback_scan_kernelILNS0_25lookback_scan_determinismE0ELb1ENS0_19wrapped_scan_configINS_14default_configE6__halfEEN6hipcub22TransformInputIteratorIS5_NS7_6CastOpIS5_EEPS5_lEESB_NS7_3MaxENS_12future_valueIS5_SB_EES5_NS0_19lookback_scan_stateIS5_Lb0ELb1EEEEEvT2_T3_mT5_T4_T7_jPT6_SO_bb, .Lfunc_end133-_ZN7rocprim6detail20lookback_scan_kernelILNS0_25lookback_scan_determinismE0ELb1ENS0_19wrapped_scan_configINS_14default_configE6__halfEEN6hipcub22TransformInputIteratorIS5_NS7_6CastOpIS5_EEPS5_lEESB_NS7_3MaxENS_12future_valueIS5_SB_EES5_NS0_19lookback_scan_stateIS5_Lb0ELb1EEEEEvT2_T3_mT5_T4_T7_jPT6_SO_bb
                                        ; -- End function
	.section	.AMDGPU.csdata,"",@progbits
; Kernel info:
; codeLenInByte = 8572
; NumSgprs: 36
; NumVgprs: 57
; NumAgprs: 0
; TotalNumVgprs: 57
; ScratchSize: 0
; MemoryBound: 0
; FloatMode: 240
; IeeeMode: 1
; LDSByteSize: 3072 bytes/workgroup (compile time only)
; SGPRBlocks: 4
; VGPRBlocks: 7
; NumSGPRsForWavesPerEU: 36
; NumVGPRsForWavesPerEU: 57
; AccumOffset: 60
; Occupancy: 6
; WaveLimiterHint : 1
; COMPUTE_PGM_RSRC2:SCRATCH_EN: 0
; COMPUTE_PGM_RSRC2:USER_SGPR: 6
; COMPUTE_PGM_RSRC2:TRAP_HANDLER: 0
; COMPUTE_PGM_RSRC2:TGID_X_EN: 1
; COMPUTE_PGM_RSRC2:TGID_Y_EN: 0
; COMPUTE_PGM_RSRC2:TGID_Z_EN: 0
; COMPUTE_PGM_RSRC2:TIDIG_COMP_CNT: 0
; COMPUTE_PGM_RSRC3_GFX90A:ACCUM_OFFSET: 14
; COMPUTE_PGM_RSRC3_GFX90A:TG_SPLIT: 0
	.section	.text._ZN7rocprim6detail18single_scan_kernelILb1ENS0_19wrapped_scan_configINS_14default_configE6__halfEEN6hipcub22TransformInputIteratorIS4_NS6_6CastOpIS4_EEPS4_lEESA_NS6_3MaxENS_12future_valueIS4_SA_EES4_EEvT1_mT4_T2_T3_,"axG",@progbits,_ZN7rocprim6detail18single_scan_kernelILb1ENS0_19wrapped_scan_configINS_14default_configE6__halfEEN6hipcub22TransformInputIteratorIS4_NS6_6CastOpIS4_EEPS4_lEESA_NS6_3MaxENS_12future_valueIS4_SA_EES4_EEvT1_mT4_T2_T3_,comdat
	.protected	_ZN7rocprim6detail18single_scan_kernelILb1ENS0_19wrapped_scan_configINS_14default_configE6__halfEEN6hipcub22TransformInputIteratorIS4_NS6_6CastOpIS4_EEPS4_lEESA_NS6_3MaxENS_12future_valueIS4_SA_EES4_EEvT1_mT4_T2_T3_ ; -- Begin function _ZN7rocprim6detail18single_scan_kernelILb1ENS0_19wrapped_scan_configINS_14default_configE6__halfEEN6hipcub22TransformInputIteratorIS4_NS6_6CastOpIS4_EEPS4_lEESA_NS6_3MaxENS_12future_valueIS4_SA_EES4_EEvT1_mT4_T2_T3_
	.globl	_ZN7rocprim6detail18single_scan_kernelILb1ENS0_19wrapped_scan_configINS_14default_configE6__halfEEN6hipcub22TransformInputIteratorIS4_NS6_6CastOpIS4_EEPS4_lEESA_NS6_3MaxENS_12future_valueIS4_SA_EES4_EEvT1_mT4_T2_T3_
	.p2align	8
	.type	_ZN7rocprim6detail18single_scan_kernelILb1ENS0_19wrapped_scan_configINS_14default_configE6__halfEEN6hipcub22TransformInputIteratorIS4_NS6_6CastOpIS4_EEPS4_lEESA_NS6_3MaxENS_12future_valueIS4_SA_EES4_EEvT1_mT4_T2_T3_,@function
_ZN7rocprim6detail18single_scan_kernelILb1ENS0_19wrapped_scan_configINS_14default_configE6__halfEEN6hipcub22TransformInputIteratorIS4_NS6_6CastOpIS4_EEPS4_lEESA_NS6_3MaxENS_12future_valueIS4_SA_EES4_EEvT1_mT4_T2_T3_: ; @_ZN7rocprim6detail18single_scan_kernelILb1ENS0_19wrapped_scan_configINS_14default_configE6__halfEEN6hipcub22TransformInputIteratorIS4_NS6_6CastOpIS4_EEPS4_lEESA_NS6_3MaxENS_12future_valueIS4_SA_EES4_EEvT1_mT4_T2_T3_
; %bb.0:
	s_load_dwordx2 s[0:1], s[4:5], 0x0
	s_load_dwordx4 s[52:55], s[4:5], 0x10
	v_mov_b32_e32 v2, 0
	v_lshlrev_b32_e32 v14, 1, v0
	s_waitcnt lgkmcnt(0)
	global_load_ushort v4, v2, s[0:1]
	global_load_ushort v1, v2, s[54:55]
	v_mov_b32_e32 v3, s1
	v_add_co_u32_e32 v2, vcc, s0, v14
	v_addc_co_u32_e32 v3, vcc, 0, v3, vcc
	v_cmp_gt_u32_e32 vcc, s52, v0
	s_waitcnt vmcnt(1)
	v_mov_b32_e32 v5, v4
	s_and_saveexec_b64 s[0:1], vcc
	s_cbranch_execz .LBB134_2
; %bb.1:
	global_load_ushort v5, v[2:3], off
.LBB134_2:
	s_or_b64 exec, exec, s[0:1]
	v_or_b32_e32 v6, 64, v0
	v_cmp_gt_u32_e64 s[0:1], s52, v6
	v_mov_b32_e32 v6, v4
	s_and_saveexec_b64 s[2:3], s[0:1]
	s_cbranch_execz .LBB134_4
; %bb.3:
	global_load_ushort v6, v[2:3], off offset:128
.LBB134_4:
	s_or_b64 exec, exec, s[2:3]
	v_or_b32_e32 v7, 0x80, v0
	v_cmp_gt_u32_e64 s[2:3], s52, v7
	v_mov_b32_e32 v7, v4
	s_and_saveexec_b64 s[6:7], s[2:3]
	s_cbranch_execz .LBB134_6
; %bb.5:
	global_load_ushort v7, v[2:3], off offset:256
.LBB134_6:
	;; [unrolled: 9-line block ×21, first 2 shown]
	s_or_b64 exec, exec, s[44:45]
	s_load_dwordx2 s[54:55], s[4:5], 0x20
	v_or_b32_e32 v28, 0x580, v0
	v_cmp_gt_u32_e64 s[44:45], s52, v28
	v_mov_b32_e32 v28, v4
	s_and_saveexec_b64 s[4:5], s[44:45]
	s_cbranch_execz .LBB134_46
; %bb.45:
	global_load_ushort v28, v[2:3], off offset:2816
.LBB134_46:
	s_or_b64 exec, exec, s[4:5]
	v_or_b32_e32 v29, 0x5c0, v0
	v_cmp_gt_u32_e64 s[46:47], s52, v29
	s_and_saveexec_b64 s[4:5], s[46:47]
	s_cbranch_execz .LBB134_48
; %bb.47:
	global_load_ushort v4, v[2:3], off offset:2944
.LBB134_48:
	s_or_b64 exec, exec, s[4:5]
	s_waitcnt vmcnt(0)
	ds_write_b16 v14, v5
	ds_write_b16 v14, v6 offset:128
	ds_write_b16 v14, v7 offset:256
	ds_write_b16 v14, v8 offset:384
	ds_write_b16 v14, v9 offset:512
	ds_write_b16 v14, v10 offset:640
	ds_write_b16 v14, v11 offset:768
	ds_write_b16 v14, v12 offset:896
	ds_write_b16 v14, v13 offset:1024
	ds_write_b16 v14, v15 offset:1152
	ds_write_b16 v14, v16 offset:1280
	ds_write_b16 v14, v17 offset:1408
	ds_write_b16 v14, v18 offset:1536
	ds_write_b16 v14, v19 offset:1664
	ds_write_b16 v14, v20 offset:1792
	ds_write_b16 v14, v21 offset:1920
	ds_write_b16 v14, v22 offset:2048
	ds_write_b16 v14, v23 offset:2176
	ds_write_b16 v14, v24 offset:2304
	ds_write_b16 v14, v25 offset:2432
	ds_write_b16 v14, v26 offset:2560
	ds_write_b16 v14, v27 offset:2688
	ds_write_b16 v14, v28 offset:2816
	ds_write_b16 v14, v4 offset:2944
	v_mad_u32_u24 v15, v0, 46, v14
	s_waitcnt lgkmcnt(0)
	; wave barrier
	s_waitcnt lgkmcnt(0)
	ds_read_b128 v[10:13], v15
	ds_read_b128 v[6:9], v15 offset:16
	ds_read_b128 v[2:5], v15 offset:32
	s_waitcnt lgkmcnt(0)
	; wave barrier
	s_waitcnt lgkmcnt(0)
	v_lshrrev_b32_e32 v26, 16, v10
	v_cmp_lt_f16_e64 s[4:5], v10, v26
	v_cndmask_b32_e64 v28, v10, v26, s[4:5]
	v_cmp_lt_f16_e64 s[4:5], v28, v11
	v_lshrrev_b32_e32 v25, 16, v11
	v_cndmask_b32_e64 v28, v28, v11, s[4:5]
	v_cmp_lt_f16_e64 s[4:5], v28, v25
	v_cndmask_b32_e64 v28, v28, v25, s[4:5]
	v_cmp_lt_f16_e64 s[4:5], v28, v12
	v_lshrrev_b32_e32 v24, 16, v12
	v_cndmask_b32_e64 v28, v28, v12, s[4:5]
	v_cmp_lt_f16_e64 s[4:5], v28, v24
	v_cndmask_b32_e64 v28, v28, v24, s[4:5]
	v_cmp_lt_f16_e64 s[4:5], v28, v13
	v_lshrrev_b32_e32 v23, 16, v13
	v_cndmask_b32_e64 v28, v28, v13, s[4:5]
	v_cmp_lt_f16_e64 s[4:5], v28, v23
	v_cndmask_b32_e64 v28, v28, v23, s[4:5]
	v_cmp_lt_f16_e64 s[4:5], v28, v6
	v_lshrrev_b32_e32 v22, 16, v6
	v_cndmask_b32_e64 v28, v28, v6, s[4:5]
	v_cmp_lt_f16_e64 s[4:5], v28, v22
	v_cndmask_b32_e64 v28, v28, v22, s[4:5]
	v_cmp_lt_f16_e64 s[4:5], v28, v7
	v_lshrrev_b32_e32 v21, 16, v7
	v_cndmask_b32_e64 v28, v28, v7, s[4:5]
	v_cmp_lt_f16_e64 s[4:5], v28, v21
	v_cndmask_b32_e64 v28, v28, v21, s[4:5]
	v_cmp_lt_f16_e64 s[4:5], v28, v8
	v_lshrrev_b32_e32 v20, 16, v8
	v_cndmask_b32_e64 v28, v28, v8, s[4:5]
	v_cmp_lt_f16_e64 s[4:5], v28, v20
	v_cndmask_b32_e64 v28, v28, v20, s[4:5]
	v_cmp_lt_f16_e64 s[4:5], v28, v9
	v_lshrrev_b32_e32 v19, 16, v9
	v_cndmask_b32_e64 v28, v28, v9, s[4:5]
	v_cmp_lt_f16_e64 s[4:5], v28, v19
	v_cndmask_b32_e64 v28, v28, v19, s[4:5]
	v_cmp_lt_f16_e64 s[4:5], v28, v2
	v_lshrrev_b32_e32 v18, 16, v2
	v_cndmask_b32_e64 v28, v28, v2, s[4:5]
	v_cmp_lt_f16_e64 s[4:5], v28, v18
	v_cndmask_b32_e64 v28, v28, v18, s[4:5]
	v_cmp_lt_f16_e64 s[4:5], v28, v3
	v_lshrrev_b32_e32 v17, 16, v3
	v_cndmask_b32_e64 v28, v28, v3, s[4:5]
	v_cmp_lt_f16_e64 s[4:5], v28, v17
	v_cndmask_b32_e64 v28, v28, v17, s[4:5]
	v_cmp_lt_f16_e64 s[4:5], v28, v4
	v_lshrrev_b32_e32 v16, 16, v4
	v_cndmask_b32_e64 v28, v28, v4, s[4:5]
	v_cmp_lt_f16_e64 s[4:5], v28, v16
	v_cndmask_b32_e64 v28, v28, v16, s[4:5]
	v_cmp_lt_f16_e64 s[4:5], v28, v5
	v_lshrrev_b32_e32 v27, 16, v5
	v_cndmask_b32_e64 v28, v28, v5, s[4:5]
	v_cmp_lt_f16_e64 s[4:5], v28, v27
	v_cndmask_b32_e64 v28, v28, v27, s[4:5]
	v_mbcnt_lo_u32_b32 v27, -1, 0
	v_mbcnt_hi_u32_b32 v27, -1, v27
	v_and_b32_e32 v30, 0xffff, v28
	v_and_b32_e32 v29, 15, v27
	v_cmp_eq_u32_e64 s[4:5], 0, v29
	v_mov_b32_dpp v30, v30 row_shr:1 row_mask:0xf bank_mask:0xf
	v_cmp_gt_f16_e64 s[50:51], v28, v30
	s_or_b64 s[4:5], s[4:5], s[50:51]
	v_cndmask_b32_e64 v28, v30, v28, s[4:5]
	v_and_b32_e32 v30, 0xffff, v28
	s_nop 1
	v_mov_b32_dpp v30, v30 row_shr:2 row_mask:0xf bank_mask:0xf
	v_cmp_gt_f16_e64 s[4:5], v28, v30
	v_cndmask_b32_e64 v30, v30, v28, s[4:5]
	v_cmp_lt_u32_e64 s[4:5], 1, v29
	v_cndmask_b32_e64 v28, v28, v30, s[4:5]
	v_and_b32_e32 v30, 0xffff, v28
	s_nop 1
	v_mov_b32_dpp v30, v30 row_shr:4 row_mask:0xf bank_mask:0xf
	v_cmp_gt_f16_e64 s[4:5], v28, v30
	v_cndmask_b32_e64 v30, v30, v28, s[4:5]
	v_cmp_lt_u32_e64 s[4:5], 3, v29
	;; [unrolled: 7-line block ×3, first 2 shown]
	v_cndmask_b32_e64 v28, v28, v30, s[4:5]
	v_and_b32_e32 v29, 0xffff, v28
	v_and_b32_e32 v30, 16, v27
	v_cmp_eq_u32_e64 s[4:5], 0, v30
	v_mov_b32_dpp v29, v29 row_bcast:15 row_mask:0xf bank_mask:0xf
	v_cmp_gt_f16_e64 s[50:51], v28, v29
	s_or_b64 s[4:5], s[4:5], s[50:51]
	v_cndmask_b32_e64 v28, v29, v28, s[4:5]
	v_and_b32_e32 v29, 0xffff, v28
	s_nop 1
	v_mov_b32_dpp v29, v29 row_bcast:31 row_mask:0xf bank_mask:0xf
	v_cmp_gt_f16_e64 s[4:5], v28, v29
	v_cndmask_b32_e64 v29, v29, v28, s[4:5]
	v_cmp_lt_u32_e64 s[4:5], 31, v27
	v_cndmask_b32_e64 v28, v28, v29, s[4:5]
	v_cmp_eq_u32_e64 s[4:5], 63, v0
	s_and_saveexec_b64 s[50:51], s[4:5]
	s_cbranch_execz .LBB134_50
; %bb.49:
	v_mov_b32_e32 v29, 0
	ds_write_b16 v29, v28
.LBB134_50:
	s_or_b64 exec, exec, s[50:51]
	v_cmp_gt_f16_e64 s[4:5], v28, v1
	v_add_u32_e32 v29, -1, v27
	v_and_b32_e32 v30, 64, v27
	v_cndmask_b32_e64 v28, v1, v28, s[4:5]
	v_cmp_lt_i32_e64 s[4:5], v29, v30
	v_cndmask_b32_e64 v29, v29, v27, s[4:5]
	v_and_b32_e32 v28, 0xffff, v28
	v_lshlrev_b32_e32 v29, 2, v29
	ds_bpermute_b32 v28, v29, v28
	v_cmp_eq_u32_e64 s[4:5], 0, v27
	s_waitcnt lgkmcnt(0)
	; wave barrier
	s_waitcnt lgkmcnt(0)
	v_cndmask_b32_e64 v27, v28, v1, s[4:5]
	v_cmp_eq_u32_e64 s[4:5], 0, v0
	v_cndmask_b32_e64 v1, v27, v1, s[4:5]
	v_cmp_lt_f16_e64 s[4:5], v1, v10
	v_cndmask_b32_e64 v10, v1, v10, s[4:5]
	v_cmp_lt_f16_e64 s[4:5], v10, v26
	;; [unrolled: 2-line block ×23, first 2 shown]
	v_cndmask_b32_e64 v30, v16, v5, s[4:5]
	s_mov_b32 s4, 0x5040100
	v_perm_b32 v5, v13, v24, s4
	v_perm_b32 v4, v12, v25, s4
	;; [unrolled: 1-line block ×4, first 2 shown]
	; wave barrier
	ds_write_b128 v15, v[2:5]
	v_perm_b32 v5, v9, v20, s4
	v_perm_b32 v4, v8, v21, s4
	;; [unrolled: 1-line block ×4, first 2 shown]
	ds_write_b128 v15, v[2:5] offset:16
	v_perm_b32 v5, v30, v16, s4
	v_perm_b32 v4, v29, v17, s4
	;; [unrolled: 1-line block ×4, first 2 shown]
	s_movk_i32 s4, 0xffd2
	v_mad_i32_i24 v0, v0, s4, v15
	ds_write_b128 v15, v[2:5] offset:32
	s_waitcnt lgkmcnt(0)
	; wave barrier
	s_waitcnt lgkmcnt(0)
	ds_read_u16 v24, v0 offset:256
	ds_read_u16 v23, v0 offset:384
	;; [unrolled: 1-line block ×23, first 2 shown]
	v_mov_b32_e32 v1, s55
	v_add_co_u32_e64 v0, s[4:5], s54, v14
	v_addc_co_u32_e64 v1, s[4:5], 0, v1, s[4:5]
	s_and_saveexec_b64 s[4:5], vcc
	s_cbranch_execnz .LBB134_75
; %bb.51:
	s_or_b64 exec, exec, s[4:5]
	s_and_saveexec_b64 s[4:5], s[0:1]
	s_cbranch_execnz .LBB134_76
.LBB134_52:
	s_or_b64 exec, exec, s[4:5]
	s_and_saveexec_b64 s[0:1], s[2:3]
	s_cbranch_execnz .LBB134_77
.LBB134_53:
	s_or_b64 exec, exec, s[0:1]
	s_and_saveexec_b64 s[0:1], s[48:49]
	s_cbranch_execnz .LBB134_78
.LBB134_54:
	s_or_b64 exec, exec, s[0:1]
	s_and_saveexec_b64 s[0:1], s[6:7]
	s_cbranch_execnz .LBB134_79
.LBB134_55:
	s_or_b64 exec, exec, s[0:1]
	s_and_saveexec_b64 s[0:1], s[8:9]
	s_cbranch_execnz .LBB134_80
.LBB134_56:
	s_or_b64 exec, exec, s[0:1]
	s_and_saveexec_b64 s[0:1], s[10:11]
	s_cbranch_execnz .LBB134_81
.LBB134_57:
	s_or_b64 exec, exec, s[0:1]
	s_and_saveexec_b64 s[0:1], s[12:13]
	s_cbranch_execnz .LBB134_82
.LBB134_58:
	s_or_b64 exec, exec, s[0:1]
	s_and_saveexec_b64 s[0:1], s[14:15]
	s_cbranch_execnz .LBB134_83
.LBB134_59:
	s_or_b64 exec, exec, s[0:1]
	s_and_saveexec_b64 s[0:1], s[16:17]
	s_cbranch_execnz .LBB134_84
.LBB134_60:
	s_or_b64 exec, exec, s[0:1]
	s_and_saveexec_b64 s[0:1], s[18:19]
	s_cbranch_execnz .LBB134_85
.LBB134_61:
	s_or_b64 exec, exec, s[0:1]
	s_and_saveexec_b64 s[0:1], s[20:21]
	s_cbranch_execnz .LBB134_86
.LBB134_62:
	s_or_b64 exec, exec, s[0:1]
	s_and_saveexec_b64 s[0:1], s[22:23]
	s_cbranch_execnz .LBB134_87
.LBB134_63:
	s_or_b64 exec, exec, s[0:1]
	s_and_saveexec_b64 s[0:1], s[24:25]
	s_cbranch_execnz .LBB134_88
.LBB134_64:
	s_or_b64 exec, exec, s[0:1]
	s_and_saveexec_b64 s[0:1], s[26:27]
	s_cbranch_execnz .LBB134_89
.LBB134_65:
	s_or_b64 exec, exec, s[0:1]
	s_and_saveexec_b64 s[0:1], s[28:29]
	s_cbranch_execnz .LBB134_90
.LBB134_66:
	s_or_b64 exec, exec, s[0:1]
	s_and_saveexec_b64 s[0:1], s[30:31]
	s_cbranch_execnz .LBB134_91
.LBB134_67:
	s_or_b64 exec, exec, s[0:1]
	s_and_saveexec_b64 s[0:1], s[34:35]
	s_cbranch_execnz .LBB134_92
.LBB134_68:
	s_or_b64 exec, exec, s[0:1]
	s_and_saveexec_b64 s[0:1], s[36:37]
	s_cbranch_execnz .LBB134_93
.LBB134_69:
	s_or_b64 exec, exec, s[0:1]
	s_and_saveexec_b64 s[0:1], s[38:39]
	s_cbranch_execnz .LBB134_94
.LBB134_70:
	s_or_b64 exec, exec, s[0:1]
	s_and_saveexec_b64 s[0:1], s[40:41]
	s_cbranch_execnz .LBB134_95
.LBB134_71:
	s_or_b64 exec, exec, s[0:1]
	s_and_saveexec_b64 s[0:1], s[42:43]
	s_cbranch_execnz .LBB134_96
.LBB134_72:
	s_or_b64 exec, exec, s[0:1]
	s_and_saveexec_b64 s[0:1], s[44:45]
	s_cbranch_execnz .LBB134_97
.LBB134_73:
	s_or_b64 exec, exec, s[0:1]
	s_and_saveexec_b64 s[0:1], s[46:47]
	s_cbranch_execnz .LBB134_98
.LBB134_74:
	s_endpgm
.LBB134_75:
	ds_read_u16 v14, v14
	s_waitcnt lgkmcnt(0)
	global_store_short v[0:1], v14, off
	s_or_b64 exec, exec, s[4:5]
	s_and_saveexec_b64 s[4:5], s[0:1]
	s_cbranch_execz .LBB134_52
.LBB134_76:
	s_waitcnt lgkmcnt(8)
	global_store_short v[0:1], v25, off offset:128
	s_or_b64 exec, exec, s[4:5]
	s_and_saveexec_b64 s[0:1], s[2:3]
	s_cbranch_execz .LBB134_53
.LBB134_77:
	s_waitcnt lgkmcnt(14)
	global_store_short v[0:1], v24, off offset:256
	s_or_b64 exec, exec, s[0:1]
	s_and_saveexec_b64 s[0:1], s[48:49]
	s_cbranch_execz .LBB134_54
.LBB134_78:
	s_waitcnt lgkmcnt(14)
	global_store_short v[0:1], v23, off offset:384
	s_or_b64 exec, exec, s[0:1]
	s_and_saveexec_b64 s[0:1], s[6:7]
	s_cbranch_execz .LBB134_55
.LBB134_79:
	s_waitcnt lgkmcnt(14)
	global_store_short v[0:1], v22, off offset:512
	s_or_b64 exec, exec, s[0:1]
	s_and_saveexec_b64 s[0:1], s[8:9]
	s_cbranch_execz .LBB134_56
.LBB134_80:
	s_waitcnt lgkmcnt(14)
	global_store_short v[0:1], v21, off offset:640
	s_or_b64 exec, exec, s[0:1]
	s_and_saveexec_b64 s[0:1], s[10:11]
	s_cbranch_execz .LBB134_57
.LBB134_81:
	s_waitcnt lgkmcnt(14)
	global_store_short v[0:1], v20, off offset:768
	s_or_b64 exec, exec, s[0:1]
	s_and_saveexec_b64 s[0:1], s[12:13]
	s_cbranch_execz .LBB134_58
.LBB134_82:
	s_waitcnt lgkmcnt(14)
	global_store_short v[0:1], v19, off offset:896
	s_or_b64 exec, exec, s[0:1]
	s_and_saveexec_b64 s[0:1], s[14:15]
	s_cbranch_execz .LBB134_59
.LBB134_83:
	s_waitcnt lgkmcnt(14)
	global_store_short v[0:1], v18, off offset:1024
	s_or_b64 exec, exec, s[0:1]
	s_and_saveexec_b64 s[0:1], s[16:17]
	s_cbranch_execz .LBB134_60
.LBB134_84:
	s_waitcnt lgkmcnt(14)
	global_store_short v[0:1], v17, off offset:1152
	s_or_b64 exec, exec, s[0:1]
	s_and_saveexec_b64 s[0:1], s[18:19]
	s_cbranch_execz .LBB134_61
.LBB134_85:
	s_waitcnt lgkmcnt(14)
	global_store_short v[0:1], v16, off offset:1280
	s_or_b64 exec, exec, s[0:1]
	s_and_saveexec_b64 s[0:1], s[20:21]
	s_cbranch_execz .LBB134_62
.LBB134_86:
	s_waitcnt lgkmcnt(13)
	global_store_short v[0:1], v15, off offset:1408
	s_or_b64 exec, exec, s[0:1]
	s_and_saveexec_b64 s[0:1], s[22:23]
	s_cbranch_execz .LBB134_63
.LBB134_87:
	s_waitcnt lgkmcnt(12)
	global_store_short v[0:1], v13, off offset:1536
	s_or_b64 exec, exec, s[0:1]
	s_and_saveexec_b64 s[0:1], s[24:25]
	s_cbranch_execz .LBB134_64
.LBB134_88:
	s_waitcnt lgkmcnt(11)
	global_store_short v[0:1], v12, off offset:1664
	s_or_b64 exec, exec, s[0:1]
	s_and_saveexec_b64 s[0:1], s[26:27]
	s_cbranch_execz .LBB134_65
.LBB134_89:
	s_waitcnt lgkmcnt(10)
	global_store_short v[0:1], v11, off offset:1792
	s_or_b64 exec, exec, s[0:1]
	s_and_saveexec_b64 s[0:1], s[28:29]
	s_cbranch_execz .LBB134_66
.LBB134_90:
	s_waitcnt lgkmcnt(9)
	global_store_short v[0:1], v10, off offset:1920
	s_or_b64 exec, exec, s[0:1]
	s_and_saveexec_b64 s[0:1], s[30:31]
	s_cbranch_execz .LBB134_67
.LBB134_91:
	s_waitcnt lgkmcnt(7)
	global_store_short v[0:1], v9, off offset:2048
	s_or_b64 exec, exec, s[0:1]
	s_and_saveexec_b64 s[0:1], s[34:35]
	s_cbranch_execz .LBB134_68
.LBB134_92:
	s_waitcnt lgkmcnt(6)
	global_store_short v[0:1], v8, off offset:2176
	s_or_b64 exec, exec, s[0:1]
	s_and_saveexec_b64 s[0:1], s[36:37]
	s_cbranch_execz .LBB134_69
.LBB134_93:
	s_waitcnt lgkmcnt(5)
	global_store_short v[0:1], v7, off offset:2304
	s_or_b64 exec, exec, s[0:1]
	s_and_saveexec_b64 s[0:1], s[38:39]
	s_cbranch_execz .LBB134_70
.LBB134_94:
	s_waitcnt lgkmcnt(4)
	global_store_short v[0:1], v6, off offset:2432
	s_or_b64 exec, exec, s[0:1]
	s_and_saveexec_b64 s[0:1], s[40:41]
	s_cbranch_execz .LBB134_71
.LBB134_95:
	s_waitcnt lgkmcnt(3)
	global_store_short v[0:1], v5, off offset:2560
	s_or_b64 exec, exec, s[0:1]
	s_and_saveexec_b64 s[0:1], s[42:43]
	s_cbranch_execz .LBB134_72
.LBB134_96:
	s_waitcnt lgkmcnt(2)
	global_store_short v[0:1], v4, off offset:2688
	s_or_b64 exec, exec, s[0:1]
	s_and_saveexec_b64 s[0:1], s[44:45]
	s_cbranch_execz .LBB134_73
.LBB134_97:
	s_waitcnt lgkmcnt(1)
	global_store_short v[0:1], v3, off offset:2816
	s_or_b64 exec, exec, s[0:1]
	s_and_saveexec_b64 s[0:1], s[46:47]
	s_cbranch_execz .LBB134_74
.LBB134_98:
	s_waitcnt lgkmcnt(0)
	global_store_short v[0:1], v2, off offset:2944
	s_endpgm
	.section	.rodata,"a",@progbits
	.p2align	6, 0x0
	.amdhsa_kernel _ZN7rocprim6detail18single_scan_kernelILb1ENS0_19wrapped_scan_configINS_14default_configE6__halfEEN6hipcub22TransformInputIteratorIS4_NS6_6CastOpIS4_EEPS4_lEESA_NS6_3MaxENS_12future_valueIS4_SA_EES4_EEvT1_mT4_T2_T3_
		.amdhsa_group_segment_fixed_size 3072
		.amdhsa_private_segment_fixed_size 0
		.amdhsa_kernarg_size 44
		.amdhsa_user_sgpr_count 6
		.amdhsa_user_sgpr_private_segment_buffer 1
		.amdhsa_user_sgpr_dispatch_ptr 0
		.amdhsa_user_sgpr_queue_ptr 0
		.amdhsa_user_sgpr_kernarg_segment_ptr 1
		.amdhsa_user_sgpr_dispatch_id 0
		.amdhsa_user_sgpr_flat_scratch_init 0
		.amdhsa_user_sgpr_kernarg_preload_length 0
		.amdhsa_user_sgpr_kernarg_preload_offset 0
		.amdhsa_user_sgpr_private_segment_size 0
		.amdhsa_uses_dynamic_stack 0
		.amdhsa_system_sgpr_private_segment_wavefront_offset 0
		.amdhsa_system_sgpr_workgroup_id_x 1
		.amdhsa_system_sgpr_workgroup_id_y 0
		.amdhsa_system_sgpr_workgroup_id_z 0
		.amdhsa_system_sgpr_workgroup_info 0
		.amdhsa_system_vgpr_workitem_id 0
		.amdhsa_next_free_vgpr 31
		.amdhsa_next_free_sgpr 56
		.amdhsa_accum_offset 32
		.amdhsa_reserve_vcc 1
		.amdhsa_reserve_flat_scratch 0
		.amdhsa_float_round_mode_32 0
		.amdhsa_float_round_mode_16_64 0
		.amdhsa_float_denorm_mode_32 3
		.amdhsa_float_denorm_mode_16_64 3
		.amdhsa_dx10_clamp 1
		.amdhsa_ieee_mode 1
		.amdhsa_fp16_overflow 0
		.amdhsa_tg_split 0
		.amdhsa_exception_fp_ieee_invalid_op 0
		.amdhsa_exception_fp_denorm_src 0
		.amdhsa_exception_fp_ieee_div_zero 0
		.amdhsa_exception_fp_ieee_overflow 0
		.amdhsa_exception_fp_ieee_underflow 0
		.amdhsa_exception_fp_ieee_inexact 0
		.amdhsa_exception_int_div_zero 0
	.end_amdhsa_kernel
	.section	.text._ZN7rocprim6detail18single_scan_kernelILb1ENS0_19wrapped_scan_configINS_14default_configE6__halfEEN6hipcub22TransformInputIteratorIS4_NS6_6CastOpIS4_EEPS4_lEESA_NS6_3MaxENS_12future_valueIS4_SA_EES4_EEvT1_mT4_T2_T3_,"axG",@progbits,_ZN7rocprim6detail18single_scan_kernelILb1ENS0_19wrapped_scan_configINS_14default_configE6__halfEEN6hipcub22TransformInputIteratorIS4_NS6_6CastOpIS4_EEPS4_lEESA_NS6_3MaxENS_12future_valueIS4_SA_EES4_EEvT1_mT4_T2_T3_,comdat
.Lfunc_end134:
	.size	_ZN7rocprim6detail18single_scan_kernelILb1ENS0_19wrapped_scan_configINS_14default_configE6__halfEEN6hipcub22TransformInputIteratorIS4_NS6_6CastOpIS4_EEPS4_lEESA_NS6_3MaxENS_12future_valueIS4_SA_EES4_EEvT1_mT4_T2_T3_, .Lfunc_end134-_ZN7rocprim6detail18single_scan_kernelILb1ENS0_19wrapped_scan_configINS_14default_configE6__halfEEN6hipcub22TransformInputIteratorIS4_NS6_6CastOpIS4_EEPS4_lEESA_NS6_3MaxENS_12future_valueIS4_SA_EES4_EEvT1_mT4_T2_T3_
                                        ; -- End function
	.section	.AMDGPU.csdata,"",@progbits
; Kernel info:
; codeLenInByte = 3704
; NumSgprs: 60
; NumVgprs: 31
; NumAgprs: 0
; TotalNumVgprs: 31
; ScratchSize: 0
; MemoryBound: 0
; FloatMode: 240
; IeeeMode: 1
; LDSByteSize: 3072 bytes/workgroup (compile time only)
; SGPRBlocks: 7
; VGPRBlocks: 3
; NumSGPRsForWavesPerEU: 60
; NumVGPRsForWavesPerEU: 31
; AccumOffset: 32
; Occupancy: 6
; WaveLimiterHint : 0
; COMPUTE_PGM_RSRC2:SCRATCH_EN: 0
; COMPUTE_PGM_RSRC2:USER_SGPR: 6
; COMPUTE_PGM_RSRC2:TRAP_HANDLER: 0
; COMPUTE_PGM_RSRC2:TGID_X_EN: 1
; COMPUTE_PGM_RSRC2:TGID_Y_EN: 0
; COMPUTE_PGM_RSRC2:TGID_Z_EN: 0
; COMPUTE_PGM_RSRC2:TIDIG_COMP_CNT: 0
; COMPUTE_PGM_RSRC3_GFX90A:ACCUM_OFFSET: 7
; COMPUTE_PGM_RSRC3_GFX90A:TG_SPLIT: 0
	.section	.text._ZL18fill_initial_valueI6__halfEvPT_S1_,"axG",@progbits,_ZL18fill_initial_valueI6__halfEvPT_S1_,comdat
	.globl	_ZL18fill_initial_valueI6__halfEvPT_S1_ ; -- Begin function _ZL18fill_initial_valueI6__halfEvPT_S1_
	.p2align	8
	.type	_ZL18fill_initial_valueI6__halfEvPT_S1_,@function
_ZL18fill_initial_valueI6__halfEvPT_S1_: ; @_ZL18fill_initial_valueI6__halfEvPT_S1_
; %bb.0:
	s_load_dword s2, s[4:5], 0x8
	s_load_dwordx2 s[0:1], s[4:5], 0x0
	v_mov_b32_e32 v0, 0
	s_waitcnt lgkmcnt(0)
	v_mov_b32_e32 v1, s2
	global_store_short v0, v1, s[0:1]
	s_endpgm
	.section	.rodata,"a",@progbits
	.p2align	6, 0x0
	.amdhsa_kernel _ZL18fill_initial_valueI6__halfEvPT_S1_
		.amdhsa_group_segment_fixed_size 0
		.amdhsa_private_segment_fixed_size 0
		.amdhsa_kernarg_size 12
		.amdhsa_user_sgpr_count 6
		.amdhsa_user_sgpr_private_segment_buffer 1
		.amdhsa_user_sgpr_dispatch_ptr 0
		.amdhsa_user_sgpr_queue_ptr 0
		.amdhsa_user_sgpr_kernarg_segment_ptr 1
		.amdhsa_user_sgpr_dispatch_id 0
		.amdhsa_user_sgpr_flat_scratch_init 0
		.amdhsa_user_sgpr_kernarg_preload_length 0
		.amdhsa_user_sgpr_kernarg_preload_offset 0
		.amdhsa_user_sgpr_private_segment_size 0
		.amdhsa_uses_dynamic_stack 0
		.amdhsa_system_sgpr_private_segment_wavefront_offset 0
		.amdhsa_system_sgpr_workgroup_id_x 1
		.amdhsa_system_sgpr_workgroup_id_y 0
		.amdhsa_system_sgpr_workgroup_id_z 0
		.amdhsa_system_sgpr_workgroup_info 0
		.amdhsa_system_vgpr_workitem_id 0
		.amdhsa_next_free_vgpr 2
		.amdhsa_next_free_sgpr 6
		.amdhsa_accum_offset 4
		.amdhsa_reserve_vcc 0
		.amdhsa_reserve_flat_scratch 0
		.amdhsa_float_round_mode_32 0
		.amdhsa_float_round_mode_16_64 0
		.amdhsa_float_denorm_mode_32 3
		.amdhsa_float_denorm_mode_16_64 3
		.amdhsa_dx10_clamp 1
		.amdhsa_ieee_mode 1
		.amdhsa_fp16_overflow 0
		.amdhsa_tg_split 0
		.amdhsa_exception_fp_ieee_invalid_op 0
		.amdhsa_exception_fp_denorm_src 0
		.amdhsa_exception_fp_ieee_div_zero 0
		.amdhsa_exception_fp_ieee_overflow 0
		.amdhsa_exception_fp_ieee_underflow 0
		.amdhsa_exception_fp_ieee_inexact 0
		.amdhsa_exception_int_div_zero 0
	.end_amdhsa_kernel
	.section	.text._ZL18fill_initial_valueI6__halfEvPT_S1_,"axG",@progbits,_ZL18fill_initial_valueI6__halfEvPT_S1_,comdat
.Lfunc_end135:
	.size	_ZL18fill_initial_valueI6__halfEvPT_S1_, .Lfunc_end135-_ZL18fill_initial_valueI6__halfEvPT_S1_
                                        ; -- End function
	.section	.AMDGPU.csdata,"",@progbits
; Kernel info:
; codeLenInByte = 40
; NumSgprs: 10
; NumVgprs: 2
; NumAgprs: 0
; TotalNumVgprs: 2
; ScratchSize: 0
; MemoryBound: 0
; FloatMode: 240
; IeeeMode: 1
; LDSByteSize: 0 bytes/workgroup (compile time only)
; SGPRBlocks: 1
; VGPRBlocks: 0
; NumSGPRsForWavesPerEU: 10
; NumVGPRsForWavesPerEU: 2
; AccumOffset: 4
; Occupancy: 8
; WaveLimiterHint : 0
; COMPUTE_PGM_RSRC2:SCRATCH_EN: 0
; COMPUTE_PGM_RSRC2:USER_SGPR: 6
; COMPUTE_PGM_RSRC2:TRAP_HANDLER: 0
; COMPUTE_PGM_RSRC2:TGID_X_EN: 1
; COMPUTE_PGM_RSRC2:TGID_Y_EN: 0
; COMPUTE_PGM_RSRC2:TGID_Z_EN: 0
; COMPUTE_PGM_RSRC2:TIDIG_COMP_CNT: 0
; COMPUTE_PGM_RSRC3_GFX90A:ACCUM_OFFSET: 0
; COMPUTE_PGM_RSRC3_GFX90A:TG_SPLIT: 0
	.section	.text._ZN7rocprim6detail20lookback_scan_kernelILNS0_25lookback_scan_determinismE0ELb1ENS0_19wrapped_scan_configINS_14default_configE12hip_bfloat16EEN6hipcub22TransformInputIteratorIS5_NS7_6CastOpIS5_EEPS5_lEESB_NS7_3MaxENS_12future_valueIS5_SB_EES5_NS0_19lookback_scan_stateIS5_Lb1ELb1EEEEEvT2_T3_mT5_T4_T7_jPT6_SO_bb,"axG",@progbits,_ZN7rocprim6detail20lookback_scan_kernelILNS0_25lookback_scan_determinismE0ELb1ENS0_19wrapped_scan_configINS_14default_configE12hip_bfloat16EEN6hipcub22TransformInputIteratorIS5_NS7_6CastOpIS5_EEPS5_lEESB_NS7_3MaxENS_12future_valueIS5_SB_EES5_NS0_19lookback_scan_stateIS5_Lb1ELb1EEEEEvT2_T3_mT5_T4_T7_jPT6_SO_bb,comdat
	.protected	_ZN7rocprim6detail20lookback_scan_kernelILNS0_25lookback_scan_determinismE0ELb1ENS0_19wrapped_scan_configINS_14default_configE12hip_bfloat16EEN6hipcub22TransformInputIteratorIS5_NS7_6CastOpIS5_EEPS5_lEESB_NS7_3MaxENS_12future_valueIS5_SB_EES5_NS0_19lookback_scan_stateIS5_Lb1ELb1EEEEEvT2_T3_mT5_T4_T7_jPT6_SO_bb ; -- Begin function _ZN7rocprim6detail20lookback_scan_kernelILNS0_25lookback_scan_determinismE0ELb1ENS0_19wrapped_scan_configINS_14default_configE12hip_bfloat16EEN6hipcub22TransformInputIteratorIS5_NS7_6CastOpIS5_EEPS5_lEESB_NS7_3MaxENS_12future_valueIS5_SB_EES5_NS0_19lookback_scan_stateIS5_Lb1ELb1EEEEEvT2_T3_mT5_T4_T7_jPT6_SO_bb
	.globl	_ZN7rocprim6detail20lookback_scan_kernelILNS0_25lookback_scan_determinismE0ELb1ENS0_19wrapped_scan_configINS_14default_configE12hip_bfloat16EEN6hipcub22TransformInputIteratorIS5_NS7_6CastOpIS5_EEPS5_lEESB_NS7_3MaxENS_12future_valueIS5_SB_EES5_NS0_19lookback_scan_stateIS5_Lb1ELb1EEEEEvT2_T3_mT5_T4_T7_jPT6_SO_bb
	.p2align	8
	.type	_ZN7rocprim6detail20lookback_scan_kernelILNS0_25lookback_scan_determinismE0ELb1ENS0_19wrapped_scan_configINS_14default_configE12hip_bfloat16EEN6hipcub22TransformInputIteratorIS5_NS7_6CastOpIS5_EEPS5_lEESB_NS7_3MaxENS_12future_valueIS5_SB_EES5_NS0_19lookback_scan_stateIS5_Lb1ELb1EEEEEvT2_T3_mT5_T4_T7_jPT6_SO_bb,@function
_ZN7rocprim6detail20lookback_scan_kernelILNS0_25lookback_scan_determinismE0ELb1ENS0_19wrapped_scan_configINS_14default_configE12hip_bfloat16EEN6hipcub22TransformInputIteratorIS5_NS7_6CastOpIS5_EEPS5_lEESB_NS7_3MaxENS_12future_valueIS5_SB_EES5_NS0_19lookback_scan_stateIS5_Lb1ELb1EEEEEvT2_T3_mT5_T4_T7_jPT6_SO_bb: ; @_ZN7rocprim6detail20lookback_scan_kernelILNS0_25lookback_scan_determinismE0ELb1ENS0_19wrapped_scan_configINS_14default_configE12hip_bfloat16EEN6hipcub22TransformInputIteratorIS5_NS7_6CastOpIS5_EEPS5_lEESB_NS7_3MaxENS_12future_valueIS5_SB_EES5_NS0_19lookback_scan_stateIS5_Lb1ELb1EEEEEvT2_T3_mT5_T4_T7_jPT6_SO_bb
; %bb.0:
	s_endpgm
	.section	.rodata,"a",@progbits
	.p2align	6, 0x0
	.amdhsa_kernel _ZN7rocprim6detail20lookback_scan_kernelILNS0_25lookback_scan_determinismE0ELb1ENS0_19wrapped_scan_configINS_14default_configE12hip_bfloat16EEN6hipcub22TransformInputIteratorIS5_NS7_6CastOpIS5_EEPS5_lEESB_NS7_3MaxENS_12future_valueIS5_SB_EES5_NS0_19lookback_scan_stateIS5_Lb1ELb1EEEEEvT2_T3_mT5_T4_T7_jPT6_SO_bb
		.amdhsa_group_segment_fixed_size 0
		.amdhsa_private_segment_fixed_size 0
		.amdhsa_kernarg_size 84
		.amdhsa_user_sgpr_count 6
		.amdhsa_user_sgpr_private_segment_buffer 1
		.amdhsa_user_sgpr_dispatch_ptr 0
		.amdhsa_user_sgpr_queue_ptr 0
		.amdhsa_user_sgpr_kernarg_segment_ptr 1
		.amdhsa_user_sgpr_dispatch_id 0
		.amdhsa_user_sgpr_flat_scratch_init 0
		.amdhsa_user_sgpr_kernarg_preload_length 0
		.amdhsa_user_sgpr_kernarg_preload_offset 0
		.amdhsa_user_sgpr_private_segment_size 0
		.amdhsa_uses_dynamic_stack 0
		.amdhsa_system_sgpr_private_segment_wavefront_offset 0
		.amdhsa_system_sgpr_workgroup_id_x 1
		.amdhsa_system_sgpr_workgroup_id_y 0
		.amdhsa_system_sgpr_workgroup_id_z 0
		.amdhsa_system_sgpr_workgroup_info 0
		.amdhsa_system_vgpr_workitem_id 0
		.amdhsa_next_free_vgpr 1
		.amdhsa_next_free_sgpr 0
		.amdhsa_accum_offset 4
		.amdhsa_reserve_vcc 0
		.amdhsa_reserve_flat_scratch 0
		.amdhsa_float_round_mode_32 0
		.amdhsa_float_round_mode_16_64 0
		.amdhsa_float_denorm_mode_32 3
		.amdhsa_float_denorm_mode_16_64 3
		.amdhsa_dx10_clamp 1
		.amdhsa_ieee_mode 1
		.amdhsa_fp16_overflow 0
		.amdhsa_tg_split 0
		.amdhsa_exception_fp_ieee_invalid_op 0
		.amdhsa_exception_fp_denorm_src 0
		.amdhsa_exception_fp_ieee_div_zero 0
		.amdhsa_exception_fp_ieee_overflow 0
		.amdhsa_exception_fp_ieee_underflow 0
		.amdhsa_exception_fp_ieee_inexact 0
		.amdhsa_exception_int_div_zero 0
	.end_amdhsa_kernel
	.section	.text._ZN7rocprim6detail20lookback_scan_kernelILNS0_25lookback_scan_determinismE0ELb1ENS0_19wrapped_scan_configINS_14default_configE12hip_bfloat16EEN6hipcub22TransformInputIteratorIS5_NS7_6CastOpIS5_EEPS5_lEESB_NS7_3MaxENS_12future_valueIS5_SB_EES5_NS0_19lookback_scan_stateIS5_Lb1ELb1EEEEEvT2_T3_mT5_T4_T7_jPT6_SO_bb,"axG",@progbits,_ZN7rocprim6detail20lookback_scan_kernelILNS0_25lookback_scan_determinismE0ELb1ENS0_19wrapped_scan_configINS_14default_configE12hip_bfloat16EEN6hipcub22TransformInputIteratorIS5_NS7_6CastOpIS5_EEPS5_lEESB_NS7_3MaxENS_12future_valueIS5_SB_EES5_NS0_19lookback_scan_stateIS5_Lb1ELb1EEEEEvT2_T3_mT5_T4_T7_jPT6_SO_bb,comdat
.Lfunc_end136:
	.size	_ZN7rocprim6detail20lookback_scan_kernelILNS0_25lookback_scan_determinismE0ELb1ENS0_19wrapped_scan_configINS_14default_configE12hip_bfloat16EEN6hipcub22TransformInputIteratorIS5_NS7_6CastOpIS5_EEPS5_lEESB_NS7_3MaxENS_12future_valueIS5_SB_EES5_NS0_19lookback_scan_stateIS5_Lb1ELb1EEEEEvT2_T3_mT5_T4_T7_jPT6_SO_bb, .Lfunc_end136-_ZN7rocprim6detail20lookback_scan_kernelILNS0_25lookback_scan_determinismE0ELb1ENS0_19wrapped_scan_configINS_14default_configE12hip_bfloat16EEN6hipcub22TransformInputIteratorIS5_NS7_6CastOpIS5_EEPS5_lEESB_NS7_3MaxENS_12future_valueIS5_SB_EES5_NS0_19lookback_scan_stateIS5_Lb1ELb1EEEEEvT2_T3_mT5_T4_T7_jPT6_SO_bb
                                        ; -- End function
	.section	.AMDGPU.csdata,"",@progbits
; Kernel info:
; codeLenInByte = 4
; NumSgprs: 4
; NumVgprs: 0
; NumAgprs: 0
; TotalNumVgprs: 0
; ScratchSize: 0
; MemoryBound: 0
; FloatMode: 240
; IeeeMode: 1
; LDSByteSize: 0 bytes/workgroup (compile time only)
; SGPRBlocks: 0
; VGPRBlocks: 0
; NumSGPRsForWavesPerEU: 4
; NumVGPRsForWavesPerEU: 1
; AccumOffset: 4
; Occupancy: 8
; WaveLimiterHint : 0
; COMPUTE_PGM_RSRC2:SCRATCH_EN: 0
; COMPUTE_PGM_RSRC2:USER_SGPR: 6
; COMPUTE_PGM_RSRC2:TRAP_HANDLER: 0
; COMPUTE_PGM_RSRC2:TGID_X_EN: 1
; COMPUTE_PGM_RSRC2:TGID_Y_EN: 0
; COMPUTE_PGM_RSRC2:TGID_Z_EN: 0
; COMPUTE_PGM_RSRC2:TIDIG_COMP_CNT: 0
; COMPUTE_PGM_RSRC3_GFX90A:ACCUM_OFFSET: 0
; COMPUTE_PGM_RSRC3_GFX90A:TG_SPLIT: 0
	.section	.text._ZN7rocprim6detail20lookback_scan_kernelILNS0_25lookback_scan_determinismE0ELb1ENS0_19wrapped_scan_configINS_14default_configE12hip_bfloat16EEN6hipcub22TransformInputIteratorIS5_NS7_6CastOpIS5_EEPS5_lEESB_NS7_3MaxENS_12future_valueIS5_SB_EES5_NS0_19lookback_scan_stateIS5_Lb0ELb1EEEEEvT2_T3_mT5_T4_T7_jPT6_SO_bb,"axG",@progbits,_ZN7rocprim6detail20lookback_scan_kernelILNS0_25lookback_scan_determinismE0ELb1ENS0_19wrapped_scan_configINS_14default_configE12hip_bfloat16EEN6hipcub22TransformInputIteratorIS5_NS7_6CastOpIS5_EEPS5_lEESB_NS7_3MaxENS_12future_valueIS5_SB_EES5_NS0_19lookback_scan_stateIS5_Lb0ELb1EEEEEvT2_T3_mT5_T4_T7_jPT6_SO_bb,comdat
	.protected	_ZN7rocprim6detail20lookback_scan_kernelILNS0_25lookback_scan_determinismE0ELb1ENS0_19wrapped_scan_configINS_14default_configE12hip_bfloat16EEN6hipcub22TransformInputIteratorIS5_NS7_6CastOpIS5_EEPS5_lEESB_NS7_3MaxENS_12future_valueIS5_SB_EES5_NS0_19lookback_scan_stateIS5_Lb0ELb1EEEEEvT2_T3_mT5_T4_T7_jPT6_SO_bb ; -- Begin function _ZN7rocprim6detail20lookback_scan_kernelILNS0_25lookback_scan_determinismE0ELb1ENS0_19wrapped_scan_configINS_14default_configE12hip_bfloat16EEN6hipcub22TransformInputIteratorIS5_NS7_6CastOpIS5_EEPS5_lEESB_NS7_3MaxENS_12future_valueIS5_SB_EES5_NS0_19lookback_scan_stateIS5_Lb0ELb1EEEEEvT2_T3_mT5_T4_T7_jPT6_SO_bb
	.globl	_ZN7rocprim6detail20lookback_scan_kernelILNS0_25lookback_scan_determinismE0ELb1ENS0_19wrapped_scan_configINS_14default_configE12hip_bfloat16EEN6hipcub22TransformInputIteratorIS5_NS7_6CastOpIS5_EEPS5_lEESB_NS7_3MaxENS_12future_valueIS5_SB_EES5_NS0_19lookback_scan_stateIS5_Lb0ELb1EEEEEvT2_T3_mT5_T4_T7_jPT6_SO_bb
	.p2align	8
	.type	_ZN7rocprim6detail20lookback_scan_kernelILNS0_25lookback_scan_determinismE0ELb1ENS0_19wrapped_scan_configINS_14default_configE12hip_bfloat16EEN6hipcub22TransformInputIteratorIS5_NS7_6CastOpIS5_EEPS5_lEESB_NS7_3MaxENS_12future_valueIS5_SB_EES5_NS0_19lookback_scan_stateIS5_Lb0ELb1EEEEEvT2_T3_mT5_T4_T7_jPT6_SO_bb,@function
_ZN7rocprim6detail20lookback_scan_kernelILNS0_25lookback_scan_determinismE0ELb1ENS0_19wrapped_scan_configINS_14default_configE12hip_bfloat16EEN6hipcub22TransformInputIteratorIS5_NS7_6CastOpIS5_EEPS5_lEESB_NS7_3MaxENS_12future_valueIS5_SB_EES5_NS0_19lookback_scan_stateIS5_Lb0ELb1EEEEEvT2_T3_mT5_T4_T7_jPT6_SO_bb: ; @_ZN7rocprim6detail20lookback_scan_kernelILNS0_25lookback_scan_determinismE0ELb1ENS0_19wrapped_scan_configINS_14default_configE12hip_bfloat16EEN6hipcub22TransformInputIteratorIS5_NS7_6CastOpIS5_EEPS5_lEESB_NS7_3MaxENS_12future_valueIS5_SB_EES5_NS0_19lookback_scan_stateIS5_Lb0ELb1EEEEEvT2_T3_mT5_T4_T7_jPT6_SO_bb
; %bb.0:
	s_load_dwordx2 s[0:1], s[4:5], 0x20
	s_load_dword s2, s[4:5], 0x38
	v_mov_b32_e32 v1, 0
	v_lshlrev_b32_e32 v20, 1, v0
	s_waitcnt lgkmcnt(0)
	global_load_ushort v1, v1, s[0:1]
	s_load_dwordx2 s[24:25], s[4:5], 0x0
	s_load_dwordx4 s[20:23], s[4:5], 0x10
	s_add_i32 s2, s2, -1
	s_mul_i32 s3, s2, 0x600
	s_mul_i32 s0, s6, 0x600
	s_mov_b32 s1, 0
	s_waitcnt lgkmcnt(0)
	s_sub_u32 s30, s22, s3
	s_subb_u32 s31, s23, 0
	s_cmp_lg_u32 s6, s2
	s_cselect_b64 s[18:19], -1, 0
	s_lshl_b64 s[22:23], s[0:1], 1
	s_add_u32 s2, s24, s22
	s_addc_u32 s3, s25, s23
	s_mov_b64 s[0:1], -1
	s_and_b64 vcc, exec, s[18:19]
	s_cbranch_vccz .LBB137_2
; %bb.1:
	global_load_ushort v2, v20, s[2:3]
	global_load_ushort v3, v20, s[2:3] offset:128
	global_load_ushort v4, v20, s[2:3] offset:256
	;; [unrolled: 1-line block ×23, first 2 shown]
	s_mov_b64 s[0:1], 0
	s_waitcnt vmcnt(23)
	ds_write_b16 v20, v2
	s_waitcnt vmcnt(22)
	ds_write_b16 v20, v3 offset:128
	s_waitcnt vmcnt(21)
	ds_write_b16 v20, v4 offset:256
	s_waitcnt vmcnt(20)
	ds_write_b16 v20, v5 offset:384
	s_waitcnt vmcnt(19)
	ds_write_b16 v20, v6 offset:512
	s_waitcnt vmcnt(18)
	ds_write_b16 v20, v7 offset:640
	s_waitcnt vmcnt(17)
	ds_write_b16 v20, v8 offset:768
	s_waitcnt vmcnt(16)
	ds_write_b16 v20, v9 offset:896
	s_waitcnt vmcnt(15)
	ds_write_b16 v20, v10 offset:1024
	s_waitcnt vmcnt(14)
	ds_write_b16 v20, v11 offset:1152
	s_waitcnt vmcnt(13)
	ds_write_b16 v20, v12 offset:1280
	s_waitcnt vmcnt(12)
	ds_write_b16 v20, v13 offset:1408
	s_waitcnt vmcnt(11)
	ds_write_b16 v20, v14 offset:1536
	s_waitcnt vmcnt(10)
	ds_write_b16 v20, v15 offset:1664
	s_waitcnt vmcnt(9)
	ds_write_b16 v20, v16 offset:1792
	s_waitcnt vmcnt(8)
	ds_write_b16 v20, v17 offset:1920
	s_waitcnt vmcnt(7)
	ds_write_b16 v20, v18 offset:2048
	s_waitcnt vmcnt(6)
	ds_write_b16 v20, v19 offset:2176
	s_waitcnt vmcnt(5)
	ds_write_b16 v20, v21 offset:2304
	s_waitcnt vmcnt(4)
	ds_write_b16 v20, v22 offset:2432
	s_waitcnt vmcnt(3)
	ds_write_b16 v20, v23 offset:2560
	s_waitcnt vmcnt(2)
	ds_write_b16 v20, v24 offset:2688
	s_waitcnt vmcnt(1)
	ds_write_b16 v20, v25 offset:2816
	s_waitcnt vmcnt(0)
	ds_write_b16 v20, v26 offset:2944
	s_waitcnt lgkmcnt(0)
	; wave barrier
.LBB137_2:
	s_andn2_b64 vcc, exec, s[0:1]
	v_cmp_gt_u32_e64 s[0:1], s30, v0
	s_cbranch_vccnz .LBB137_52
; %bb.3:
	v_mov_b32_e32 v2, 0
	global_load_ushort v4, v2, s[2:3]
	v_mov_b32_e32 v3, s3
	v_add_co_u32_e32 v2, vcc, s2, v20
	v_addc_co_u32_e32 v3, vcc, 0, v3, vcc
	s_waitcnt vmcnt(0)
	v_mov_b32_e32 v5, v4
	s_and_saveexec_b64 s[2:3], s[0:1]
	s_cbranch_execz .LBB137_5
; %bb.4:
	global_load_ushort v5, v[2:3], off
.LBB137_5:
	s_or_b64 exec, exec, s[2:3]
	v_or_b32_e32 v6, 64, v0
	v_cmp_gt_u32_e32 vcc, s30, v6
	v_mov_b32_e32 v6, v4
	s_and_saveexec_b64 s[0:1], vcc
	s_cbranch_execz .LBB137_7
; %bb.6:
	global_load_ushort v6, v[2:3], off offset:128
.LBB137_7:
	s_or_b64 exec, exec, s[0:1]
	v_or_b32_e32 v7, 0x80, v0
	v_cmp_gt_u32_e32 vcc, s30, v7
	v_mov_b32_e32 v7, v4
	s_and_saveexec_b64 s[0:1], vcc
	s_cbranch_execz .LBB137_9
; %bb.8:
	global_load_ushort v7, v[2:3], off offset:256
.LBB137_9:
	;; [unrolled: 9-line block ×22, first 2 shown]
	s_or_b64 exec, exec, s[0:1]
	v_or_b32_e32 v29, 0x5c0, v0
	v_cmp_gt_u32_e32 vcc, s30, v29
	s_and_saveexec_b64 s[0:1], vcc
	s_cbranch_execz .LBB137_51
; %bb.50:
	global_load_ushort v4, v[2:3], off offset:2944
.LBB137_51:
	s_or_b64 exec, exec, s[0:1]
	s_waitcnt vmcnt(0)
	ds_write_b16 v20, v5
	ds_write_b16 v20, v6 offset:128
	ds_write_b16 v20, v7 offset:256
	;; [unrolled: 1-line block ×23, first 2 shown]
	s_waitcnt lgkmcnt(0)
	; wave barrier
.LBB137_52:
	v_mul_u32_u24_e32 v21, 24, v0
	v_lshlrev_b32_e32 v22, 1, v21
	s_waitcnt lgkmcnt(0)
	ds_read_b128 v[10:13], v22
	ds_read_b128 v[6:9], v22 offset:16
	ds_read_b128 v[2:5], v22 offset:32
	s_load_dwordx2 s[26:27], s[4:5], 0x30
	s_cmp_lg_u32 s6, 0
	v_mbcnt_lo_u32_b32 v58, -1, 0
	s_waitcnt lgkmcnt(0)
	v_lshrrev_b32_e32 v43, 16, v11
	v_lshrrev_b32_e32 v39, 16, v12
	;; [unrolled: 1-line block ×11, first 2 shown]
	v_lshlrev_b32_e32 v53, 16, v11
	v_lshlrev_b32_e32 v52, 16, v43
	;; [unrolled: 1-line block ×23, first 2 shown]
	v_lshrrev_b32_e32 v54, 16, v10
	v_cmp_eq_u32_e32 vcc, 63, v0
	s_waitcnt lgkmcnt(0)
	; wave barrier
	s_cbranch_scc0 .LBB137_79
; %bb.53:
	v_and_b32_e32 v59, 0xffff0000, v10
	v_cmp_lt_f32_e64 s[0:1], v55, v59
	v_cndmask_b32_e64 v14, v10, v54, s[0:1]
	v_lshlrev_b32_e32 v15, 16, v14
	v_cmp_lt_f32_e64 s[0:1], v15, v53
	v_cndmask_b32_e64 v14, v14, v11, s[0:1]
	v_lshlrev_b32_e32 v15, 16, v14
	;; [unrolled: 3-line block ×22, first 2 shown]
	v_cmp_lt_f32_e64 s[0:1], v15, v57
	v_cndmask_b32_e64 v14, v14, v56, s[0:1]
	v_and_b32_e32 v17, 0xffff, v14
	v_lshlrev_b32_e32 v60, 16, v14
	v_mbcnt_hi_u32_b32 v15, -1, v58
	v_mov_b32_dpp v18, v17 row_shr:1 row_mask:0xf bank_mask:0xf
	v_lshlrev_b32_e32 v19, 16, v18
	v_cmp_lt_f32_e64 s[0:1], v19, v60
	v_and_b32_e32 v16, 15, v15
	v_cndmask_b32_e64 v18, v18, v14, s[0:1]
	v_and_b32_e32 v19, 0xffff, v18
	v_cmp_eq_u32_e64 s[0:1], 0, v16
	v_cndmask_b32_e64 v17, v19, v17, s[0:1]
	v_cndmask_b32_e64 v14, v18, v14, s[0:1]
	v_lshlrev_b32_e32 v19, 16, v17
	v_mov_b32_dpp v18, v17 row_shr:2 row_mask:0xf bank_mask:0xf
	v_lshlrev_b32_e32 v60, 16, v18
	v_cmp_lt_f32_e64 s[0:1], v60, v19
	v_cndmask_b32_e64 v18, v18, v14, s[0:1]
	v_and_b32_e32 v19, 0xffff, v18
	v_cmp_lt_u32_e64 s[0:1], 1, v16
	v_cndmask_b32_e64 v17, v17, v19, s[0:1]
	v_cndmask_b32_e64 v14, v14, v18, s[0:1]
	v_lshlrev_b32_e32 v19, 16, v17
	v_mov_b32_dpp v18, v17 row_shr:4 row_mask:0xf bank_mask:0xf
	v_lshlrev_b32_e32 v60, 16, v18
	v_cmp_lt_f32_e64 s[0:1], v60, v19
	v_cndmask_b32_e64 v18, v18, v14, s[0:1]
	v_and_b32_e32 v19, 0xffff, v18
	v_cmp_lt_u32_e64 s[0:1], 3, v16
	;; [unrolled: 9-line block ×3, first 2 shown]
	v_cndmask_b32_e64 v16, v17, v19, s[0:1]
	v_lshlrev_b32_e32 v19, 16, v16
	v_cndmask_b32_e64 v14, v14, v18, s[0:1]
	v_mov_b32_dpp v17, v16 row_bcast:15 row_mask:0xf bank_mask:0xf
	v_lshlrev_b32_e32 v60, 16, v17
	v_cmp_lt_f32_e64 s[0:1], v60, v19
	v_and_b32_e32 v18, 16, v15
	v_cndmask_b32_e64 v17, v17, v14, s[0:1]
	v_and_b32_e32 v19, 0xffff, v17
	v_cmp_eq_u32_e64 s[0:1], 0, v18
	v_cndmask_b32_e64 v16, v19, v16, s[0:1]
	v_cndmask_b32_e64 v14, v17, v14, s[0:1]
	s_nop 0
	v_mov_b32_dpp v17, v16 row_bcast:31 row_mask:0xf bank_mask:0xf
	v_lshlrev_b32_e32 v16, 16, v16
	v_lshlrev_b32_e32 v18, 16, v17
	v_cmp_lt_f32_e64 s[0:1], v18, v16
	v_cndmask_b32_e64 v16, v17, v14, s[0:1]
	v_cmp_lt_u32_e64 s[0:1], 31, v15
	v_cndmask_b32_e64 v14, v14, v16, s[0:1]
	s_and_saveexec_b64 s[0:1], vcc
	s_cbranch_execz .LBB137_55
; %bb.54:
	v_mov_b32_e32 v16, 0
	ds_write_b16 v16, v14
.LBB137_55:
	s_or_b64 exec, exec, s[0:1]
	v_add_u32_e32 v16, -1, v15
	v_and_b32_e32 v17, 64, v15
	v_cmp_lt_i32_e32 vcc, v16, v17
	v_cndmask_b32_e32 v16, v16, v15, vcc
	v_and_b32_e32 v14, 0xffff, v14
	v_lshlrev_b32_e32 v16, 2, v16
	ds_bpermute_b32 v60, v16, v14
	v_cmp_gt_u32_e32 vcc, 64, v0
	s_waitcnt lgkmcnt(0)
	; wave barrier
	s_waitcnt lgkmcnt(0)
	s_and_saveexec_b64 s[28:29], vcc
	s_cbranch_execz .LBB137_78
; %bb.56:
	v_mov_b32_e32 v17, 0
	ds_read_u16 v61, v17
	s_mov_b32 s9, 0
	v_cmp_eq_u32_e64 s[0:1], 0, v15
	s_and_saveexec_b64 s[2:3], s[0:1]
	s_cbranch_execz .LBB137_58
; %bb.57:
	s_add_i32 s8, s6, 64
	s_lshl_b64 s[8:9], s[8:9], 2
	s_add_u32 s8, s26, s8
	s_addc_u32 s9, s27, s9
	s_waitcnt lgkmcnt(0)
	v_or_b32_e32 v14, 0x10000, v61
	global_store_dword v17, v14, s[8:9]
.LBB137_58:
	s_or_b64 exec, exec, s[2:3]
	v_xad_u32 v14, v15, -1, s6
	v_add_u32_e32 v16, 64, v14
	v_lshlrev_b64 v[18:19], 2, v[16:17]
	v_mov_b32_e32 v16, s27
	v_add_co_u32_e32 v18, vcc, s26, v18
	v_addc_co_u32_e32 v19, vcc, v16, v19, vcc
	global_load_dword v77, v[18:19], off glc
	s_waitcnt vmcnt(0)
	v_lshrrev_b32_e32 v63, 16, v77
	v_cmp_eq_u16_sdwa s[8:9], v63, v17 src0_sel:BYTE_0 src1_sel:DWORD
	s_and_saveexec_b64 s[2:3], s[8:9]
	s_cbranch_execz .LBB137_62
; %bb.59:
	s_mov_b64 s[8:9], 0
	v_mov_b32_e32 v16, 0
.LBB137_60:                             ; =>This Inner Loop Header: Depth=1
	global_load_dword v77, v[18:19], off glc
	s_waitcnt vmcnt(0)
	v_lshrrev_b32_e32 v63, 16, v77
	v_cmp_ne_u16_sdwa s[10:11], v63, v16 src0_sel:BYTE_0 src1_sel:DWORD
	s_or_b64 s[8:9], s[10:11], s[8:9]
	s_andn2_b64 exec, exec, s[8:9]
	s_cbranch_execnz .LBB137_60
; %bb.61:
	s_or_b64 exec, exec, s[8:9]
.LBB137_62:
	s_or_b64 exec, exec, s[2:3]
	v_and_b32_e32 v74, 63, v15
	v_cmp_ne_u32_e32 vcc, 63, v74
	v_addc_co_u32_e32 v64, vcc, 0, v15, vcc
	v_mov_b32_e32 v62, 2
	v_and_b32_e32 v66, 0xffff, v77
	v_lshlrev_b32_e32 v64, 2, v64
	v_cmp_eq_u16_sdwa s[2:3], v63, v62 src0_sel:BYTE_0 src1_sel:DWORD
	v_lshlrev_b64 v[16:17], v15, -1
	ds_bpermute_b32 v67, v64, v66
	v_and_b32_e32 v18, s3, v17
	v_or_b32_e32 v18, 0x80000000, v18
	v_and_b32_e32 v19, s2, v16
	v_ffbl_b32_e32 v18, v18
	v_add_u32_e32 v18, 32, v18
	v_ffbl_b32_e32 v19, v19
	v_min_u32_e32 v79, v19, v18
	s_waitcnt lgkmcnt(0)
	v_lshlrev_b32_e32 v18, 16, v67
	v_lshlrev_b32_e32 v19, 16, v77
	v_cmp_lt_f32_e32 vcc, v18, v19
	v_add_u32_e32 v65, 1, v15
	v_cndmask_b32_e32 v18, v67, v77, vcc
	v_and_b32_e32 v19, 0xffff, v18
	v_cmp_le_u32_e64 s[8:9], v65, v79
	v_cmp_gt_u32_e32 vcc, 62, v74
	v_cndmask_b32_e64 v19, v66, v19, s[8:9]
	v_cndmask_b32_e64 v66, 0, 1, vcc
	v_lshlrev_b32_e32 v66, 1, v66
	v_add_lshl_u32 v66, v66, v15, 2
	ds_bpermute_b32 v68, v66, v19
	v_lshlrev_b32_e32 v69, 16, v19
	v_cndmask_b32_e64 v18, v77, v18, s[8:9]
	v_add_u32_e32 v67, 2, v15
	v_cmp_le_u32_e64 s[10:11], v67, v79
	s_waitcnt lgkmcnt(0)
	v_lshlrev_b32_e32 v70, 16, v68
	v_cmp_lt_f32_e32 vcc, v70, v69
	v_cndmask_b32_e32 v69, v68, v18, vcc
	v_and_b32_e32 v68, 0xffff, v69
	v_cmp_gt_u32_e32 vcc, 60, v74
	v_cndmask_b32_e64 v19, v19, v68, s[10:11]
	v_cndmask_b32_e64 v68, 0, 1, vcc
	v_lshlrev_b32_e32 v68, 2, v68
	v_add_lshl_u32 v68, v68, v15, 2
	ds_bpermute_b32 v70, v68, v19
	v_lshlrev_b32_e32 v71, 16, v19
	v_cndmask_b32_e64 v18, v18, v69, s[10:11]
	v_add_u32_e32 v69, 4, v15
	v_cmp_le_u32_e64 s[12:13], v69, v79
	s_waitcnt lgkmcnt(0)
	v_lshlrev_b32_e32 v72, 16, v70
	v_cmp_lt_f32_e32 vcc, v72, v71
	v_cndmask_b32_e32 v71, v70, v18, vcc
	v_and_b32_e32 v70, 0xffff, v71
	;; [unrolled: 15-line block ×3, first 2 shown]
	v_cmp_gt_u32_e32 vcc, 48, v74
	v_cndmask_b32_e64 v75, v19, v72, s[14:15]
	v_cndmask_b32_e64 v19, 0, 1, vcc
	v_lshlrev_b32_e32 v19, 4, v19
	v_add_lshl_u32 v72, v19, v15, 2
	ds_bpermute_b32 v19, v72, v75
	v_lshlrev_b32_e32 v76, 16, v75
	v_cndmask_b32_e64 v18, v18, v73, s[14:15]
	v_add_u32_e32 v73, 16, v15
	v_cmp_gt_u32_e64 s[2:3], 32, v74
	s_waitcnt lgkmcnt(0)
	v_lshlrev_b32_e32 v78, 16, v19
	v_cmp_lt_f32_e32 vcc, v78, v76
	v_cndmask_b32_e32 v19, v19, v18, vcc
	v_and_b32_e32 v76, 0xffff, v19
	v_cmp_le_u32_e32 vcc, v73, v79
	v_cndmask_b32_e64 v74, 0, 1, s[2:3]
	v_cndmask_b32_e32 v76, v75, v76, vcc
	v_lshlrev_b32_e32 v74, 5, v74
	v_add_u32_e32 v75, 32, v15
	v_add_lshl_u32 v74, v74, v15, 2
	v_cmp_le_u32_e64 s[16:17], v75, v79
	ds_bpermute_b32 v78, v74, v76
	s_or_b64 s[10:11], s[10:11], s[16:17]
	s_or_b64 s[8:9], s[8:9], s[10:11]
	;; [unrolled: 1-line block ×4, first 2 shown]
	v_cmp_gt_u32_e64 s[2:3], v75, v79
	s_or_b64 s[10:11], vcc, s[8:9]
	s_and_saveexec_b64 s[8:9], s[10:11]
	s_cbranch_execz .LBB137_64
; %bb.63:
	v_cndmask_b32_e32 v15, v18, v19, vcc
	s_waitcnt lgkmcnt(0)
	v_lshlrev_b32_e32 v18, 16, v78
	v_lshlrev_b32_e32 v19, 16, v76
	v_cmp_lt_f32_e32 vcc, v18, v19
	s_or_b64 vcc, s[2:3], vcc
	v_cndmask_b32_e32 v77, v78, v15, vcc
.LBB137_64:
	s_or_b64 exec, exec, s[8:9]
	v_mov_b32_e32 v15, 0
	s_branch .LBB137_66
.LBB137_65:                             ;   in Loop: Header=BB137_66 Depth=1
                                        ; implicit-def: $vgpr77
                                        ; implicit-def: $vgpr63
	s_cbranch_execnz .LBB137_74
.LBB137_66:                             ; =>This Loop Header: Depth=1
                                        ;     Child Loop BB137_69 Depth 2
	v_cmp_ne_u16_sdwa s[2:3], v63, v62 src0_sel:BYTE_0 src1_sel:DWORD
	v_cndmask_b32_e64 v18, 0, 1, s[2:3]
	;;#ASMSTART
	;;#ASMEND
	v_cmp_ne_u32_e32 vcc, 0, v18
	s_cmp_lg_u64 vcc, exec
	v_mov_b32_e32 v76, v77
	s_cbranch_scc1 .LBB137_65
; %bb.67:                               ;   in Loop: Header=BB137_66 Depth=1
	v_lshlrev_b64 v[18:19], 2, v[14:15]
	v_mov_b32_e32 v63, s27
	v_add_co_u32_e32 v18, vcc, s26, v18
	v_addc_co_u32_e32 v19, vcc, v63, v19, vcc
	global_load_dword v77, v[18:19], off glc
	s_waitcnt vmcnt(0)
	v_lshrrev_b32_e32 v63, 16, v77
	v_cmp_eq_u16_sdwa s[8:9], v63, v15 src0_sel:BYTE_0 src1_sel:DWORD
	s_and_saveexec_b64 s[2:3], s[8:9]
	s_cbranch_execz .LBB137_71
; %bb.68:                               ;   in Loop: Header=BB137_66 Depth=1
	s_mov_b64 s[8:9], 0
.LBB137_69:                             ;   Parent Loop BB137_66 Depth=1
                                        ; =>  This Inner Loop Header: Depth=2
	global_load_dword v77, v[18:19], off glc
	s_waitcnt vmcnt(0)
	v_lshrrev_b32_e32 v63, 16, v77
	v_cmp_ne_u16_sdwa s[10:11], v63, v15 src0_sel:BYTE_0 src1_sel:DWORD
	s_or_b64 s[8:9], s[10:11], s[8:9]
	s_andn2_b64 exec, exec, s[8:9]
	s_cbranch_execnz .LBB137_69
; %bb.70:                               ;   in Loop: Header=BB137_66 Depth=1
	s_or_b64 exec, exec, s[8:9]
.LBB137_71:                             ;   in Loop: Header=BB137_66 Depth=1
	s_or_b64 exec, exec, s[2:3]
	s_waitcnt lgkmcnt(0)
	v_and_b32_e32 v78, 0xffff, v77
	v_cmp_eq_u16_sdwa s[2:3], v63, v62 src0_sel:BYTE_0 src1_sel:DWORD
	ds_bpermute_b32 v79, v64, v78
	v_and_b32_e32 v18, s3, v17
	v_or_b32_e32 v18, 0x80000000, v18
	v_and_b32_e32 v19, s2, v16
	v_ffbl_b32_e32 v18, v18
	v_add_u32_e32 v18, 32, v18
	v_ffbl_b32_e32 v19, v19
	v_min_u32_e32 v80, v19, v18
	v_lshlrev_b32_e32 v18, 16, v77
	s_waitcnt lgkmcnt(0)
	v_lshlrev_b32_e32 v19, 16, v79
	v_cmp_lt_f32_e32 vcc, v19, v18
	v_cndmask_b32_e32 v18, v79, v77, vcc
	v_and_b32_e32 v19, 0xffff, v18
	v_cmp_le_u32_e64 s[8:9], v65, v80
	v_cndmask_b32_e64 v19, v78, v19, s[8:9]
	ds_bpermute_b32 v78, v66, v19
	v_lshlrev_b32_e32 v79, 16, v19
	v_cndmask_b32_e64 v18, v77, v18, s[8:9]
	v_cmp_le_u32_e64 s[10:11], v67, v80
	v_cmp_le_u32_e64 s[12:13], v69, v80
	s_waitcnt lgkmcnt(0)
	v_lshlrev_b32_e32 v81, 16, v78
	v_cmp_lt_f32_e32 vcc, v81, v79
	v_cndmask_b32_e32 v78, v78, v18, vcc
	v_and_b32_e32 v79, 0xffff, v78
	v_cndmask_b32_e64 v19, v19, v79, s[10:11]
	ds_bpermute_b32 v79, v68, v19
	v_cndmask_b32_e64 v18, v18, v78, s[10:11]
	v_lshlrev_b32_e32 v78, 16, v19
	v_cmp_le_u32_e64 s[14:15], v71, v80
	v_cmp_le_u32_e64 s[2:3], v73, v80
	s_waitcnt lgkmcnt(0)
	v_lshlrev_b32_e32 v81, 16, v79
	v_cmp_lt_f32_e32 vcc, v81, v78
	v_cndmask_b32_e32 v78, v79, v18, vcc
	v_and_b32_e32 v79, 0xffff, v78
	v_cndmask_b32_e64 v19, v19, v79, s[12:13]
	ds_bpermute_b32 v79, v70, v19
	v_cndmask_b32_e64 v18, v18, v78, s[12:13]
	v_lshlrev_b32_e32 v78, 16, v19
	v_cmp_le_u32_e64 s[16:17], v75, v80
	s_or_b64 s[10:11], s[10:11], s[16:17]
	s_waitcnt lgkmcnt(0)
	v_lshlrev_b32_e32 v81, 16, v79
	v_cmp_lt_f32_e32 vcc, v81, v78
	v_cndmask_b32_e32 v78, v79, v18, vcc
	v_and_b32_e32 v79, 0xffff, v78
	v_cndmask_b32_e64 v19, v19, v79, s[14:15]
	ds_bpermute_b32 v79, v72, v19
	v_cndmask_b32_e64 v18, v18, v78, s[14:15]
	v_lshlrev_b32_e32 v78, 16, v19
	s_or_b64 s[8:9], s[8:9], s[10:11]
	s_or_b64 s[8:9], s[12:13], s[8:9]
	s_waitcnt lgkmcnt(0)
	v_lshlrev_b32_e32 v81, 16, v79
	v_cmp_lt_f32_e32 vcc, v81, v78
	v_cndmask_b32_e32 v78, v79, v18, vcc
	v_and_b32_e32 v79, 0xffff, v78
	v_cndmask_b32_e64 v79, v19, v79, s[2:3]
	ds_bpermute_b32 v19, v74, v79
	s_or_b64 s[8:9], s[14:15], s[8:9]
	v_cmp_gt_u32_e32 vcc, v75, v80
	s_or_b64 s[10:11], s[2:3], s[8:9]
	s_and_saveexec_b64 s[8:9], s[10:11]
	s_cbranch_execz .LBB137_73
; %bb.72:                               ;   in Loop: Header=BB137_66 Depth=1
	v_cndmask_b32_e64 v18, v18, v78, s[2:3]
	s_waitcnt lgkmcnt(0)
	v_lshlrev_b32_e32 v77, 16, v19
	v_lshlrev_b32_e32 v78, 16, v79
	v_cmp_lt_f32_e64 s[2:3], v77, v78
	s_or_b64 vcc, vcc, s[2:3]
	v_cndmask_b32_e32 v77, v19, v18, vcc
.LBB137_73:                             ;   in Loop: Header=BB137_66 Depth=1
	s_or_b64 exec, exec, s[8:9]
	v_lshlrev_b32_e32 v18, 16, v76
	s_waitcnt lgkmcnt(0)
	v_lshlrev_b32_e32 v19, 16, v77
	v_cmp_lt_f32_e32 vcc, v19, v18
	v_subrev_u32_e32 v14, 64, v14
	v_cndmask_b32_e32 v77, v77, v76, vcc
	s_branch .LBB137_66
.LBB137_74:
	s_and_saveexec_b64 s[2:3], s[0:1]
	s_cbranch_execz .LBB137_76
; %bb.75:
	v_lshlrev_b32_e32 v14, 16, v61
	v_lshlrev_b32_e32 v15, 16, v76
	s_add_i32 s0, s6, 64
	s_mov_b32 s1, 0
	v_cmp_lt_f32_e32 vcc, v15, v14
	s_lshl_b64 s[0:1], s[0:1], 2
	v_cndmask_b32_e32 v14, v76, v61, vcc
	s_add_u32 s0, s26, s0
	s_mov_b32 s6, 0x20000
	s_addc_u32 s1, s27, s1
	v_mov_b32_e32 v15, 0
	v_or_b32_sdwa v14, v14, s6 dst_sel:DWORD dst_unused:UNUSED_PAD src0_sel:WORD_0 src1_sel:DWORD
	global_store_dword v15, v14, s[0:1]
.LBB137_76:
	s_or_b64 exec, exec, s[2:3]
	v_cmp_eq_u32_e32 vcc, 0, v0
	s_and_b64 exec, exec, vcc
	s_cbranch_execz .LBB137_78
; %bb.77:
	v_mov_b32_e32 v14, 0
	ds_write_b16 v14, v76
.LBB137_78:
	s_or_b64 exec, exec, s[28:29]
	v_mov_b32_e32 v14, 0
	s_waitcnt lgkmcnt(0)
	; wave barrier
	s_waitcnt lgkmcnt(0)
	ds_read_u16 v14, v14
	v_lshlrev_b32_e32 v15, 16, v60
	s_waitcnt lgkmcnt(0)
	v_lshlrev_b32_e32 v16, 16, v14
	v_cmp_lt_f32_e32 vcc, v16, v15
	v_cndmask_b32_e32 v15, v14, v60, vcc
	v_cmp_eq_u32_e32 vcc, 0, v0
	v_cndmask_b32_e32 v15, v15, v14, vcc
	v_lshlrev_b32_e32 v14, 16, v15
	v_cmp_gt_f32_e32 vcc, v55, v14
	v_cndmask_b32_e32 v14, v15, v10, vcc
	v_lshlrev_b32_e32 v16, 16, v14
	v_cmp_gt_f32_e32 vcc, v59, v16
	;; [unrolled: 3-line block ×23, first 2 shown]
	v_cndmask_b32_e32 v76, v75, v5, vcc
	s_load_dwordx4 s[0:3], s[4:5], 0x40
	s_branch .LBB137_87
.LBB137_79:
                                        ; implicit-def: $vgpr15
                                        ; implicit-def: $vgpr14
                                        ; implicit-def: $vgpr16
                                        ; implicit-def: $vgpr17
                                        ; implicit-def: $vgpr18
                                        ; implicit-def: $vgpr19
                                        ; implicit-def: $vgpr59
                                        ; implicit-def: $vgpr61
                                        ; implicit-def: $vgpr60
                                        ; implicit-def: $vgpr62
                                        ; implicit-def: $vgpr63
                                        ; implicit-def: $vgpr64
                                        ; implicit-def: $vgpr65
                                        ; implicit-def: $vgpr66
                                        ; implicit-def: $vgpr67
                                        ; implicit-def: $vgpr69
                                        ; implicit-def: $vgpr68
                                        ; implicit-def: $vgpr70
                                        ; implicit-def: $vgpr71
                                        ; implicit-def: $vgpr72
                                        ; implicit-def: $vgpr73
                                        ; implicit-def: $vgpr74
                                        ; implicit-def: $vgpr75
                                        ; implicit-def: $vgpr76
	s_load_dwordx4 s[0:3], s[4:5], 0x40
	s_cbranch_execz .LBB137_87
; %bb.80:
	s_load_dword s6, s[4:5], 0x50
	s_waitcnt lgkmcnt(0)
	s_bitcmp0_b32 s6, 0
	s_cbranch_scc1 .LBB137_82
; %bb.81:
	s_waitcnt vmcnt(0)
	v_mov_b32_e32 v1, 0
	global_load_ushort v14, v1, s[24:25] offset:-2
	global_load_ushort v15, v1, s[0:1]
	s_waitcnt vmcnt(1)
	v_lshlrev_b32_e32 v1, 16, v14
	s_waitcnt vmcnt(0)
	v_lshlrev_b32_e32 v16, 16, v15
	v_cmp_lt_f32_e32 vcc, v16, v1
	v_cndmask_b32_e32 v1, v15, v14, vcc
.LBB137_82:
	v_and_b32_e32 v16, 0xffff0000, v10
	v_cmp_lt_f32_e32 vcc, v55, v16
	v_cndmask_b32_e32 v14, v10, v54, vcc
	v_lshlrev_b32_e32 v15, 16, v14
	v_cmp_lt_f32_e32 vcc, v15, v53
	v_cndmask_b32_e32 v14, v14, v11, vcc
	v_lshlrev_b32_e32 v15, 16, v14
	;; [unrolled: 3-line block ×22, first 2 shown]
	v_cmp_lt_f32_e32 vcc, v15, v57
	v_cndmask_b32_e32 v15, v14, v56, vcc
	v_and_b32_e32 v18, 0xffff, v15
	v_lshlrev_b32_e32 v57, 16, v15
	v_mbcnt_hi_u32_b32 v14, -1, v58
	v_mov_b32_dpp v19, v18 row_shr:1 row_mask:0xf bank_mask:0xf
	v_lshlrev_b32_e32 v56, 16, v19
	v_cmp_lt_f32_e32 vcc, v56, v57
	v_and_b32_e32 v17, 15, v14
	v_cndmask_b32_e32 v19, v19, v15, vcc
	v_and_b32_e32 v56, 0xffff, v19
	v_cmp_eq_u32_e32 vcc, 0, v17
	v_cndmask_b32_e32 v18, v56, v18, vcc
	v_cndmask_b32_e32 v15, v19, v15, vcc
	v_lshlrev_b32_e32 v56, 16, v18
	v_mov_b32_dpp v19, v18 row_shr:2 row_mask:0xf bank_mask:0xf
	v_lshlrev_b32_e32 v57, 16, v19
	v_cmp_lt_f32_e32 vcc, v57, v56
	v_cndmask_b32_e32 v19, v19, v15, vcc
	v_and_b32_e32 v56, 0xffff, v19
	v_cmp_lt_u32_e32 vcc, 1, v17
	v_cndmask_b32_e32 v18, v18, v56, vcc
	v_cndmask_b32_e32 v15, v15, v19, vcc
	v_lshlrev_b32_e32 v56, 16, v18
	v_mov_b32_dpp v19, v18 row_shr:4 row_mask:0xf bank_mask:0xf
	v_lshlrev_b32_e32 v57, 16, v19
	v_cmp_lt_f32_e32 vcc, v57, v56
	v_cndmask_b32_e32 v19, v19, v15, vcc
	v_and_b32_e32 v56, 0xffff, v19
	v_cmp_lt_u32_e32 vcc, 3, v17
	;; [unrolled: 9-line block ×3, first 2 shown]
	v_cndmask_b32_e32 v17, v18, v56, vcc
	v_lshlrev_b32_e32 v56, 16, v17
	v_cndmask_b32_e32 v15, v15, v19, vcc
	v_mov_b32_dpp v18, v17 row_bcast:15 row_mask:0xf bank_mask:0xf
	v_lshlrev_b32_e32 v57, 16, v18
	v_cmp_lt_f32_e32 vcc, v57, v56
	v_and_b32_e32 v19, 16, v14
	v_cndmask_b32_e32 v18, v18, v15, vcc
	v_and_b32_e32 v56, 0xffff, v18
	v_cmp_eq_u32_e32 vcc, 0, v19
	v_cndmask_b32_e32 v17, v56, v17, vcc
	v_cndmask_b32_e32 v15, v18, v15, vcc
	s_nop 0
	v_mov_b32_dpp v18, v17 row_bcast:31 row_mask:0xf bank_mask:0xf
	v_lshlrev_b32_e32 v17, 16, v17
	v_lshlrev_b32_e32 v19, 16, v18
	v_cmp_lt_f32_e32 vcc, v19, v17
	v_cndmask_b32_e32 v17, v18, v15, vcc
	v_cmp_lt_u32_e32 vcc, 31, v14
	v_cndmask_b32_e32 v15, v15, v17, vcc
	v_cmp_eq_u32_e32 vcc, 63, v0
	s_and_saveexec_b64 s[0:1], vcc
	s_cbranch_execz .LBB137_84
; %bb.83:
	v_mov_b32_e32 v17, 0
	ds_write_b16 v17, v15
.LBB137_84:
	s_or_b64 exec, exec, s[0:1]
	s_waitcnt vmcnt(0)
	v_lshlrev_b32_e32 v56, 16, v1
	v_lshlrev_b32_e32 v17, 16, v15
	v_cmp_lt_f32_e32 vcc, v56, v17
	v_add_u32_e32 v17, -1, v14
	v_and_b32_e32 v18, 64, v14
	v_cndmask_b32_e32 v15, v1, v15, vcc
	v_cmp_lt_i32_e32 vcc, v17, v18
	v_cndmask_b32_e32 v17, v17, v14, vcc
	v_and_b32_e32 v15, 0xffff, v15
	v_lshlrev_b32_e32 v17, 2, v17
	ds_bpermute_b32 v15, v17, v15
	v_cmp_eq_u32_e32 vcc, 0, v14
	v_cmp_eq_u32_e64 s[0:1], 0, v0
	s_or_b64 vcc, s[0:1], vcc
	s_waitcnt lgkmcnt(0)
	v_cndmask_b32_e32 v15, v15, v1, vcc
	v_lshlrev_b32_e32 v14, 16, v15
	v_cmp_gt_f32_e32 vcc, v55, v14
	v_cndmask_b32_e32 v14, v15, v10, vcc
	v_lshlrev_b32_e32 v10, 16, v14
	v_cmp_gt_f32_e32 vcc, v16, v10
	;; [unrolled: 3-line block ×23, first 2 shown]
	; wave barrier
	s_and_saveexec_b64 s[6:7], s[0:1]
	s_cbranch_execz .LBB137_86
; %bb.85:
	v_mov_b32_e32 v2, 0
	ds_read_u16 v3, v2
	s_mov_b32 s8, 0x20000
	v_mov_b32_e32 v15, v1
	s_waitcnt lgkmcnt(0)
	v_lshlrev_b32_e32 v4, 16, v3
	v_cmp_lt_f32_e64 s[0:1], v56, v4
	v_cndmask_b32_e64 v3, v1, v3, s[0:1]
	v_or_b32_sdwa v3, v3, s8 dst_sel:DWORD dst_unused:UNUSED_PAD src0_sel:WORD_0 src1_sel:DWORD
	global_store_dword v2, v3, s[26:27] offset:256
.LBB137_86:
	s_or_b64 exec, exec, s[6:7]
	v_cndmask_b32_e32 v76, v75, v5, vcc
.LBB137_87:
	s_waitcnt lgkmcnt(0)
	s_add_u32 s0, s20, s22
	s_addc_u32 s1, s21, s23
	s_mov_b64 s[6:7], -1
	s_and_b64 vcc, exec, s[18:19]
	s_waitcnt lgkmcnt(0)
	; wave barrier
	s_cbranch_vccz .LBB137_89
; %bb.88:
	s_mov_b32 s6, 0x5040100
	v_perm_b32 v5, v61, v59, s6
	v_perm_b32 v4, v19, v18, s6
	v_perm_b32 v3, v17, v16, s6
	v_perm_b32 v2, v14, v15, s6
	ds_write_b128 v22, v[2:5]
	v_perm_b32 v5, v69, v67, s6
	v_perm_b32 v4, v66, v65, s6
	;; [unrolled: 1-line block ×4, first 2 shown]
	ds_write_b128 v22, v[2:5] offset:16
	v_perm_b32 v5, v76, v75, s6
	v_perm_b32 v4, v74, v73, s6
	;; [unrolled: 1-line block ×4, first 2 shown]
	ds_write_b128 v22, v[2:5] offset:32
	s_waitcnt lgkmcnt(0)
	; wave barrier
	s_waitcnt vmcnt(0) lgkmcnt(0)
	ds_read_u16 v1, v20
	ds_read_u16 v2, v20 offset:128
	ds_read_u16 v3, v20 offset:256
	;; [unrolled: 1-line block ×23, first 2 shown]
	s_waitcnt lgkmcnt(14)
	global_store_short v20, v1, s[0:1]
	global_store_short v20, v2, s[0:1] offset:128
	global_store_short v20, v3, s[0:1] offset:256
	;; [unrolled: 1-line block ×9, first 2 shown]
	s_waitcnt lgkmcnt(13)
	global_store_short v20, v11, s[0:1] offset:1280
	s_waitcnt lgkmcnt(12)
	global_store_short v20, v12, s[0:1] offset:1408
	;; [unrolled: 2-line block ×14, first 2 shown]
	s_mov_b64 s[6:7], 0
.LBB137_89:
	s_andn2_b64 vcc, exec, s[6:7]
	s_cbranch_vccnz .LBB137_146
; %bb.90:
	s_mov_b32 s6, 0x5040100
	v_perm_b32 v5, v61, v59, s6
	v_perm_b32 v4, v19, v18, s6
	;; [unrolled: 1-line block ×4, first 2 shown]
	ds_write_b128 v22, v[2:5]
	v_perm_b32 v5, v69, v67, s6
	v_perm_b32 v4, v66, v65, s6
	;; [unrolled: 1-line block ×4, first 2 shown]
	ds_write_b128 v22, v[2:5] offset:16
	v_perm_b32 v5, v76, v75, s6
	v_perm_b32 v4, v74, v73, s6
	;; [unrolled: 1-line block ×4, first 2 shown]
	s_movk_i32 s6, 0xffd2
	ds_write_b128 v22, v[2:5] offset:32
	v_mad_i32_i24 v2, v0, s6, v22
	s_waitcnt lgkmcnt(0)
	; wave barrier
	s_waitcnt lgkmcnt(0)
	ds_read_u16 v5, v2
	ds_read_u16 v4, v2 offset:128
	ds_read_u16 v7, v2 offset:256
	;; [unrolled: 1-line block ×23, first 2 shown]
	v_mov_b32_e32 v3, s1
	v_add_co_u32_e32 v2, vcc, s0, v20
	v_addc_co_u32_e32 v3, vcc, 0, v3, vcc
	s_waitcnt vmcnt(0)
	v_mov_b32_e32 v1, 0
	v_cmp_gt_u32_e32 vcc, s30, v0
	s_and_saveexec_b64 s[0:1], vcc
	s_cbranch_execz .LBB137_92
; %bb.91:
	s_waitcnt lgkmcnt(14)
	global_store_short v[2:3], v5, off
.LBB137_92:
	s_or_b64 exec, exec, s[0:1]
	v_or_b32_e32 v20, 64, v0
	v_cmp_gt_u32_e32 vcc, s30, v20
	s_and_saveexec_b64 s[0:1], vcc
	s_cbranch_execz .LBB137_94
; %bb.93:
	s_waitcnt lgkmcnt(14)
	global_store_short v[2:3], v4, off offset:128
.LBB137_94:
	s_or_b64 exec, exec, s[0:1]
	v_or_b32_e32 v20, 0x80, v0
	v_cmp_gt_u32_e32 vcc, s30, v20
	s_and_saveexec_b64 s[0:1], vcc
	s_cbranch_execz .LBB137_96
; %bb.95:
	s_waitcnt lgkmcnt(14)
	global_store_short v[2:3], v7, off offset:256
.LBB137_96:
	;; [unrolled: 9-line block ×23, first 2 shown]
	s_or_b64 exec, exec, s[0:1]
	s_load_dword s0, s[4:5], 0x50
	s_waitcnt lgkmcnt(0)
	s_bfe_u32 s0, s0, 0x10008
	s_cmp_eq_u32 s0, 0
	s_cbranch_scc1 .LBB137_146
; %bb.139:
	s_add_u32 s0, s30, -1
	s_addc_u32 s1, s31, -1
	s_add_u32 s4, 0, 0xaaaa0000
	s_addc_u32 s5, 0, 42
	s_add_i32 s5, s5, 0xaaaaa80
	s_mul_hi_u32 s9, s4, 0xffffffe8
	s_sub_i32 s9, s9, s4
	s_mul_i32 s10, s5, 0xffffffe8
	s_mul_i32 s6, s4, 0xffffffe8
	s_add_i32 s9, s9, s10
	s_mul_hi_u32 s7, s5, s6
	s_mul_i32 s8, s5, s6
	s_mul_i32 s11, s4, s9
	s_mul_hi_u32 s6, s4, s6
	s_mul_hi_u32 s10, s4, s9
	s_add_u32 s6, s6, s11
	s_addc_u32 s10, 0, s10
	s_add_u32 s6, s6, s8
	s_mul_hi_u32 s11, s5, s9
	s_addc_u32 s6, s10, s7
	s_addc_u32 s7, s11, 0
	s_mul_i32 s8, s5, s9
	s_add_u32 s6, s6, s8
	v_mov_b32_e32 v2, s6
	s_addc_u32 s7, 0, s7
	v_add_co_u32_e32 v2, vcc, s4, v2
	s_cmp_lg_u64 vcc, 0
	s_addc_u32 s4, s5, s7
	v_readfirstlane_b32 s7, v2
	s_mul_i32 s6, s0, s4
	s_mul_hi_u32 s8, s0, s7
	s_mul_hi_u32 s5, s0, s4
	s_add_u32 s6, s8, s6
	s_addc_u32 s5, 0, s5
	s_mul_hi_u32 s9, s1, s7
	s_mul_i32 s7, s1, s7
	s_add_u32 s6, s6, s7
	s_mul_hi_u32 s8, s1, s4
	s_addc_u32 s5, s5, s9
	s_addc_u32 s6, s8, 0
	s_mul_i32 s4, s1, s4
	s_add_u32 s4, s5, s4
	s_addc_u32 s5, 0, s6
	s_add_u32 s6, s4, 1
	s_addc_u32 s7, s5, 0
	s_add_u32 s8, s4, 2
	s_mul_i32 s10, s5, 24
	s_mul_hi_u32 s11, s4, 24
	s_addc_u32 s9, s5, 0
	s_add_i32 s11, s11, s10
	s_mul_i32 s10, s4, 24
	v_mov_b32_e32 v2, s10
	v_sub_co_u32_e32 v2, vcc, s0, v2
	s_cmp_lg_u64 vcc, 0
	s_subb_u32 s10, s1, s11
	v_subrev_co_u32_e32 v3, vcc, 24, v2
	s_cmp_lg_u64 vcc, 0
	s_subb_u32 s11, s10, 0
	v_readfirstlane_b32 s12, v3
	s_cmp_gt_u32 s12, 23
	s_cselect_b32 s12, -1, 0
	s_cmp_eq_u32 s11, 0
	s_cselect_b32 s11, s12, -1
	s_cmp_lg_u32 s11, 0
	s_cselect_b32 s6, s8, s6
	v_readfirstlane_b32 s8, v2
	s_cselect_b32 s7, s9, s7
	s_cmp_gt_u32 s8, 23
	s_cselect_b32 s8, -1, 0
	s_cmp_eq_u32 s10, 0
	s_cselect_b32 s8, s8, -1
	s_cmp_lg_u32 s8, 0
	s_cselect_b32 s5, s7, s5
	s_cselect_b32 s4, s6, s4
	v_cmp_eq_u64_e32 vcc, s[4:5], v[0:1]
	s_and_saveexec_b64 s[4:5], vcc
	s_cbranch_execz .LBB137_146
; %bb.140:
	v_mul_hi_u32_u24_e32 v1, 24, v0
	v_mov_b32_e32 v2, s1
	v_sub_co_u32_e32 v0, vcc, s0, v21
	v_subb_co_u32_e32 v1, vcc, v2, v1, vcc
	v_cmp_lt_i64_e32 vcc, 11, v[0:1]
	s_mov_b64 s[0:1], 0
	s_mov_b64 s[10:11], 0
	s_mov_b64 s[8:9], 0
	s_mov_b64 s[6:7], 0
	s_and_saveexec_b64 s[4:5], vcc
	s_xor_b64 s[4:5], exec, s[4:5]
	s_cbranch_execnz .LBB137_147
; %bb.141:
	s_andn2_saveexec_b64 s[4:5], s[4:5]
	s_cbranch_execnz .LBB137_192
.LBB137_142:
	s_or_b64 exec, exec, s[4:5]
	s_and_saveexec_b64 s[4:5], s[10:11]
	s_cbranch_execnz .LBB137_209
.LBB137_143:
	s_or_b64 exec, exec, s[4:5]
	s_and_saveexec_b64 s[4:5], s[8:9]
	s_cbranch_execnz .LBB137_210
.LBB137_144:
	s_or_b64 exec, exec, s[4:5]
	s_and_saveexec_b64 s[4:5], s[6:7]
	s_xor_b64 s[4:5], exec, s[4:5]
	s_cbranch_execnz .LBB137_211
.LBB137_145:
	s_or_b64 exec, exec, s[4:5]
	s_and_b64 exec, exec, s[0:1]
	s_cbranch_execnz .LBB137_212
.LBB137_146:
	s_endpgm
.LBB137_147:
	v_cmp_lt_i64_e32 vcc, 17, v[0:1]
	s_and_saveexec_b64 s[12:13], vcc
	s_xor_b64 s[12:13], exec, s[12:13]
	s_cbranch_execz .LBB137_169
; %bb.148:
	v_cmp_lt_i64_e32 vcc, 20, v[0:1]
                                        ; implicit-def: $vgpr10
	s_and_saveexec_b64 s[14:15], vcc
	s_xor_b64 s[14:15], exec, s[14:15]
	s_cbranch_execz .LBB137_158
; %bb.149:
	v_cmp_lt_i64_e32 vcc, 21, v[0:1]
	s_mov_b64 s[16:17], 0
                                        ; implicit-def: $vgpr10
	s_and_saveexec_b64 s[6:7], vcc
	s_xor_b64 s[6:7], exec, s[6:7]
	s_cbranch_execz .LBB137_155
; %bb.150:
	v_cmp_lt_i64_e32 vcc, 22, v[0:1]
	s_and_saveexec_b64 s[16:17], vcc
	s_xor_b64 s[16:17], exec, s[16:17]
	s_cbranch_execz .LBB137_152
; %bb.151:
	v_mov_b32_e32 v2, 0
	global_store_short v2, v29, s[2:3]
                                        ; implicit-def: $vgpr28
.LBB137_152:
	s_or_saveexec_b64 s[16:17], s[16:17]
	s_mov_b64 s[18:19], 0
	s_xor_b64 exec, exec, s[16:17]
; %bb.153:
	s_mov_b64 s[18:19], exec
; %bb.154:
	s_or_b64 exec, exec, s[16:17]
	s_and_b64 s[16:17], s[18:19], exec
	v_mov_b32_e32 v10, v28
                                        ; implicit-def: $vgpr11
.LBB137_155:
	s_andn2_saveexec_b64 s[6:7], s[6:7]
; %bb.156:
	s_mov_b64 s[8:9], exec
                                        ; implicit-def: $vgpr10
; %bb.157:
	s_or_b64 exec, exec, s[6:7]
	s_and_b64 s[6:7], s[16:17], exec
	s_and_b64 s[8:9], s[8:9], exec
                                        ; implicit-def: $vgpr26
                                        ; implicit-def: $vgpr12
                                        ; implicit-def: $vgpr23
.LBB137_158:
	s_andn2_saveexec_b64 s[14:15], s[14:15]
	s_cbranch_execz .LBB137_168
; %bb.159:
	v_cmp_lt_i64_e32 vcc, 18, v[0:1]
	s_mov_b64 s[16:17], 0
	s_and_saveexec_b64 s[10:11], vcc
	s_xor_b64 s[10:11], exec, s[10:11]
	s_cbranch_execz .LBB137_165
; %bb.160:
	v_cmp_lt_i64_e32 vcc, 19, v[0:1]
	s_and_saveexec_b64 s[18:19], vcc
	s_xor_b64 s[18:19], exec, s[18:19]
; %bb.161:
	s_mov_b64 s[16:17], exec
                                        ; implicit-def: $vgpr23
; %bb.162:
	s_andn2_saveexec_b64 s[18:19], s[18:19]
	s_cbranch_execz .LBB137_164
; %bb.163:
	v_mov_b32_e32 v2, 0
	global_store_short v2, v23, s[2:3]
                                        ; implicit-def: $vgpr12
.LBB137_164:
	s_or_b64 exec, exec, s[18:19]
	s_and_b64 s[16:17], s[16:17], exec
                                        ; implicit-def: $vgpr26
.LBB137_165:
	s_andn2_saveexec_b64 s[10:11], s[10:11]
	s_cbranch_execz .LBB137_167
; %bb.166:
	v_mov_b32_e32 v2, 0
	global_store_short v2, v26, s[2:3]
                                        ; implicit-def: $vgpr12
.LBB137_167:
	s_or_b64 exec, exec, s[10:11]
	s_and_b64 s[10:11], s[16:17], exec
                                        ; implicit-def: $vgpr10
                                        ; implicit-def: $vgpr11
.LBB137_168:
	s_or_b64 exec, exec, s[14:15]
	s_and_b64 s[6:7], s[6:7], exec
	s_and_b64 s[8:9], s[8:9], exec
	;; [unrolled: 1-line block ×3, first 2 shown]
                                        ; implicit-def: $vgpr18
                                        ; implicit-def: $vgpr13
                                        ; implicit-def: $vgpr14
                                        ; implicit-def: $vgpr24
                                        ; implicit-def: $vgpr27
.LBB137_169:
	s_andn2_saveexec_b64 s[12:13], s[12:13]
	s_cbranch_execz .LBB137_191
; %bb.170:
	v_cmp_lt_i64_e32 vcc, 14, v[0:1]
	s_mov_b64 s[14:15], s[6:7]
	s_and_saveexec_b64 s[16:17], vcc
	s_xor_b64 s[16:17], exec, s[16:17]
	s_cbranch_execz .LBB137_180
; %bb.171:
	v_cmp_lt_i64_e32 vcc, 15, v[0:1]
	s_and_saveexec_b64 s[14:15], vcc
	s_xor_b64 s[14:15], exec, s[14:15]
	s_cbranch_execz .LBB137_177
; %bb.172:
	v_cmp_lt_i64_e32 vcc, 16, v[0:1]
	s_and_saveexec_b64 s[18:19], vcc
	s_xor_b64 s[18:19], exec, s[18:19]
	s_cbranch_execz .LBB137_174
; %bb.173:
	v_mov_b32_e32 v2, 0
	global_store_short v2, v27, s[2:3]
                                        ; implicit-def: $vgpr24
.LBB137_174:
	s_andn2_saveexec_b64 s[18:19], s[18:19]
	s_cbranch_execz .LBB137_176
; %bb.175:
	v_mov_b32_e32 v2, 0
	global_store_short v2, v24, s[2:3]
.LBB137_176:
	s_or_b64 exec, exec, s[18:19]
                                        ; implicit-def: $vgpr10
.LBB137_177:
	s_or_saveexec_b64 s[14:15], s[14:15]
	s_mov_b64 s[18:19], s[6:7]
	s_xor_b64 exec, exec, s[14:15]
; %bb.178:
	s_or_b64 s[18:19], s[6:7], exec
; %bb.179:
	s_or_b64 exec, exec, s[14:15]
	s_andn2_b64 s[14:15], s[6:7], exec
	s_and_b64 s[18:19], s[18:19], exec
	s_or_b64 s[14:15], s[14:15], s[18:19]
                                        ; implicit-def: $vgpr18
                                        ; implicit-def: $vgpr13
                                        ; implicit-def: $vgpr14
.LBB137_180:
	s_or_saveexec_b64 s[16:17], s[16:17]
	s_mov_b64 s[18:19], s[8:9]
                                        ; implicit-def: $vgpr11
	s_xor_b64 exec, exec, s[16:17]
	s_cbranch_execz .LBB137_190
; %bb.181:
	v_cmp_lt_i64_e32 vcc, 12, v[0:1]
	s_mov_b64 s[20:21], s[8:9]
	s_mov_b64 s[22:23], s[14:15]
                                        ; implicit-def: $vgpr10
                                        ; implicit-def: $vgpr11
	s_and_saveexec_b64 s[18:19], vcc
	s_xor_b64 s[18:19], exec, s[18:19]
	s_cbranch_execz .LBB137_187
; %bb.182:
	v_cmp_lt_i64_e32 vcc, 13, v[0:1]
	s_mov_b64 s[20:21], s[14:15]
	s_and_saveexec_b64 s[22:23], vcc
	s_xor_b64 s[22:23], exec, s[22:23]
; %bb.183:
	s_or_b64 s[20:21], s[14:15], exec
                                        ; implicit-def: $vgpr13
; %bb.184:
	s_or_saveexec_b64 s[22:23], s[22:23]
	s_mov_b64 s[24:25], s[8:9]
	s_xor_b64 exec, exec, s[22:23]
; %bb.185:
	s_or_b64 s[24:25], s[8:9], exec
                                        ; implicit-def: $vgpr14
; %bb.186:
	s_or_b64 exec, exec, s[22:23]
	s_andn2_b64 s[22:23], s[14:15], exec
	s_and_b64 s[20:21], s[20:21], exec
	s_or_b64 s[22:23], s[22:23], s[20:21]
	s_andn2_b64 s[20:21], s[8:9], exec
	s_and_b64 s[24:25], s[24:25], exec
	s_or_b64 s[20:21], s[20:21], s[24:25]
	v_mov_b32_e32 v10, v14
	v_mov_b32_e32 v11, v13
                                        ; implicit-def: $vgpr18
.LBB137_187:
	s_andn2_saveexec_b64 s[18:19], s[18:19]
; %bb.188:
	s_or_b64 s[20:21], s[20:21], exec
                                        ; implicit-def: $vgpr10
	v_mov_b32_e32 v11, v18
; %bb.189:
	s_or_b64 exec, exec, s[18:19]
	s_andn2_b64 s[14:15], s[14:15], exec
	s_and_b64 s[18:19], s[22:23], exec
	s_or_b64 s[14:15], s[14:15], s[18:19]
	s_andn2_b64 s[18:19], s[8:9], exec
	s_and_b64 s[20:21], s[20:21], exec
	s_or_b64 s[18:19], s[18:19], s[20:21]
.LBB137_190:
	s_or_b64 exec, exec, s[16:17]
	s_andn2_b64 s[6:7], s[6:7], exec
	s_and_b64 s[14:15], s[14:15], exec
	s_or_b64 s[6:7], s[6:7], s[14:15]
	s_andn2_b64 s[8:9], s[8:9], exec
	s_and_b64 s[14:15], s[18:19], exec
	s_or_b64 s[8:9], s[8:9], s[14:15]
                                        ; implicit-def: $vgpr12
.LBB137_191:
	s_or_b64 exec, exec, s[12:13]
	s_and_b64 s[6:7], s[6:7], exec
	s_and_b64 s[8:9], s[8:9], exec
	;; [unrolled: 1-line block ×3, first 2 shown]
                                        ; implicit-def: $vgpr17
                                        ; implicit-def: $vgpr15
                                        ; implicit-def: $vgpr16
                                        ; implicit-def: $vgpr25
                                        ; implicit-def: $vgpr22
                                        ; implicit-def: $vgpr19
	s_andn2_saveexec_b64 s[4:5], s[4:5]
	s_cbranch_execz .LBB137_142
.LBB137_192:
	v_cmp_lt_i64_e32 vcc, 5, v[0:1]
	s_mov_b64 s[14:15], -1
	s_mov_b64 s[12:13], s[10:11]
	s_mov_b64 s[16:17], s[8:9]
	;; [unrolled: 1-line block ×3, first 2 shown]
                                        ; implicit-def: $vgpr10
                                        ; implicit-def: $vgpr11
                                        ; implicit-def: $vgpr12
	s_and_saveexec_b64 s[0:1], vcc
	s_cbranch_execz .LBB137_208
; %bb.193:
	v_cmp_lt_i64_e32 vcc, 8, v[0:1]
	s_mov_b64 s[12:13], s[10:11]
                                        ; implicit-def: $vgpr12
	s_and_saveexec_b64 s[14:15], vcc
	s_xor_b64 s[14:15], exec, s[14:15]
	s_cbranch_execz .LBB137_203
; %bb.194:
	v_cmp_lt_i64_e32 vcc, 9, v[0:1]
	s_and_saveexec_b64 s[12:13], vcc
	s_xor_b64 s[12:13], exec, s[12:13]
	s_cbranch_execz .LBB137_200
; %bb.195:
	v_cmp_lt_i64_e32 vcc, 10, v[0:1]
	s_and_saveexec_b64 s[16:17], vcc
	s_xor_b64 s[16:17], exec, s[16:17]
; %bb.196:
                                        ; implicit-def: $vgpr22
; %bb.197:
	s_andn2_saveexec_b64 s[16:17], s[16:17]
; %bb.198:
	v_mov_b32_e32 v19, v22
; %bb.199:
	s_or_b64 exec, exec, s[16:17]
                                        ; implicit-def: $vgpr25
.LBB137_200:
	s_andn2_saveexec_b64 s[12:13], s[12:13]
; %bb.201:
	v_mov_b32_e32 v19, v25
; %bb.202:
	s_or_b64 exec, exec, s[12:13]
	s_or_b64 s[12:13], s[10:11], exec
	v_mov_b32_e32 v12, v19
                                        ; implicit-def: $vgpr17
                                        ; implicit-def: $vgpr15
                                        ; implicit-def: $vgpr16
.LBB137_203:
	s_or_saveexec_b64 s[14:15], s[14:15]
	s_mov_b64 s[16:17], s[8:9]
	s_mov_b64 s[20:21], s[6:7]
                                        ; implicit-def: $vgpr10
                                        ; implicit-def: $vgpr11
	s_xor_b64 exec, exec, s[14:15]
	s_cbranch_execz .LBB137_207
; %bb.204:
	v_cmp_lt_i64_e32 vcc, 6, v[0:1]
	s_mov_b64 s[20:21], -1
	s_mov_b64 s[18:19], s[12:13]
	s_mov_b64 s[16:17], s[8:9]
	s_and_saveexec_b64 s[22:23], vcc
; %bb.205:
	v_cmp_lt_i64_e32 vcc, 7, v[0:1]
	s_andn2_b64 s[18:19], s[12:13], exec
	s_and_b64 s[24:25], vcc, exec
	s_xor_b64 s[20:21], exec, -1
	s_or_b64 s[16:17], s[8:9], exec
	s_or_b64 s[18:19], s[18:19], s[24:25]
                                        ; implicit-def: $vgpr17
; %bb.206:
	s_or_b64 exec, exec, s[22:23]
	s_andn2_b64 s[22:23], s[6:7], exec
	s_and_b64 s[20:21], s[20:21], exec
	s_or_b64 s[20:21], s[22:23], s[20:21]
	s_andn2_b64 s[22:23], s[8:9], exec
	s_and_b64 s[16:17], s[16:17], exec
	s_andn2_b64 s[12:13], s[12:13], exec
	s_and_b64 s[18:19], s[18:19], exec
	s_or_b64 s[16:17], s[22:23], s[16:17]
	s_or_b64 s[12:13], s[12:13], s[18:19]
	v_mov_b32_e32 v10, v17
	v_mov_b32_e32 v11, v15
	v_mov_b32_e32 v12, v16
.LBB137_207:
	s_or_b64 exec, exec, s[14:15]
	s_andn2_b64 s[18:19], s[6:7], exec
	s_and_b64 s[20:21], s[20:21], exec
	s_or_b64 s[18:19], s[18:19], s[20:21]
	s_andn2_b64 s[20:21], s[8:9], exec
	s_and_b64 s[16:17], s[16:17], exec
	s_or_b64 s[16:17], s[20:21], s[16:17]
	s_andn2_b64 s[20:21], s[10:11], exec
	s_and_b64 s[12:13], s[12:13], exec
	s_xor_b64 s[14:15], exec, -1
	s_or_b64 s[12:13], s[20:21], s[12:13]
.LBB137_208:
	s_or_b64 exec, exec, s[0:1]
	s_and_b64 s[0:1], s[14:15], exec
	s_andn2_b64 s[6:7], s[6:7], exec
	s_and_b64 s[14:15], s[18:19], exec
	s_or_b64 s[6:7], s[6:7], s[14:15]
	s_andn2_b64 s[8:9], s[8:9], exec
	s_and_b64 s[14:15], s[16:17], exec
	s_andn2_b64 s[10:11], s[10:11], exec
	s_and_b64 s[12:13], s[12:13], exec
	s_or_b64 s[8:9], s[8:9], s[14:15]
	s_or_b64 s[10:11], s[10:11], s[12:13]
	s_or_b64 exec, exec, s[4:5]
	s_and_saveexec_b64 s[4:5], s[10:11]
	s_cbranch_execz .LBB137_143
.LBB137_209:
	v_mov_b32_e32 v2, 0
	s_andn2_b64 s[8:9], s[8:9], exec
	global_store_short v2, v12, s[2:3]
                                        ; implicit-def: $vgpr10
                                        ; implicit-def: $vgpr11
	s_or_b64 exec, exec, s[4:5]
	s_and_saveexec_b64 s[4:5], s[8:9]
	s_cbranch_execz .LBB137_144
.LBB137_210:
	v_mov_b32_e32 v2, 0
	global_store_short v2, v11, s[2:3]
                                        ; implicit-def: $vgpr10
	s_or_b64 exec, exec, s[4:5]
	s_and_saveexec_b64 s[4:5], s[6:7]
	s_xor_b64 s[4:5], exec, s[4:5]
	s_cbranch_execz .LBB137_145
.LBB137_211:
	v_mov_b32_e32 v2, 0
	global_store_short v2, v10, s[2:3]
	s_or_b64 exec, exec, s[4:5]
	s_and_b64 exec, exec, s[0:1]
	s_cbranch_execz .LBB137_146
.LBB137_212:
	v_cmp_lt_i64_e32 vcc, 2, v[0:1]
	s_and_saveexec_b64 s[0:1], vcc
	s_xor_b64 s[0:1], exec, s[0:1]
	s_cbranch_execz .LBB137_222
; %bb.213:
	v_cmp_lt_i64_e32 vcc, 3, v[0:1]
	s_and_saveexec_b64 s[4:5], vcc
	s_xor_b64 s[4:5], exec, s[4:5]
	s_cbranch_execz .LBB137_219
; %bb.214:
	;; [unrolled: 5-line block ×3, first 2 shown]
	v_mov_b32_e32 v0, 0
	global_store_short v0, v9, s[2:3]
                                        ; implicit-def: $vgpr6
.LBB137_216:
	s_andn2_saveexec_b64 s[6:7], s[6:7]
	s_cbranch_execz .LBB137_218
; %bb.217:
	v_mov_b32_e32 v0, 0
	global_store_short v0, v6, s[2:3]
.LBB137_218:
	s_or_b64 exec, exec, s[6:7]
                                        ; implicit-def: $vgpr8
.LBB137_219:
	s_andn2_saveexec_b64 s[4:5], s[4:5]
	s_cbranch_execz .LBB137_221
; %bb.220:
	v_mov_b32_e32 v0, 0
	global_store_short v0, v8, s[2:3]
.LBB137_221:
	s_or_b64 exec, exec, s[4:5]
                                        ; implicit-def: $vgpr0_vgpr1
                                        ; implicit-def: $vgpr7
                                        ; implicit-def: $vgpr4
                                        ; implicit-def: $vgpr5
.LBB137_222:
	s_andn2_saveexec_b64 s[0:1], s[0:1]
	s_cbranch_execz .LBB137_146
; %bb.223:
	v_cmp_lt_i64_e32 vcc, 1, v[0:1]
	s_and_saveexec_b64 s[0:1], vcc
	s_xor_b64 s[0:1], exec, s[0:1]
	s_cbranch_execz .LBB137_225
; %bb.224:
	v_mov_b32_e32 v0, 0
	global_store_short v0, v7, s[2:3]
                                        ; implicit-def: $vgpr4
                                        ; implicit-def: $vgpr0_vgpr1
                                        ; implicit-def: $vgpr5
.LBB137_225:
	s_andn2_saveexec_b64 s[0:1], s[0:1]
	s_cbranch_execz .LBB137_146
; %bb.226:
	v_cmp_ne_u64_e32 vcc, 1, v[0:1]
	s_and_saveexec_b64 s[0:1], vcc
	s_xor_b64 s[0:1], exec, s[0:1]
	s_cbranch_execz .LBB137_228
; %bb.227:
	v_mov_b32_e32 v0, 0
	global_store_short v0, v5, s[2:3]
                                        ; implicit-def: $vgpr4
.LBB137_228:
	s_andn2_saveexec_b64 s[0:1], s[0:1]
	s_cbranch_execz .LBB137_146
; %bb.229:
	v_mov_b32_e32 v0, 0
	global_store_short v0, v4, s[2:3]
	s_endpgm
	.section	.rodata,"a",@progbits
	.p2align	6, 0x0
	.amdhsa_kernel _ZN7rocprim6detail20lookback_scan_kernelILNS0_25lookback_scan_determinismE0ELb1ENS0_19wrapped_scan_configINS_14default_configE12hip_bfloat16EEN6hipcub22TransformInputIteratorIS5_NS7_6CastOpIS5_EEPS5_lEESB_NS7_3MaxENS_12future_valueIS5_SB_EES5_NS0_19lookback_scan_stateIS5_Lb0ELb1EEEEEvT2_T3_mT5_T4_T7_jPT6_SO_bb
		.amdhsa_group_segment_fixed_size 3072
		.amdhsa_private_segment_fixed_size 0
		.amdhsa_kernarg_size 84
		.amdhsa_user_sgpr_count 6
		.amdhsa_user_sgpr_private_segment_buffer 1
		.amdhsa_user_sgpr_dispatch_ptr 0
		.amdhsa_user_sgpr_queue_ptr 0
		.amdhsa_user_sgpr_kernarg_segment_ptr 1
		.amdhsa_user_sgpr_dispatch_id 0
		.amdhsa_user_sgpr_flat_scratch_init 0
		.amdhsa_user_sgpr_kernarg_preload_length 0
		.amdhsa_user_sgpr_kernarg_preload_offset 0
		.amdhsa_user_sgpr_private_segment_size 0
		.amdhsa_uses_dynamic_stack 0
		.amdhsa_system_sgpr_private_segment_wavefront_offset 0
		.amdhsa_system_sgpr_workgroup_id_x 1
		.amdhsa_system_sgpr_workgroup_id_y 0
		.amdhsa_system_sgpr_workgroup_id_z 0
		.amdhsa_system_sgpr_workgroup_info 0
		.amdhsa_system_vgpr_workitem_id 0
		.amdhsa_next_free_vgpr 82
		.amdhsa_next_free_sgpr 32
		.amdhsa_accum_offset 84
		.amdhsa_reserve_vcc 1
		.amdhsa_reserve_flat_scratch 0
		.amdhsa_float_round_mode_32 0
		.amdhsa_float_round_mode_16_64 0
		.amdhsa_float_denorm_mode_32 3
		.amdhsa_float_denorm_mode_16_64 3
		.amdhsa_dx10_clamp 1
		.amdhsa_ieee_mode 1
		.amdhsa_fp16_overflow 0
		.amdhsa_tg_split 0
		.amdhsa_exception_fp_ieee_invalid_op 0
		.amdhsa_exception_fp_denorm_src 0
		.amdhsa_exception_fp_ieee_div_zero 0
		.amdhsa_exception_fp_ieee_overflow 0
		.amdhsa_exception_fp_ieee_underflow 0
		.amdhsa_exception_fp_ieee_inexact 0
		.amdhsa_exception_int_div_zero 0
	.end_amdhsa_kernel
	.section	.text._ZN7rocprim6detail20lookback_scan_kernelILNS0_25lookback_scan_determinismE0ELb1ENS0_19wrapped_scan_configINS_14default_configE12hip_bfloat16EEN6hipcub22TransformInputIteratorIS5_NS7_6CastOpIS5_EEPS5_lEESB_NS7_3MaxENS_12future_valueIS5_SB_EES5_NS0_19lookback_scan_stateIS5_Lb0ELb1EEEEEvT2_T3_mT5_T4_T7_jPT6_SO_bb,"axG",@progbits,_ZN7rocprim6detail20lookback_scan_kernelILNS0_25lookback_scan_determinismE0ELb1ENS0_19wrapped_scan_configINS_14default_configE12hip_bfloat16EEN6hipcub22TransformInputIteratorIS5_NS7_6CastOpIS5_EEPS5_lEESB_NS7_3MaxENS_12future_valueIS5_SB_EES5_NS0_19lookback_scan_stateIS5_Lb0ELb1EEEEEvT2_T3_mT5_T4_T7_jPT6_SO_bb,comdat
.Lfunc_end137:
	.size	_ZN7rocprim6detail20lookback_scan_kernelILNS0_25lookback_scan_determinismE0ELb1ENS0_19wrapped_scan_configINS_14default_configE12hip_bfloat16EEN6hipcub22TransformInputIteratorIS5_NS7_6CastOpIS5_EEPS5_lEESB_NS7_3MaxENS_12future_valueIS5_SB_EES5_NS0_19lookback_scan_stateIS5_Lb0ELb1EEEEEvT2_T3_mT5_T4_T7_jPT6_SO_bb, .Lfunc_end137-_ZN7rocprim6detail20lookback_scan_kernelILNS0_25lookback_scan_determinismE0ELb1ENS0_19wrapped_scan_configINS_14default_configE12hip_bfloat16EEN6hipcub22TransformInputIteratorIS5_NS7_6CastOpIS5_EEPS5_lEESB_NS7_3MaxENS_12future_valueIS5_SB_EES5_NS0_19lookback_scan_stateIS5_Lb0ELb1EEEEEvT2_T3_mT5_T4_T7_jPT6_SO_bb
                                        ; -- End function
	.section	.AMDGPU.csdata,"",@progbits
; Kernel info:
; codeLenInByte = 9256
; NumSgprs: 36
; NumVgprs: 82
; NumAgprs: 0
; TotalNumVgprs: 82
; ScratchSize: 0
; MemoryBound: 0
; FloatMode: 240
; IeeeMode: 1
; LDSByteSize: 3072 bytes/workgroup (compile time only)
; SGPRBlocks: 4
; VGPRBlocks: 10
; NumSGPRsForWavesPerEU: 36
; NumVGPRsForWavesPerEU: 82
; AccumOffset: 84
; Occupancy: 5
; WaveLimiterHint : 1
; COMPUTE_PGM_RSRC2:SCRATCH_EN: 0
; COMPUTE_PGM_RSRC2:USER_SGPR: 6
; COMPUTE_PGM_RSRC2:TRAP_HANDLER: 0
; COMPUTE_PGM_RSRC2:TGID_X_EN: 1
; COMPUTE_PGM_RSRC2:TGID_Y_EN: 0
; COMPUTE_PGM_RSRC2:TGID_Z_EN: 0
; COMPUTE_PGM_RSRC2:TIDIG_COMP_CNT: 0
; COMPUTE_PGM_RSRC3_GFX90A:ACCUM_OFFSET: 20
; COMPUTE_PGM_RSRC3_GFX90A:TG_SPLIT: 0
	.section	.text._ZN7rocprim6detail18single_scan_kernelILb1ENS0_19wrapped_scan_configINS_14default_configE12hip_bfloat16EEN6hipcub22TransformInputIteratorIS4_NS6_6CastOpIS4_EEPS4_lEESA_NS6_3MaxENS_12future_valueIS4_SA_EES4_EEvT1_mT4_T2_T3_,"axG",@progbits,_ZN7rocprim6detail18single_scan_kernelILb1ENS0_19wrapped_scan_configINS_14default_configE12hip_bfloat16EEN6hipcub22TransformInputIteratorIS4_NS6_6CastOpIS4_EEPS4_lEESA_NS6_3MaxENS_12future_valueIS4_SA_EES4_EEvT1_mT4_T2_T3_,comdat
	.protected	_ZN7rocprim6detail18single_scan_kernelILb1ENS0_19wrapped_scan_configINS_14default_configE12hip_bfloat16EEN6hipcub22TransformInputIteratorIS4_NS6_6CastOpIS4_EEPS4_lEESA_NS6_3MaxENS_12future_valueIS4_SA_EES4_EEvT1_mT4_T2_T3_ ; -- Begin function _ZN7rocprim6detail18single_scan_kernelILb1ENS0_19wrapped_scan_configINS_14default_configE12hip_bfloat16EEN6hipcub22TransformInputIteratorIS4_NS6_6CastOpIS4_EEPS4_lEESA_NS6_3MaxENS_12future_valueIS4_SA_EES4_EEvT1_mT4_T2_T3_
	.globl	_ZN7rocprim6detail18single_scan_kernelILb1ENS0_19wrapped_scan_configINS_14default_configE12hip_bfloat16EEN6hipcub22TransformInputIteratorIS4_NS6_6CastOpIS4_EEPS4_lEESA_NS6_3MaxENS_12future_valueIS4_SA_EES4_EEvT1_mT4_T2_T3_
	.p2align	8
	.type	_ZN7rocprim6detail18single_scan_kernelILb1ENS0_19wrapped_scan_configINS_14default_configE12hip_bfloat16EEN6hipcub22TransformInputIteratorIS4_NS6_6CastOpIS4_EEPS4_lEESA_NS6_3MaxENS_12future_valueIS4_SA_EES4_EEvT1_mT4_T2_T3_,@function
_ZN7rocprim6detail18single_scan_kernelILb1ENS0_19wrapped_scan_configINS_14default_configE12hip_bfloat16EEN6hipcub22TransformInputIteratorIS4_NS6_6CastOpIS4_EEPS4_lEESA_NS6_3MaxENS_12future_valueIS4_SA_EES4_EEvT1_mT4_T2_T3_: ; @_ZN7rocprim6detail18single_scan_kernelILb1ENS0_19wrapped_scan_configINS_14default_configE12hip_bfloat16EEN6hipcub22TransformInputIteratorIS4_NS6_6CastOpIS4_EEPS4_lEESA_NS6_3MaxENS_12future_valueIS4_SA_EES4_EEvT1_mT4_T2_T3_
; %bb.0:
	s_load_dwordx2 s[0:1], s[4:5], 0x0
	s_load_dwordx4 s[52:55], s[4:5], 0x10
	v_mov_b32_e32 v2, 0
	v_lshlrev_b32_e32 v14, 1, v0
	s_waitcnt lgkmcnt(0)
	global_load_ushort v4, v2, s[0:1]
	global_load_ushort v1, v2, s[54:55]
	v_mov_b32_e32 v3, s1
	v_add_co_u32_e32 v2, vcc, s0, v14
	v_addc_co_u32_e32 v3, vcc, 0, v3, vcc
	v_cmp_gt_u32_e32 vcc, s52, v0
	s_waitcnt vmcnt(1)
	v_mov_b32_e32 v5, v4
	s_and_saveexec_b64 s[0:1], vcc
	s_cbranch_execz .LBB138_2
; %bb.1:
	global_load_ushort v5, v[2:3], off
.LBB138_2:
	s_or_b64 exec, exec, s[0:1]
	v_or_b32_e32 v6, 64, v0
	v_cmp_gt_u32_e64 s[0:1], s52, v6
	v_mov_b32_e32 v6, v4
	s_and_saveexec_b64 s[2:3], s[0:1]
	s_cbranch_execz .LBB138_4
; %bb.3:
	global_load_ushort v6, v[2:3], off offset:128
.LBB138_4:
	s_or_b64 exec, exec, s[2:3]
	v_or_b32_e32 v7, 0x80, v0
	v_cmp_gt_u32_e64 s[2:3], s52, v7
	v_mov_b32_e32 v7, v4
	s_and_saveexec_b64 s[6:7], s[2:3]
	s_cbranch_execz .LBB138_6
; %bb.5:
	global_load_ushort v7, v[2:3], off offset:256
.LBB138_6:
	;; [unrolled: 9-line block ×21, first 2 shown]
	s_or_b64 exec, exec, s[44:45]
	s_load_dwordx2 s[54:55], s[4:5], 0x20
	v_or_b32_e32 v28, 0x580, v0
	v_cmp_gt_u32_e64 s[44:45], s52, v28
	v_mov_b32_e32 v28, v4
	s_and_saveexec_b64 s[4:5], s[44:45]
	s_cbranch_execz .LBB138_46
; %bb.45:
	global_load_ushort v28, v[2:3], off offset:2816
.LBB138_46:
	s_or_b64 exec, exec, s[4:5]
	v_or_b32_e32 v29, 0x5c0, v0
	v_cmp_gt_u32_e64 s[46:47], s52, v29
	s_and_saveexec_b64 s[4:5], s[46:47]
	s_cbranch_execz .LBB138_48
; %bb.47:
	global_load_ushort v4, v[2:3], off offset:2944
.LBB138_48:
	s_or_b64 exec, exec, s[4:5]
	s_waitcnt vmcnt(0)
	ds_write_b16 v14, v5
	ds_write_b16 v14, v6 offset:128
	ds_write_b16 v14, v7 offset:256
	;; [unrolled: 1-line block ×23, first 2 shown]
	v_mad_u32_u24 v15, v0, 46, v14
	s_waitcnt lgkmcnt(0)
	; wave barrier
	s_waitcnt lgkmcnt(0)
	ds_read_b128 v[10:13], v15
	ds_read_b128 v[6:9], v15 offset:16
	ds_read_b128 v[2:5], v15 offset:32
	s_waitcnt lgkmcnt(0)
	; wave barrier
	s_waitcnt lgkmcnt(0)
	v_and_b32_e32 v26, 0xffff0000, v10
	v_lshlrev_b32_e32 v28, 16, v10
	v_lshrrev_b32_e32 v27, 16, v10
	v_cmp_lt_f32_e64 s[4:5], v28, v26
	v_cndmask_b32_e64 v30, v10, v27, s[4:5]
	v_lshlrev_b32_e32 v31, 16, v30
	v_lshlrev_b32_e32 v29, 16, v11
	v_cmp_lt_f32_e64 s[4:5], v31, v29
	v_cndmask_b32_e64 v31, v30, v11, s[4:5]
	v_lshlrev_b32_e32 v32, 16, v31
	v_and_b32_e32 v30, 0xffff0000, v11
	v_lshrrev_b32_e32 v25, 16, v11
	v_cmp_lt_f32_e64 s[4:5], v32, v30
	v_cndmask_b32_e64 v32, v31, v25, s[4:5]
	v_lshlrev_b32_e32 v33, 16, v32
	v_lshlrev_b32_e32 v31, 16, v12
	v_cmp_lt_f32_e64 s[4:5], v33, v31
	v_cndmask_b32_e64 v33, v32, v12, s[4:5]
	v_lshlrev_b32_e32 v34, 16, v33
	v_and_b32_e32 v32, 0xffff0000, v12
	;; [unrolled: 9-line block ×11, first 2 shown]
	v_lshrrev_b32_e32 v50, 16, v5
	v_cmp_lt_f32_e64 s[4:5], v52, v53
	v_cndmask_b32_e64 v51, v51, v50, s[4:5]
	v_and_b32_e32 v53, 0xffff, v51
	v_mbcnt_lo_u32_b32 v50, -1, 0
	v_lshlrev_b32_e32 v56, 16, v51
	v_mov_b32_dpp v54, v53 row_shr:1 row_mask:0xf bank_mask:0xf
	v_lshlrev_b32_e32 v55, 16, v54
	v_mbcnt_hi_u32_b32 v50, -1, v50
	v_cmp_lt_f32_e64 s[4:5], v55, v56
	v_and_b32_e32 v52, 15, v50
	v_cndmask_b32_e64 v54, v54, v51, s[4:5]
	v_and_b32_e32 v55, 0xffff, v54
	v_cmp_eq_u32_e64 s[4:5], 0, v52
	v_cndmask_b32_e64 v53, v55, v53, s[4:5]
	v_cndmask_b32_e64 v51, v54, v51, s[4:5]
	v_lshlrev_b32_e32 v55, 16, v53
	v_mov_b32_dpp v54, v53 row_shr:2 row_mask:0xf bank_mask:0xf
	v_lshlrev_b32_e32 v56, 16, v54
	v_cmp_lt_f32_e64 s[4:5], v56, v55
	v_cndmask_b32_e64 v54, v54, v51, s[4:5]
	v_and_b32_e32 v55, 0xffff, v54
	v_cmp_lt_u32_e64 s[4:5], 1, v52
	v_cndmask_b32_e64 v53, v53, v55, s[4:5]
	v_cndmask_b32_e64 v51, v51, v54, s[4:5]
	v_lshlrev_b32_e32 v55, 16, v53
	v_mov_b32_dpp v54, v53 row_shr:4 row_mask:0xf bank_mask:0xf
	v_lshlrev_b32_e32 v56, 16, v54
	v_cmp_lt_f32_e64 s[4:5], v56, v55
	v_cndmask_b32_e64 v54, v54, v51, s[4:5]
	v_and_b32_e32 v55, 0xffff, v54
	v_cmp_lt_u32_e64 s[4:5], 3, v52
	;; [unrolled: 9-line block ×3, first 2 shown]
	v_cndmask_b32_e64 v52, v53, v55, s[4:5]
	v_lshlrev_b32_e32 v55, 16, v52
	v_cndmask_b32_e64 v51, v51, v54, s[4:5]
	v_mov_b32_dpp v53, v52 row_bcast:15 row_mask:0xf bank_mask:0xf
	v_lshlrev_b32_e32 v56, 16, v53
	v_cmp_lt_f32_e64 s[4:5], v56, v55
	v_and_b32_e32 v54, 16, v50
	v_cndmask_b32_e64 v53, v53, v51, s[4:5]
	v_and_b32_e32 v55, 0xffff, v53
	v_cmp_eq_u32_e64 s[4:5], 0, v54
	v_cndmask_b32_e64 v52, v55, v52, s[4:5]
	v_cndmask_b32_e64 v51, v53, v51, s[4:5]
	s_nop 0
	v_mov_b32_dpp v53, v52 row_bcast:31 row_mask:0xf bank_mask:0xf
	v_lshlrev_b32_e32 v52, 16, v52
	v_lshlrev_b32_e32 v54, 16, v53
	v_cmp_lt_f32_e64 s[4:5], v54, v52
	v_cndmask_b32_e64 v52, v53, v51, s[4:5]
	v_cmp_lt_u32_e64 s[4:5], 31, v50
	v_cndmask_b32_e64 v51, v51, v52, s[4:5]
	v_cmp_eq_u32_e64 s[4:5], 63, v0
	s_and_saveexec_b64 s[50:51], s[4:5]
	s_cbranch_execz .LBB138_50
; %bb.49:
	v_mov_b32_e32 v52, 0
	ds_write_b16 v52, v51
.LBB138_50:
	s_or_b64 exec, exec, s[50:51]
	v_lshlrev_b32_e32 v52, 16, v51
	v_lshlrev_b32_e32 v53, 16, v1
	v_cmp_lt_f32_e64 s[4:5], v53, v52
	v_add_u32_e32 v52, -1, v50
	v_and_b32_e32 v53, 64, v50
	v_cndmask_b32_e64 v51, v1, v51, s[4:5]
	v_cmp_lt_i32_e64 s[4:5], v52, v53
	v_cndmask_b32_e64 v52, v52, v50, s[4:5]
	v_and_b32_e32 v51, 0xffff, v51
	v_lshlrev_b32_e32 v52, 2, v52
	ds_bpermute_b32 v51, v52, v51
	v_cmp_eq_u32_e64 s[4:5], 0, v50
	v_cmp_eq_u32_e64 s[50:51], 0, v0
	s_or_b64 s[4:5], s[50:51], s[4:5]
	s_waitcnt lgkmcnt(0)
	v_cndmask_b32_e64 v1, v51, v1, s[4:5]
	v_lshlrev_b32_e32 v50, 16, v1
	v_cmp_gt_f32_e64 s[4:5], v28, v50
	v_cndmask_b32_e64 v10, v1, v10, s[4:5]
	v_lshlrev_b32_e32 v28, 16, v10
	v_cmp_gt_f32_e64 s[4:5], v26, v28
	;; [unrolled: 3-line block ×23, first 2 shown]
	v_cndmask_b32_e64 v30, v16, v5, s[4:5]
	s_mov_b32 s4, 0x5040100
	v_perm_b32 v5, v13, v24, s4
	v_perm_b32 v4, v12, v25, s4
	;; [unrolled: 1-line block ×4, first 2 shown]
	; wave barrier
	s_waitcnt lgkmcnt(0)
	s_waitcnt lgkmcnt(0)
	; wave barrier
	ds_write_b128 v15, v[2:5]
	v_perm_b32 v5, v9, v20, s4
	v_perm_b32 v4, v8, v21, s4
	v_perm_b32 v3, v7, v22, s4
	v_perm_b32 v2, v6, v23, s4
	ds_write_b128 v15, v[2:5] offset:16
	v_perm_b32 v5, v30, v16, s4
	v_perm_b32 v4, v29, v17, s4
	;; [unrolled: 1-line block ×4, first 2 shown]
	s_movk_i32 s4, 0xffd2
	v_mad_i32_i24 v0, v0, s4, v15
	ds_write_b128 v15, v[2:5] offset:32
	s_waitcnt lgkmcnt(0)
	; wave barrier
	s_waitcnt lgkmcnt(0)
	ds_read_u16 v24, v0 offset:256
	ds_read_u16 v23, v0 offset:384
	;; [unrolled: 1-line block ×23, first 2 shown]
	v_mov_b32_e32 v1, s55
	v_add_co_u32_e64 v0, s[4:5], s54, v14
	v_addc_co_u32_e64 v1, s[4:5], 0, v1, s[4:5]
	s_and_saveexec_b64 s[4:5], vcc
	s_cbranch_execnz .LBB138_75
; %bb.51:
	s_or_b64 exec, exec, s[4:5]
	s_and_saveexec_b64 s[4:5], s[0:1]
	s_cbranch_execnz .LBB138_76
.LBB138_52:
	s_or_b64 exec, exec, s[4:5]
	s_and_saveexec_b64 s[0:1], s[2:3]
	s_cbranch_execnz .LBB138_77
.LBB138_53:
	s_or_b64 exec, exec, s[0:1]
	s_and_saveexec_b64 s[0:1], s[48:49]
	s_cbranch_execnz .LBB138_78
.LBB138_54:
	s_or_b64 exec, exec, s[0:1]
	s_and_saveexec_b64 s[0:1], s[6:7]
	s_cbranch_execnz .LBB138_79
.LBB138_55:
	s_or_b64 exec, exec, s[0:1]
	s_and_saveexec_b64 s[0:1], s[8:9]
	s_cbranch_execnz .LBB138_80
.LBB138_56:
	s_or_b64 exec, exec, s[0:1]
	s_and_saveexec_b64 s[0:1], s[10:11]
	s_cbranch_execnz .LBB138_81
.LBB138_57:
	s_or_b64 exec, exec, s[0:1]
	s_and_saveexec_b64 s[0:1], s[12:13]
	s_cbranch_execnz .LBB138_82
.LBB138_58:
	s_or_b64 exec, exec, s[0:1]
	s_and_saveexec_b64 s[0:1], s[14:15]
	s_cbranch_execnz .LBB138_83
.LBB138_59:
	s_or_b64 exec, exec, s[0:1]
	s_and_saveexec_b64 s[0:1], s[16:17]
	s_cbranch_execnz .LBB138_84
.LBB138_60:
	s_or_b64 exec, exec, s[0:1]
	s_and_saveexec_b64 s[0:1], s[18:19]
	s_cbranch_execnz .LBB138_85
.LBB138_61:
	s_or_b64 exec, exec, s[0:1]
	s_and_saveexec_b64 s[0:1], s[20:21]
	s_cbranch_execnz .LBB138_86
.LBB138_62:
	s_or_b64 exec, exec, s[0:1]
	s_and_saveexec_b64 s[0:1], s[22:23]
	s_cbranch_execnz .LBB138_87
.LBB138_63:
	s_or_b64 exec, exec, s[0:1]
	s_and_saveexec_b64 s[0:1], s[24:25]
	s_cbranch_execnz .LBB138_88
.LBB138_64:
	s_or_b64 exec, exec, s[0:1]
	s_and_saveexec_b64 s[0:1], s[26:27]
	s_cbranch_execnz .LBB138_89
.LBB138_65:
	s_or_b64 exec, exec, s[0:1]
	s_and_saveexec_b64 s[0:1], s[28:29]
	s_cbranch_execnz .LBB138_90
.LBB138_66:
	s_or_b64 exec, exec, s[0:1]
	s_and_saveexec_b64 s[0:1], s[30:31]
	s_cbranch_execnz .LBB138_91
.LBB138_67:
	s_or_b64 exec, exec, s[0:1]
	s_and_saveexec_b64 s[0:1], s[34:35]
	s_cbranch_execnz .LBB138_92
.LBB138_68:
	s_or_b64 exec, exec, s[0:1]
	s_and_saveexec_b64 s[0:1], s[36:37]
	s_cbranch_execnz .LBB138_93
.LBB138_69:
	s_or_b64 exec, exec, s[0:1]
	s_and_saveexec_b64 s[0:1], s[38:39]
	s_cbranch_execnz .LBB138_94
.LBB138_70:
	s_or_b64 exec, exec, s[0:1]
	s_and_saveexec_b64 s[0:1], s[40:41]
	s_cbranch_execnz .LBB138_95
.LBB138_71:
	s_or_b64 exec, exec, s[0:1]
	s_and_saveexec_b64 s[0:1], s[42:43]
	s_cbranch_execnz .LBB138_96
.LBB138_72:
	s_or_b64 exec, exec, s[0:1]
	s_and_saveexec_b64 s[0:1], s[44:45]
	s_cbranch_execnz .LBB138_97
.LBB138_73:
	s_or_b64 exec, exec, s[0:1]
	s_and_saveexec_b64 s[0:1], s[46:47]
	s_cbranch_execnz .LBB138_98
.LBB138_74:
	s_endpgm
.LBB138_75:
	ds_read_u16 v14, v14
	s_waitcnt lgkmcnt(0)
	global_store_short v[0:1], v14, off
	s_or_b64 exec, exec, s[4:5]
	s_and_saveexec_b64 s[4:5], s[0:1]
	s_cbranch_execz .LBB138_52
.LBB138_76:
	s_waitcnt lgkmcnt(8)
	global_store_short v[0:1], v25, off offset:128
	s_or_b64 exec, exec, s[4:5]
	s_and_saveexec_b64 s[0:1], s[2:3]
	s_cbranch_execz .LBB138_53
.LBB138_77:
	s_waitcnt lgkmcnt(14)
	global_store_short v[0:1], v24, off offset:256
	s_or_b64 exec, exec, s[0:1]
	s_and_saveexec_b64 s[0:1], s[48:49]
	s_cbranch_execz .LBB138_54
.LBB138_78:
	s_waitcnt lgkmcnt(14)
	global_store_short v[0:1], v23, off offset:384
	s_or_b64 exec, exec, s[0:1]
	s_and_saveexec_b64 s[0:1], s[6:7]
	s_cbranch_execz .LBB138_55
.LBB138_79:
	s_waitcnt lgkmcnt(14)
	global_store_short v[0:1], v22, off offset:512
	s_or_b64 exec, exec, s[0:1]
	s_and_saveexec_b64 s[0:1], s[8:9]
	s_cbranch_execz .LBB138_56
.LBB138_80:
	s_waitcnt lgkmcnt(14)
	global_store_short v[0:1], v21, off offset:640
	s_or_b64 exec, exec, s[0:1]
	s_and_saveexec_b64 s[0:1], s[10:11]
	s_cbranch_execz .LBB138_57
.LBB138_81:
	s_waitcnt lgkmcnt(14)
	global_store_short v[0:1], v20, off offset:768
	s_or_b64 exec, exec, s[0:1]
	s_and_saveexec_b64 s[0:1], s[12:13]
	s_cbranch_execz .LBB138_58
.LBB138_82:
	s_waitcnt lgkmcnt(14)
	global_store_short v[0:1], v19, off offset:896
	s_or_b64 exec, exec, s[0:1]
	s_and_saveexec_b64 s[0:1], s[14:15]
	s_cbranch_execz .LBB138_59
.LBB138_83:
	s_waitcnt lgkmcnt(14)
	global_store_short v[0:1], v18, off offset:1024
	s_or_b64 exec, exec, s[0:1]
	s_and_saveexec_b64 s[0:1], s[16:17]
	s_cbranch_execz .LBB138_60
.LBB138_84:
	s_waitcnt lgkmcnt(14)
	global_store_short v[0:1], v17, off offset:1152
	s_or_b64 exec, exec, s[0:1]
	s_and_saveexec_b64 s[0:1], s[18:19]
	s_cbranch_execz .LBB138_61
.LBB138_85:
	s_waitcnt lgkmcnt(14)
	global_store_short v[0:1], v16, off offset:1280
	s_or_b64 exec, exec, s[0:1]
	s_and_saveexec_b64 s[0:1], s[20:21]
	s_cbranch_execz .LBB138_62
.LBB138_86:
	s_waitcnt lgkmcnt(13)
	global_store_short v[0:1], v15, off offset:1408
	s_or_b64 exec, exec, s[0:1]
	s_and_saveexec_b64 s[0:1], s[22:23]
	s_cbranch_execz .LBB138_63
.LBB138_87:
	s_waitcnt lgkmcnt(12)
	global_store_short v[0:1], v13, off offset:1536
	s_or_b64 exec, exec, s[0:1]
	s_and_saveexec_b64 s[0:1], s[24:25]
	s_cbranch_execz .LBB138_64
.LBB138_88:
	s_waitcnt lgkmcnt(11)
	global_store_short v[0:1], v12, off offset:1664
	s_or_b64 exec, exec, s[0:1]
	s_and_saveexec_b64 s[0:1], s[26:27]
	s_cbranch_execz .LBB138_65
.LBB138_89:
	s_waitcnt lgkmcnt(10)
	global_store_short v[0:1], v11, off offset:1792
	s_or_b64 exec, exec, s[0:1]
	s_and_saveexec_b64 s[0:1], s[28:29]
	s_cbranch_execz .LBB138_66
.LBB138_90:
	s_waitcnt lgkmcnt(9)
	global_store_short v[0:1], v10, off offset:1920
	s_or_b64 exec, exec, s[0:1]
	s_and_saveexec_b64 s[0:1], s[30:31]
	s_cbranch_execz .LBB138_67
.LBB138_91:
	s_waitcnt lgkmcnt(7)
	global_store_short v[0:1], v9, off offset:2048
	s_or_b64 exec, exec, s[0:1]
	s_and_saveexec_b64 s[0:1], s[34:35]
	s_cbranch_execz .LBB138_68
.LBB138_92:
	s_waitcnt lgkmcnt(6)
	global_store_short v[0:1], v8, off offset:2176
	s_or_b64 exec, exec, s[0:1]
	s_and_saveexec_b64 s[0:1], s[36:37]
	s_cbranch_execz .LBB138_69
.LBB138_93:
	s_waitcnt lgkmcnt(5)
	global_store_short v[0:1], v7, off offset:2304
	s_or_b64 exec, exec, s[0:1]
	s_and_saveexec_b64 s[0:1], s[38:39]
	s_cbranch_execz .LBB138_70
.LBB138_94:
	s_waitcnt lgkmcnt(4)
	global_store_short v[0:1], v6, off offset:2432
	s_or_b64 exec, exec, s[0:1]
	s_and_saveexec_b64 s[0:1], s[40:41]
	s_cbranch_execz .LBB138_71
.LBB138_95:
	s_waitcnt lgkmcnt(3)
	global_store_short v[0:1], v5, off offset:2560
	s_or_b64 exec, exec, s[0:1]
	s_and_saveexec_b64 s[0:1], s[42:43]
	s_cbranch_execz .LBB138_72
.LBB138_96:
	s_waitcnt lgkmcnt(2)
	global_store_short v[0:1], v4, off offset:2688
	s_or_b64 exec, exec, s[0:1]
	s_and_saveexec_b64 s[0:1], s[44:45]
	s_cbranch_execz .LBB138_73
.LBB138_97:
	s_waitcnt lgkmcnt(1)
	global_store_short v[0:1], v3, off offset:2816
	s_or_b64 exec, exec, s[0:1]
	s_and_saveexec_b64 s[0:1], s[46:47]
	s_cbranch_execz .LBB138_74
.LBB138_98:
	s_waitcnt lgkmcnt(0)
	global_store_short v[0:1], v2, off offset:2944
	s_endpgm
	.section	.rodata,"a",@progbits
	.p2align	6, 0x0
	.amdhsa_kernel _ZN7rocprim6detail18single_scan_kernelILb1ENS0_19wrapped_scan_configINS_14default_configE12hip_bfloat16EEN6hipcub22TransformInputIteratorIS4_NS6_6CastOpIS4_EEPS4_lEESA_NS6_3MaxENS_12future_valueIS4_SA_EES4_EEvT1_mT4_T2_T3_
		.amdhsa_group_segment_fixed_size 3072
		.amdhsa_private_segment_fixed_size 0
		.amdhsa_kernarg_size 44
		.amdhsa_user_sgpr_count 6
		.amdhsa_user_sgpr_private_segment_buffer 1
		.amdhsa_user_sgpr_dispatch_ptr 0
		.amdhsa_user_sgpr_queue_ptr 0
		.amdhsa_user_sgpr_kernarg_segment_ptr 1
		.amdhsa_user_sgpr_dispatch_id 0
		.amdhsa_user_sgpr_flat_scratch_init 0
		.amdhsa_user_sgpr_kernarg_preload_length 0
		.amdhsa_user_sgpr_kernarg_preload_offset 0
		.amdhsa_user_sgpr_private_segment_size 0
		.amdhsa_uses_dynamic_stack 0
		.amdhsa_system_sgpr_private_segment_wavefront_offset 0
		.amdhsa_system_sgpr_workgroup_id_x 1
		.amdhsa_system_sgpr_workgroup_id_y 0
		.amdhsa_system_sgpr_workgroup_id_z 0
		.amdhsa_system_sgpr_workgroup_info 0
		.amdhsa_system_vgpr_workitem_id 0
		.amdhsa_next_free_vgpr 57
		.amdhsa_next_free_sgpr 56
		.amdhsa_accum_offset 60
		.amdhsa_reserve_vcc 1
		.amdhsa_reserve_flat_scratch 0
		.amdhsa_float_round_mode_32 0
		.amdhsa_float_round_mode_16_64 0
		.amdhsa_float_denorm_mode_32 3
		.amdhsa_float_denorm_mode_16_64 3
		.amdhsa_dx10_clamp 1
		.amdhsa_ieee_mode 1
		.amdhsa_fp16_overflow 0
		.amdhsa_tg_split 0
		.amdhsa_exception_fp_ieee_invalid_op 0
		.amdhsa_exception_fp_denorm_src 0
		.amdhsa_exception_fp_ieee_div_zero 0
		.amdhsa_exception_fp_ieee_overflow 0
		.amdhsa_exception_fp_ieee_underflow 0
		.amdhsa_exception_fp_ieee_inexact 0
		.amdhsa_exception_int_div_zero 0
	.end_amdhsa_kernel
	.section	.text._ZN7rocprim6detail18single_scan_kernelILb1ENS0_19wrapped_scan_configINS_14default_configE12hip_bfloat16EEN6hipcub22TransformInputIteratorIS4_NS6_6CastOpIS4_EEPS4_lEESA_NS6_3MaxENS_12future_valueIS4_SA_EES4_EEvT1_mT4_T2_T3_,"axG",@progbits,_ZN7rocprim6detail18single_scan_kernelILb1ENS0_19wrapped_scan_configINS_14default_configE12hip_bfloat16EEN6hipcub22TransformInputIteratorIS4_NS6_6CastOpIS4_EEPS4_lEESA_NS6_3MaxENS_12future_valueIS4_SA_EES4_EEvT1_mT4_T2_T3_,comdat
.Lfunc_end138:
	.size	_ZN7rocprim6detail18single_scan_kernelILb1ENS0_19wrapped_scan_configINS_14default_configE12hip_bfloat16EEN6hipcub22TransformInputIteratorIS4_NS6_6CastOpIS4_EEPS4_lEESA_NS6_3MaxENS_12future_valueIS4_SA_EES4_EEvT1_mT4_T2_T3_, .Lfunc_end138-_ZN7rocprim6detail18single_scan_kernelILb1ENS0_19wrapped_scan_configINS_14default_configE12hip_bfloat16EEN6hipcub22TransformInputIteratorIS4_NS6_6CastOpIS4_EEPS4_lEESA_NS6_3MaxENS_12future_valueIS4_SA_EES4_EEvT1_mT4_T2_T3_
                                        ; -- End function
	.section	.AMDGPU.csdata,"",@progbits
; Kernel info:
; codeLenInByte = 4120
; NumSgprs: 60
; NumVgprs: 57
; NumAgprs: 0
; TotalNumVgprs: 57
; ScratchSize: 0
; MemoryBound: 0
; FloatMode: 240
; IeeeMode: 1
; LDSByteSize: 3072 bytes/workgroup (compile time only)
; SGPRBlocks: 7
; VGPRBlocks: 7
; NumSGPRsForWavesPerEU: 60
; NumVGPRsForWavesPerEU: 57
; AccumOffset: 60
; Occupancy: 6
; WaveLimiterHint : 0
; COMPUTE_PGM_RSRC2:SCRATCH_EN: 0
; COMPUTE_PGM_RSRC2:USER_SGPR: 6
; COMPUTE_PGM_RSRC2:TRAP_HANDLER: 0
; COMPUTE_PGM_RSRC2:TGID_X_EN: 1
; COMPUTE_PGM_RSRC2:TGID_Y_EN: 0
; COMPUTE_PGM_RSRC2:TGID_Z_EN: 0
; COMPUTE_PGM_RSRC2:TIDIG_COMP_CNT: 0
; COMPUTE_PGM_RSRC3_GFX90A:ACCUM_OFFSET: 14
; COMPUTE_PGM_RSRC3_GFX90A:TG_SPLIT: 0
	.section	.text._ZL18fill_initial_valueI12hip_bfloat16EvPT_S1_,"axG",@progbits,_ZL18fill_initial_valueI12hip_bfloat16EvPT_S1_,comdat
	.globl	_ZL18fill_initial_valueI12hip_bfloat16EvPT_S1_ ; -- Begin function _ZL18fill_initial_valueI12hip_bfloat16EvPT_S1_
	.p2align	8
	.type	_ZL18fill_initial_valueI12hip_bfloat16EvPT_S1_,@function
_ZL18fill_initial_valueI12hip_bfloat16EvPT_S1_: ; @_ZL18fill_initial_valueI12hip_bfloat16EvPT_S1_
; %bb.0:
	s_load_dword s2, s[4:5], 0x8
	s_load_dwordx2 s[0:1], s[4:5], 0x0
	v_mov_b32_e32 v0, 0
	s_waitcnt lgkmcnt(0)
	v_mov_b32_e32 v1, s2
	global_store_short v0, v1, s[0:1]
	s_endpgm
	.section	.rodata,"a",@progbits
	.p2align	6, 0x0
	.amdhsa_kernel _ZL18fill_initial_valueI12hip_bfloat16EvPT_S1_
		.amdhsa_group_segment_fixed_size 0
		.amdhsa_private_segment_fixed_size 0
		.amdhsa_kernarg_size 12
		.amdhsa_user_sgpr_count 6
		.amdhsa_user_sgpr_private_segment_buffer 1
		.amdhsa_user_sgpr_dispatch_ptr 0
		.amdhsa_user_sgpr_queue_ptr 0
		.amdhsa_user_sgpr_kernarg_segment_ptr 1
		.amdhsa_user_sgpr_dispatch_id 0
		.amdhsa_user_sgpr_flat_scratch_init 0
		.amdhsa_user_sgpr_kernarg_preload_length 0
		.amdhsa_user_sgpr_kernarg_preload_offset 0
		.amdhsa_user_sgpr_private_segment_size 0
		.amdhsa_uses_dynamic_stack 0
		.amdhsa_system_sgpr_private_segment_wavefront_offset 0
		.amdhsa_system_sgpr_workgroup_id_x 1
		.amdhsa_system_sgpr_workgroup_id_y 0
		.amdhsa_system_sgpr_workgroup_id_z 0
		.amdhsa_system_sgpr_workgroup_info 0
		.amdhsa_system_vgpr_workitem_id 0
		.amdhsa_next_free_vgpr 2
		.amdhsa_next_free_sgpr 6
		.amdhsa_accum_offset 4
		.amdhsa_reserve_vcc 0
		.amdhsa_reserve_flat_scratch 0
		.amdhsa_float_round_mode_32 0
		.amdhsa_float_round_mode_16_64 0
		.amdhsa_float_denorm_mode_32 3
		.amdhsa_float_denorm_mode_16_64 3
		.amdhsa_dx10_clamp 1
		.amdhsa_ieee_mode 1
		.amdhsa_fp16_overflow 0
		.amdhsa_tg_split 0
		.amdhsa_exception_fp_ieee_invalid_op 0
		.amdhsa_exception_fp_denorm_src 0
		.amdhsa_exception_fp_ieee_div_zero 0
		.amdhsa_exception_fp_ieee_overflow 0
		.amdhsa_exception_fp_ieee_underflow 0
		.amdhsa_exception_fp_ieee_inexact 0
		.amdhsa_exception_int_div_zero 0
	.end_amdhsa_kernel
	.section	.text._ZL18fill_initial_valueI12hip_bfloat16EvPT_S1_,"axG",@progbits,_ZL18fill_initial_valueI12hip_bfloat16EvPT_S1_,comdat
.Lfunc_end139:
	.size	_ZL18fill_initial_valueI12hip_bfloat16EvPT_S1_, .Lfunc_end139-_ZL18fill_initial_valueI12hip_bfloat16EvPT_S1_
                                        ; -- End function
	.section	.AMDGPU.csdata,"",@progbits
; Kernel info:
; codeLenInByte = 40
; NumSgprs: 10
; NumVgprs: 2
; NumAgprs: 0
; TotalNumVgprs: 2
; ScratchSize: 0
; MemoryBound: 0
; FloatMode: 240
; IeeeMode: 1
; LDSByteSize: 0 bytes/workgroup (compile time only)
; SGPRBlocks: 1
; VGPRBlocks: 0
; NumSGPRsForWavesPerEU: 10
; NumVGPRsForWavesPerEU: 2
; AccumOffset: 4
; Occupancy: 8
; WaveLimiterHint : 0
; COMPUTE_PGM_RSRC2:SCRATCH_EN: 0
; COMPUTE_PGM_RSRC2:USER_SGPR: 6
; COMPUTE_PGM_RSRC2:TRAP_HANDLER: 0
; COMPUTE_PGM_RSRC2:TGID_X_EN: 1
; COMPUTE_PGM_RSRC2:TGID_Y_EN: 0
; COMPUTE_PGM_RSRC2:TGID_Z_EN: 0
; COMPUTE_PGM_RSRC2:TIDIG_COMP_CNT: 0
; COMPUTE_PGM_RSRC3_GFX90A:ACCUM_OFFSET: 0
; COMPUTE_PGM_RSRC3_GFX90A:TG_SPLIT: 0
	.section	.text._ZN7rocprim6detail31init_lookback_scan_state_kernelINS0_19lookback_scan_stateIdLb1ELb1EEEEEvT_jjPNS4_10value_typeE,"axG",@progbits,_ZN7rocprim6detail31init_lookback_scan_state_kernelINS0_19lookback_scan_stateIdLb1ELb1EEEEEvT_jjPNS4_10value_typeE,comdat
	.protected	_ZN7rocprim6detail31init_lookback_scan_state_kernelINS0_19lookback_scan_stateIdLb1ELb1EEEEEvT_jjPNS4_10value_typeE ; -- Begin function _ZN7rocprim6detail31init_lookback_scan_state_kernelINS0_19lookback_scan_stateIdLb1ELb1EEEEEvT_jjPNS4_10value_typeE
	.globl	_ZN7rocprim6detail31init_lookback_scan_state_kernelINS0_19lookback_scan_stateIdLb1ELb1EEEEEvT_jjPNS4_10value_typeE
	.p2align	8
	.type	_ZN7rocprim6detail31init_lookback_scan_state_kernelINS0_19lookback_scan_stateIdLb1ELb1EEEEEvT_jjPNS4_10value_typeE,@function
_ZN7rocprim6detail31init_lookback_scan_state_kernelINS0_19lookback_scan_stateIdLb1ELb1EEEEEvT_jjPNS4_10value_typeE: ; @_ZN7rocprim6detail31init_lookback_scan_state_kernelINS0_19lookback_scan_stateIdLb1ELb1EEEEEvT_jjPNS4_10value_typeE
; %bb.0:
	s_load_dword s7, s[4:5], 0x24
	s_load_dwordx2 s[8:9], s[4:5], 0x10
	s_load_dwordx4 s[0:3], s[4:5], 0x0
	s_waitcnt lgkmcnt(0)
	s_and_b32 s4, s7, 0xffff
	s_mul_i32 s6, s6, s4
	s_cmp_eq_u64 s[8:9], 0
	v_add_u32_e32 v0, s6, v0
	s_cbranch_scc1 .LBB140_10
; %bb.1:
	s_cmp_lt_u32 s3, s2
	s_cselect_b32 s4, s3, 0
	s_mov_b32 s7, 0
	v_cmp_eq_u32_e32 vcc, s4, v0
	s_and_saveexec_b64 s[4:5], vcc
	s_cbranch_execz .LBB140_9
; %bb.2:
	s_add_i32 s6, s3, 64
	s_lshl_b64 s[6:7], s[6:7], 4
	s_add_u32 s12, s0, s6
	s_addc_u32 s13, s1, s7
	v_pk_mov_b32 v[2:3], s[12:13], s[12:13] op_sel:[0,1]
	;;#ASMSTART
	global_load_dwordx4 v[2:5], v[2:3] off glc	
s_waitcnt vmcnt(0)
	;;#ASMEND
	v_mov_b32_e32 v7, 0
	v_and_b32_e32 v6, 0xff, v4
	s_mov_b64 s[10:11], 0
	v_cmp_eq_u64_e32 vcc, 0, v[6:7]
	s_and_saveexec_b64 s[6:7], vcc
	s_cbranch_execz .LBB140_8
; %bb.3:
	s_mov_b32 s3, 1
	v_pk_mov_b32 v[8:9], s[12:13], s[12:13] op_sel:[0,1]
.LBB140_4:                              ; =>This Loop Header: Depth=1
                                        ;     Child Loop BB140_5 Depth 2
	s_max_u32 s12, s3, 1
.LBB140_5:                              ;   Parent Loop BB140_4 Depth=1
                                        ; =>  This Inner Loop Header: Depth=2
	s_add_i32 s12, s12, -1
	s_cmp_eq_u32 s12, 0
	s_sleep 1
	s_cbranch_scc0 .LBB140_5
; %bb.6:                                ;   in Loop: Header=BB140_4 Depth=1
	s_cmp_lt_u32 s3, 32
	s_cselect_b64 s[12:13], -1, 0
	s_cmp_lg_u64 s[12:13], 0
	;;#ASMSTART
	global_load_dwordx4 v[2:5], v[8:9] off glc	
s_waitcnt vmcnt(0)
	;;#ASMEND
	v_and_b32_e32 v6, 0xff, v4
	s_addc_u32 s3, s3, 0
	v_cmp_ne_u64_e32 vcc, 0, v[6:7]
	s_or_b64 s[10:11], vcc, s[10:11]
	s_andn2_b64 exec, exec, s[10:11]
	s_cbranch_execnz .LBB140_4
; %bb.7:
	s_or_b64 exec, exec, s[10:11]
.LBB140_8:
	s_or_b64 exec, exec, s[6:7]
	v_mov_b32_e32 v1, 0
	global_store_dwordx2 v1, v[2:3], s[8:9]
.LBB140_9:
	s_or_b64 exec, exec, s[4:5]
.LBB140_10:
	v_cmp_gt_u32_e32 vcc, s2, v0
	s_and_saveexec_b64 s[2:3], vcc
	s_cbranch_execnz .LBB140_13
; %bb.11:
	s_or_b64 exec, exec, s[2:3]
	v_cmp_gt_u32_e32 vcc, 64, v0
	s_and_saveexec_b64 s[2:3], vcc
	s_cbranch_execnz .LBB140_14
.LBB140_12:
	s_endpgm
.LBB140_13:
	v_add_u32_e32 v2, 64, v0
	v_mov_b32_e32 v3, 0
	v_lshlrev_b64 v[4:5], 4, v[2:3]
	v_mov_b32_e32 v1, s1
	v_add_co_u32_e32 v6, vcc, s0, v4
	v_addc_co_u32_e32 v7, vcc, v1, v5, vcc
	v_mov_b32_e32 v2, v3
	v_mov_b32_e32 v4, v3
	;; [unrolled: 1-line block ×3, first 2 shown]
	global_store_dwordx4 v[6:7], v[2:5], off
	s_or_b64 exec, exec, s[2:3]
	v_cmp_gt_u32_e32 vcc, 64, v0
	s_and_saveexec_b64 s[2:3], vcc
	s_cbranch_execz .LBB140_12
.LBB140_14:
	v_mov_b32_e32 v1, 0
	v_lshlrev_b64 v[2:3], 4, v[0:1]
	v_mov_b32_e32 v0, s1
	v_add_co_u32_e32 v4, vcc, s0, v2
	v_addc_co_u32_e32 v5, vcc, v0, v3, vcc
	v_mov_b32_e32 v2, 0xff
	v_mov_b32_e32 v0, v1
	;; [unrolled: 1-line block ×3, first 2 shown]
	global_store_dwordx4 v[4:5], v[0:3], off
	s_endpgm
	.section	.rodata,"a",@progbits
	.p2align	6, 0x0
	.amdhsa_kernel _ZN7rocprim6detail31init_lookback_scan_state_kernelINS0_19lookback_scan_stateIdLb1ELb1EEEEEvT_jjPNS4_10value_typeE
		.amdhsa_group_segment_fixed_size 0
		.amdhsa_private_segment_fixed_size 0
		.amdhsa_kernarg_size 280
		.amdhsa_user_sgpr_count 6
		.amdhsa_user_sgpr_private_segment_buffer 1
		.amdhsa_user_sgpr_dispatch_ptr 0
		.amdhsa_user_sgpr_queue_ptr 0
		.amdhsa_user_sgpr_kernarg_segment_ptr 1
		.amdhsa_user_sgpr_dispatch_id 0
		.amdhsa_user_sgpr_flat_scratch_init 0
		.amdhsa_user_sgpr_kernarg_preload_length 0
		.amdhsa_user_sgpr_kernarg_preload_offset 0
		.amdhsa_user_sgpr_private_segment_size 0
		.amdhsa_uses_dynamic_stack 0
		.amdhsa_system_sgpr_private_segment_wavefront_offset 0
		.amdhsa_system_sgpr_workgroup_id_x 1
		.amdhsa_system_sgpr_workgroup_id_y 0
		.amdhsa_system_sgpr_workgroup_id_z 0
		.amdhsa_system_sgpr_workgroup_info 0
		.amdhsa_system_vgpr_workitem_id 0
		.amdhsa_next_free_vgpr 10
		.amdhsa_next_free_sgpr 14
		.amdhsa_accum_offset 12
		.amdhsa_reserve_vcc 1
		.amdhsa_reserve_flat_scratch 0
		.amdhsa_float_round_mode_32 0
		.amdhsa_float_round_mode_16_64 0
		.amdhsa_float_denorm_mode_32 3
		.amdhsa_float_denorm_mode_16_64 3
		.amdhsa_dx10_clamp 1
		.amdhsa_ieee_mode 1
		.amdhsa_fp16_overflow 0
		.amdhsa_tg_split 0
		.amdhsa_exception_fp_ieee_invalid_op 0
		.amdhsa_exception_fp_denorm_src 0
		.amdhsa_exception_fp_ieee_div_zero 0
		.amdhsa_exception_fp_ieee_overflow 0
		.amdhsa_exception_fp_ieee_underflow 0
		.amdhsa_exception_fp_ieee_inexact 0
		.amdhsa_exception_int_div_zero 0
	.end_amdhsa_kernel
	.section	.text._ZN7rocprim6detail31init_lookback_scan_state_kernelINS0_19lookback_scan_stateIdLb1ELb1EEEEEvT_jjPNS4_10value_typeE,"axG",@progbits,_ZN7rocprim6detail31init_lookback_scan_state_kernelINS0_19lookback_scan_stateIdLb1ELb1EEEEEvT_jjPNS4_10value_typeE,comdat
.Lfunc_end140:
	.size	_ZN7rocprim6detail31init_lookback_scan_state_kernelINS0_19lookback_scan_stateIdLb1ELb1EEEEEvT_jjPNS4_10value_typeE, .Lfunc_end140-_ZN7rocprim6detail31init_lookback_scan_state_kernelINS0_19lookback_scan_stateIdLb1ELb1EEEEEvT_jjPNS4_10value_typeE
                                        ; -- End function
	.section	.AMDGPU.csdata,"",@progbits
; Kernel info:
; codeLenInByte = 404
; NumSgprs: 18
; NumVgprs: 10
; NumAgprs: 0
; TotalNumVgprs: 10
; ScratchSize: 0
; MemoryBound: 0
; FloatMode: 240
; IeeeMode: 1
; LDSByteSize: 0 bytes/workgroup (compile time only)
; SGPRBlocks: 2
; VGPRBlocks: 1
; NumSGPRsForWavesPerEU: 18
; NumVGPRsForWavesPerEU: 10
; AccumOffset: 12
; Occupancy: 8
; WaveLimiterHint : 0
; COMPUTE_PGM_RSRC2:SCRATCH_EN: 0
; COMPUTE_PGM_RSRC2:USER_SGPR: 6
; COMPUTE_PGM_RSRC2:TRAP_HANDLER: 0
; COMPUTE_PGM_RSRC2:TGID_X_EN: 1
; COMPUTE_PGM_RSRC2:TGID_Y_EN: 0
; COMPUTE_PGM_RSRC2:TGID_Z_EN: 0
; COMPUTE_PGM_RSRC2:TIDIG_COMP_CNT: 0
; COMPUTE_PGM_RSRC3_GFX90A:ACCUM_OFFSET: 2
; COMPUTE_PGM_RSRC3_GFX90A:TG_SPLIT: 0
	.section	.text._ZN7rocprim6detail31init_lookback_scan_state_kernelINS0_19lookback_scan_stateIdLb0ELb1EEEEEvT_jjPNS4_10value_typeE,"axG",@progbits,_ZN7rocprim6detail31init_lookback_scan_state_kernelINS0_19lookback_scan_stateIdLb0ELb1EEEEEvT_jjPNS4_10value_typeE,comdat
	.protected	_ZN7rocprim6detail31init_lookback_scan_state_kernelINS0_19lookback_scan_stateIdLb0ELb1EEEEEvT_jjPNS4_10value_typeE ; -- Begin function _ZN7rocprim6detail31init_lookback_scan_state_kernelINS0_19lookback_scan_stateIdLb0ELb1EEEEEvT_jjPNS4_10value_typeE
	.globl	_ZN7rocprim6detail31init_lookback_scan_state_kernelINS0_19lookback_scan_stateIdLb0ELb1EEEEEvT_jjPNS4_10value_typeE
	.p2align	8
	.type	_ZN7rocprim6detail31init_lookback_scan_state_kernelINS0_19lookback_scan_stateIdLb0ELb1EEEEEvT_jjPNS4_10value_typeE,@function
_ZN7rocprim6detail31init_lookback_scan_state_kernelINS0_19lookback_scan_stateIdLb0ELb1EEEEEvT_jjPNS4_10value_typeE: ; @_ZN7rocprim6detail31init_lookback_scan_state_kernelINS0_19lookback_scan_stateIdLb0ELb1EEEEEvT_jjPNS4_10value_typeE
; %bb.0:
	s_load_dword s7, s[4:5], 0x24
	s_load_dwordx2 s[8:9], s[4:5], 0x10
	s_load_dwordx4 s[0:3], s[4:5], 0x0
	s_waitcnt lgkmcnt(0)
	s_and_b32 s4, s7, 0xffff
	s_mul_i32 s6, s6, s4
	s_cmp_eq_u64 s[8:9], 0
	v_add_u32_e32 v0, s6, v0
	s_cbranch_scc1 .LBB141_8
; %bb.1:
	s_cmp_lt_u32 s3, s2
	s_cselect_b32 s4, s3, 0
	s_mov_b32 s7, 0
	v_cmp_eq_u32_e32 vcc, s4, v0
	s_and_saveexec_b64 s[4:5], vcc
	s_cbranch_execz .LBB141_7
; %bb.2:
	s_add_i32 s6, s3, 64
	s_lshl_b64 s[6:7], s[6:7], 4
	s_add_u32 s12, s0, s6
	s_addc_u32 s13, s1, s7
	v_pk_mov_b32 v[2:3], s[12:13], s[12:13] op_sel:[0,1]
	;;#ASMSTART
	global_load_dwordx4 v[2:5], v[2:3] off glc	
s_waitcnt vmcnt(0)
	;;#ASMEND
	v_mov_b32_e32 v7, 0
	v_and_b32_e32 v6, 0xff, v4
	s_mov_b64 s[10:11], 0
	v_cmp_eq_u64_e32 vcc, 0, v[6:7]
	s_and_saveexec_b64 s[6:7], vcc
	s_cbranch_execz .LBB141_6
; %bb.3:
	v_pk_mov_b32 v[8:9], s[12:13], s[12:13] op_sel:[0,1]
.LBB141_4:                              ; =>This Inner Loop Header: Depth=1
	;;#ASMSTART
	global_load_dwordx4 v[2:5], v[8:9] off glc	
s_waitcnt vmcnt(0)
	;;#ASMEND
	v_and_b32_e32 v6, 0xff, v4
	v_cmp_ne_u64_e32 vcc, 0, v[6:7]
	s_or_b64 s[10:11], vcc, s[10:11]
	s_andn2_b64 exec, exec, s[10:11]
	s_cbranch_execnz .LBB141_4
; %bb.5:
	s_or_b64 exec, exec, s[10:11]
.LBB141_6:
	s_or_b64 exec, exec, s[6:7]
	v_mov_b32_e32 v1, 0
	global_store_dwordx2 v1, v[2:3], s[8:9]
.LBB141_7:
	s_or_b64 exec, exec, s[4:5]
.LBB141_8:
	v_cmp_gt_u32_e32 vcc, s2, v0
	s_and_saveexec_b64 s[2:3], vcc
	s_cbranch_execnz .LBB141_11
; %bb.9:
	s_or_b64 exec, exec, s[2:3]
	v_cmp_gt_u32_e32 vcc, 64, v0
	s_and_saveexec_b64 s[2:3], vcc
	s_cbranch_execnz .LBB141_12
.LBB141_10:
	s_endpgm
.LBB141_11:
	v_add_u32_e32 v2, 64, v0
	v_mov_b32_e32 v3, 0
	v_lshlrev_b64 v[4:5], 4, v[2:3]
	v_mov_b32_e32 v1, s1
	v_add_co_u32_e32 v6, vcc, s0, v4
	v_addc_co_u32_e32 v7, vcc, v1, v5, vcc
	v_mov_b32_e32 v2, v3
	v_mov_b32_e32 v4, v3
	;; [unrolled: 1-line block ×3, first 2 shown]
	global_store_dwordx4 v[6:7], v[2:5], off
	s_or_b64 exec, exec, s[2:3]
	v_cmp_gt_u32_e32 vcc, 64, v0
	s_and_saveexec_b64 s[2:3], vcc
	s_cbranch_execz .LBB141_10
.LBB141_12:
	v_mov_b32_e32 v1, 0
	v_lshlrev_b64 v[2:3], 4, v[0:1]
	v_mov_b32_e32 v0, s1
	v_add_co_u32_e32 v4, vcc, s0, v2
	v_addc_co_u32_e32 v5, vcc, v0, v3, vcc
	v_mov_b32_e32 v2, 0xff
	v_mov_b32_e32 v0, v1
	;; [unrolled: 1-line block ×3, first 2 shown]
	global_store_dwordx4 v[4:5], v[0:3], off
	s_endpgm
	.section	.rodata,"a",@progbits
	.p2align	6, 0x0
	.amdhsa_kernel _ZN7rocprim6detail31init_lookback_scan_state_kernelINS0_19lookback_scan_stateIdLb0ELb1EEEEEvT_jjPNS4_10value_typeE
		.amdhsa_group_segment_fixed_size 0
		.amdhsa_private_segment_fixed_size 0
		.amdhsa_kernarg_size 280
		.amdhsa_user_sgpr_count 6
		.amdhsa_user_sgpr_private_segment_buffer 1
		.amdhsa_user_sgpr_dispatch_ptr 0
		.amdhsa_user_sgpr_queue_ptr 0
		.amdhsa_user_sgpr_kernarg_segment_ptr 1
		.amdhsa_user_sgpr_dispatch_id 0
		.amdhsa_user_sgpr_flat_scratch_init 0
		.amdhsa_user_sgpr_kernarg_preload_length 0
		.amdhsa_user_sgpr_kernarg_preload_offset 0
		.amdhsa_user_sgpr_private_segment_size 0
		.amdhsa_uses_dynamic_stack 0
		.amdhsa_system_sgpr_private_segment_wavefront_offset 0
		.amdhsa_system_sgpr_workgroup_id_x 1
		.amdhsa_system_sgpr_workgroup_id_y 0
		.amdhsa_system_sgpr_workgroup_id_z 0
		.amdhsa_system_sgpr_workgroup_info 0
		.amdhsa_system_vgpr_workitem_id 0
		.amdhsa_next_free_vgpr 10
		.amdhsa_next_free_sgpr 14
		.amdhsa_accum_offset 12
		.amdhsa_reserve_vcc 1
		.amdhsa_reserve_flat_scratch 0
		.amdhsa_float_round_mode_32 0
		.amdhsa_float_round_mode_16_64 0
		.amdhsa_float_denorm_mode_32 3
		.amdhsa_float_denorm_mode_16_64 3
		.amdhsa_dx10_clamp 1
		.amdhsa_ieee_mode 1
		.amdhsa_fp16_overflow 0
		.amdhsa_tg_split 0
		.amdhsa_exception_fp_ieee_invalid_op 0
		.amdhsa_exception_fp_denorm_src 0
		.amdhsa_exception_fp_ieee_div_zero 0
		.amdhsa_exception_fp_ieee_overflow 0
		.amdhsa_exception_fp_ieee_underflow 0
		.amdhsa_exception_fp_ieee_inexact 0
		.amdhsa_exception_int_div_zero 0
	.end_amdhsa_kernel
	.section	.text._ZN7rocprim6detail31init_lookback_scan_state_kernelINS0_19lookback_scan_stateIdLb0ELb1EEEEEvT_jjPNS4_10value_typeE,"axG",@progbits,_ZN7rocprim6detail31init_lookback_scan_state_kernelINS0_19lookback_scan_stateIdLb0ELb1EEEEEvT_jjPNS4_10value_typeE,comdat
.Lfunc_end141:
	.size	_ZN7rocprim6detail31init_lookback_scan_state_kernelINS0_19lookback_scan_stateIdLb0ELb1EEEEEvT_jjPNS4_10value_typeE, .Lfunc_end141-_ZN7rocprim6detail31init_lookback_scan_state_kernelINS0_19lookback_scan_stateIdLb0ELb1EEEEEvT_jjPNS4_10value_typeE
                                        ; -- End function
	.section	.AMDGPU.csdata,"",@progbits
; Kernel info:
; codeLenInByte = 364
; NumSgprs: 18
; NumVgprs: 10
; NumAgprs: 0
; TotalNumVgprs: 10
; ScratchSize: 0
; MemoryBound: 0
; FloatMode: 240
; IeeeMode: 1
; LDSByteSize: 0 bytes/workgroup (compile time only)
; SGPRBlocks: 2
; VGPRBlocks: 1
; NumSGPRsForWavesPerEU: 18
; NumVGPRsForWavesPerEU: 10
; AccumOffset: 12
; Occupancy: 8
; WaveLimiterHint : 0
; COMPUTE_PGM_RSRC2:SCRATCH_EN: 0
; COMPUTE_PGM_RSRC2:USER_SGPR: 6
; COMPUTE_PGM_RSRC2:TRAP_HANDLER: 0
; COMPUTE_PGM_RSRC2:TGID_X_EN: 1
; COMPUTE_PGM_RSRC2:TGID_Y_EN: 0
; COMPUTE_PGM_RSRC2:TGID_Z_EN: 0
; COMPUTE_PGM_RSRC2:TIDIG_COMP_CNT: 0
; COMPUTE_PGM_RSRC3_GFX90A:ACCUM_OFFSET: 2
; COMPUTE_PGM_RSRC3_GFX90A:TG_SPLIT: 0
	.section	.text._ZN7rocprim6detail20lookback_scan_kernelILNS0_25lookback_scan_determinismE0ELb1ENS0_19wrapped_scan_configINS_14default_configEdEEN6hipcub22TransformInputIteratorIiNS6_6CastOpIiEEPilEEPdNS6_3SumENS_12future_valueIdSC_EEdNS0_19lookback_scan_stateIdLb1ELb1EEEEEvT2_T3_mT5_T4_T7_jPT6_SO_bb,"axG",@progbits,_ZN7rocprim6detail20lookback_scan_kernelILNS0_25lookback_scan_determinismE0ELb1ENS0_19wrapped_scan_configINS_14default_configEdEEN6hipcub22TransformInputIteratorIiNS6_6CastOpIiEEPilEEPdNS6_3SumENS_12future_valueIdSC_EEdNS0_19lookback_scan_stateIdLb1ELb1EEEEEvT2_T3_mT5_T4_T7_jPT6_SO_bb,comdat
	.protected	_ZN7rocprim6detail20lookback_scan_kernelILNS0_25lookback_scan_determinismE0ELb1ENS0_19wrapped_scan_configINS_14default_configEdEEN6hipcub22TransformInputIteratorIiNS6_6CastOpIiEEPilEEPdNS6_3SumENS_12future_valueIdSC_EEdNS0_19lookback_scan_stateIdLb1ELb1EEEEEvT2_T3_mT5_T4_T7_jPT6_SO_bb ; -- Begin function _ZN7rocprim6detail20lookback_scan_kernelILNS0_25lookback_scan_determinismE0ELb1ENS0_19wrapped_scan_configINS_14default_configEdEEN6hipcub22TransformInputIteratorIiNS6_6CastOpIiEEPilEEPdNS6_3SumENS_12future_valueIdSC_EEdNS0_19lookback_scan_stateIdLb1ELb1EEEEEvT2_T3_mT5_T4_T7_jPT6_SO_bb
	.globl	_ZN7rocprim6detail20lookback_scan_kernelILNS0_25lookback_scan_determinismE0ELb1ENS0_19wrapped_scan_configINS_14default_configEdEEN6hipcub22TransformInputIteratorIiNS6_6CastOpIiEEPilEEPdNS6_3SumENS_12future_valueIdSC_EEdNS0_19lookback_scan_stateIdLb1ELb1EEEEEvT2_T3_mT5_T4_T7_jPT6_SO_bb
	.p2align	8
	.type	_ZN7rocprim6detail20lookback_scan_kernelILNS0_25lookback_scan_determinismE0ELb1ENS0_19wrapped_scan_configINS_14default_configEdEEN6hipcub22TransformInputIteratorIiNS6_6CastOpIiEEPilEEPdNS6_3SumENS_12future_valueIdSC_EEdNS0_19lookback_scan_stateIdLb1ELb1EEEEEvT2_T3_mT5_T4_T7_jPT6_SO_bb,@function
_ZN7rocprim6detail20lookback_scan_kernelILNS0_25lookback_scan_determinismE0ELb1ENS0_19wrapped_scan_configINS_14default_configEdEEN6hipcub22TransformInputIteratorIiNS6_6CastOpIiEEPilEEPdNS6_3SumENS_12future_valueIdSC_EEdNS0_19lookback_scan_stateIdLb1ELb1EEEEEvT2_T3_mT5_T4_T7_jPT6_SO_bb: ; @_ZN7rocprim6detail20lookback_scan_kernelILNS0_25lookback_scan_determinismE0ELb1ENS0_19wrapped_scan_configINS_14default_configEdEEN6hipcub22TransformInputIteratorIiNS6_6CastOpIiEEPilEEPdNS6_3SumENS_12future_valueIdSC_EEdNS0_19lookback_scan_stateIdLb1ELb1EEEEEvT2_T3_mT5_T4_T7_jPT6_SO_bb
; %bb.0:
	s_endpgm
	.section	.rodata,"a",@progbits
	.p2align	6, 0x0
	.amdhsa_kernel _ZN7rocprim6detail20lookback_scan_kernelILNS0_25lookback_scan_determinismE0ELb1ENS0_19wrapped_scan_configINS_14default_configEdEEN6hipcub22TransformInputIteratorIiNS6_6CastOpIiEEPilEEPdNS6_3SumENS_12future_valueIdSC_EEdNS0_19lookback_scan_stateIdLb1ELb1EEEEEvT2_T3_mT5_T4_T7_jPT6_SO_bb
		.amdhsa_group_segment_fixed_size 0
		.amdhsa_private_segment_fixed_size 0
		.amdhsa_kernarg_size 84
		.amdhsa_user_sgpr_count 6
		.amdhsa_user_sgpr_private_segment_buffer 1
		.amdhsa_user_sgpr_dispatch_ptr 0
		.amdhsa_user_sgpr_queue_ptr 0
		.amdhsa_user_sgpr_kernarg_segment_ptr 1
		.amdhsa_user_sgpr_dispatch_id 0
		.amdhsa_user_sgpr_flat_scratch_init 0
		.amdhsa_user_sgpr_kernarg_preload_length 0
		.amdhsa_user_sgpr_kernarg_preload_offset 0
		.amdhsa_user_sgpr_private_segment_size 0
		.amdhsa_uses_dynamic_stack 0
		.amdhsa_system_sgpr_private_segment_wavefront_offset 0
		.amdhsa_system_sgpr_workgroup_id_x 1
		.amdhsa_system_sgpr_workgroup_id_y 0
		.amdhsa_system_sgpr_workgroup_id_z 0
		.amdhsa_system_sgpr_workgroup_info 0
		.amdhsa_system_vgpr_workitem_id 0
		.amdhsa_next_free_vgpr 1
		.amdhsa_next_free_sgpr 0
		.amdhsa_accum_offset 4
		.amdhsa_reserve_vcc 0
		.amdhsa_reserve_flat_scratch 0
		.amdhsa_float_round_mode_32 0
		.amdhsa_float_round_mode_16_64 0
		.amdhsa_float_denorm_mode_32 3
		.amdhsa_float_denorm_mode_16_64 3
		.amdhsa_dx10_clamp 1
		.amdhsa_ieee_mode 1
		.amdhsa_fp16_overflow 0
		.amdhsa_tg_split 0
		.amdhsa_exception_fp_ieee_invalid_op 0
		.amdhsa_exception_fp_denorm_src 0
		.amdhsa_exception_fp_ieee_div_zero 0
		.amdhsa_exception_fp_ieee_overflow 0
		.amdhsa_exception_fp_ieee_underflow 0
		.amdhsa_exception_fp_ieee_inexact 0
		.amdhsa_exception_int_div_zero 0
	.end_amdhsa_kernel
	.section	.text._ZN7rocprim6detail20lookback_scan_kernelILNS0_25lookback_scan_determinismE0ELb1ENS0_19wrapped_scan_configINS_14default_configEdEEN6hipcub22TransformInputIteratorIiNS6_6CastOpIiEEPilEEPdNS6_3SumENS_12future_valueIdSC_EEdNS0_19lookback_scan_stateIdLb1ELb1EEEEEvT2_T3_mT5_T4_T7_jPT6_SO_bb,"axG",@progbits,_ZN7rocprim6detail20lookback_scan_kernelILNS0_25lookback_scan_determinismE0ELb1ENS0_19wrapped_scan_configINS_14default_configEdEEN6hipcub22TransformInputIteratorIiNS6_6CastOpIiEEPilEEPdNS6_3SumENS_12future_valueIdSC_EEdNS0_19lookback_scan_stateIdLb1ELb1EEEEEvT2_T3_mT5_T4_T7_jPT6_SO_bb,comdat
.Lfunc_end142:
	.size	_ZN7rocprim6detail20lookback_scan_kernelILNS0_25lookback_scan_determinismE0ELb1ENS0_19wrapped_scan_configINS_14default_configEdEEN6hipcub22TransformInputIteratorIiNS6_6CastOpIiEEPilEEPdNS6_3SumENS_12future_valueIdSC_EEdNS0_19lookback_scan_stateIdLb1ELb1EEEEEvT2_T3_mT5_T4_T7_jPT6_SO_bb, .Lfunc_end142-_ZN7rocprim6detail20lookback_scan_kernelILNS0_25lookback_scan_determinismE0ELb1ENS0_19wrapped_scan_configINS_14default_configEdEEN6hipcub22TransformInputIteratorIiNS6_6CastOpIiEEPilEEPdNS6_3SumENS_12future_valueIdSC_EEdNS0_19lookback_scan_stateIdLb1ELb1EEEEEvT2_T3_mT5_T4_T7_jPT6_SO_bb
                                        ; -- End function
	.section	.AMDGPU.csdata,"",@progbits
; Kernel info:
; codeLenInByte = 4
; NumSgprs: 4
; NumVgprs: 0
; NumAgprs: 0
; TotalNumVgprs: 0
; ScratchSize: 0
; MemoryBound: 0
; FloatMode: 240
; IeeeMode: 1
; LDSByteSize: 0 bytes/workgroup (compile time only)
; SGPRBlocks: 0
; VGPRBlocks: 0
; NumSGPRsForWavesPerEU: 4
; NumVGPRsForWavesPerEU: 1
; AccumOffset: 4
; Occupancy: 8
; WaveLimiterHint : 0
; COMPUTE_PGM_RSRC2:SCRATCH_EN: 0
; COMPUTE_PGM_RSRC2:USER_SGPR: 6
; COMPUTE_PGM_RSRC2:TRAP_HANDLER: 0
; COMPUTE_PGM_RSRC2:TGID_X_EN: 1
; COMPUTE_PGM_RSRC2:TGID_Y_EN: 0
; COMPUTE_PGM_RSRC2:TGID_Z_EN: 0
; COMPUTE_PGM_RSRC2:TIDIG_COMP_CNT: 0
; COMPUTE_PGM_RSRC3_GFX90A:ACCUM_OFFSET: 0
; COMPUTE_PGM_RSRC3_GFX90A:TG_SPLIT: 0
	.section	.text._ZN7rocprim6detail20lookback_scan_kernelILNS0_25lookback_scan_determinismE0ELb1ENS0_19wrapped_scan_configINS_14default_configEdEEN6hipcub22TransformInputIteratorIiNS6_6CastOpIiEEPilEEPdNS6_3SumENS_12future_valueIdSC_EEdNS0_19lookback_scan_stateIdLb0ELb1EEEEEvT2_T3_mT5_T4_T7_jPT6_SO_bb,"axG",@progbits,_ZN7rocprim6detail20lookback_scan_kernelILNS0_25lookback_scan_determinismE0ELb1ENS0_19wrapped_scan_configINS_14default_configEdEEN6hipcub22TransformInputIteratorIiNS6_6CastOpIiEEPilEEPdNS6_3SumENS_12future_valueIdSC_EEdNS0_19lookback_scan_stateIdLb0ELb1EEEEEvT2_T3_mT5_T4_T7_jPT6_SO_bb,comdat
	.protected	_ZN7rocprim6detail20lookback_scan_kernelILNS0_25lookback_scan_determinismE0ELb1ENS0_19wrapped_scan_configINS_14default_configEdEEN6hipcub22TransformInputIteratorIiNS6_6CastOpIiEEPilEEPdNS6_3SumENS_12future_valueIdSC_EEdNS0_19lookback_scan_stateIdLb0ELb1EEEEEvT2_T3_mT5_T4_T7_jPT6_SO_bb ; -- Begin function _ZN7rocprim6detail20lookback_scan_kernelILNS0_25lookback_scan_determinismE0ELb1ENS0_19wrapped_scan_configINS_14default_configEdEEN6hipcub22TransformInputIteratorIiNS6_6CastOpIiEEPilEEPdNS6_3SumENS_12future_valueIdSC_EEdNS0_19lookback_scan_stateIdLb0ELb1EEEEEvT2_T3_mT5_T4_T7_jPT6_SO_bb
	.globl	_ZN7rocprim6detail20lookback_scan_kernelILNS0_25lookback_scan_determinismE0ELb1ENS0_19wrapped_scan_configINS_14default_configEdEEN6hipcub22TransformInputIteratorIiNS6_6CastOpIiEEPilEEPdNS6_3SumENS_12future_valueIdSC_EEdNS0_19lookback_scan_stateIdLb0ELb1EEEEEvT2_T3_mT5_T4_T7_jPT6_SO_bb
	.p2align	8
	.type	_ZN7rocprim6detail20lookback_scan_kernelILNS0_25lookback_scan_determinismE0ELb1ENS0_19wrapped_scan_configINS_14default_configEdEEN6hipcub22TransformInputIteratorIiNS6_6CastOpIiEEPilEEPdNS6_3SumENS_12future_valueIdSC_EEdNS0_19lookback_scan_stateIdLb0ELb1EEEEEvT2_T3_mT5_T4_T7_jPT6_SO_bb,@function
_ZN7rocprim6detail20lookback_scan_kernelILNS0_25lookback_scan_determinismE0ELb1ENS0_19wrapped_scan_configINS_14default_configEdEEN6hipcub22TransformInputIteratorIiNS6_6CastOpIiEEPilEEPdNS6_3SumENS_12future_valueIdSC_EEdNS0_19lookback_scan_stateIdLb0ELb1EEEEEvT2_T3_mT5_T4_T7_jPT6_SO_bb: ; @_ZN7rocprim6detail20lookback_scan_kernelILNS0_25lookback_scan_determinismE0ELb1ENS0_19wrapped_scan_configINS_14default_configEdEEN6hipcub22TransformInputIteratorIiNS6_6CastOpIiEEPilEEPdNS6_3SumENS_12future_valueIdSC_EEdNS0_19lookback_scan_stateIdLb0ELb1EEEEEvT2_T3_mT5_T4_T7_jPT6_SO_bb
; %bb.0:
	s_load_dwordx2 s[0:1], s[4:5], 0x20
	s_load_dword s2, s[4:5], 0x38
	s_load_dwordx2 s[18:19], s[4:5], 0x0
	s_load_dwordx4 s[8:11], s[4:5], 0x10
	s_mul_i32 s16, s6, 0x500
	s_waitcnt lgkmcnt(0)
	s_load_dwordx2 s[20:21], s[0:1], 0x0
	s_add_i32 s0, s2, -1
	s_mul_i32 s1, s0, 0x500
	s_sub_u32 s24, s10, s1
	s_subb_u32 s25, s11, 0
	s_mov_b32 s17, 0
	s_cmp_lg_u32 s6, s0
	s_cselect_b64 s[10:11], -1, 0
	s_lshl_b64 s[0:1], s[16:17], 2
	s_add_u32 s2, s18, s0
	s_addc_u32 s3, s19, s1
	s_mov_b64 s[0:1], -1
	s_and_b64 vcc, exec, s[10:11]
	v_lshlrev_b32_e32 v1, 2, v0
	v_lshlrev_b32_e32 v44, 3, v0
	s_cbranch_vccz .LBB143_2
; %bb.1:
	v_mov_b32_e32 v2, s3
	v_add_co_u32_e32 v3, vcc, s2, v1
	v_addc_co_u32_e32 v4, vcc, 0, v2, vcc
	s_movk_i32 s0, 0x1000
	v_add_co_u32_e32 v2, vcc, s0, v3
	v_addc_co_u32_e32 v3, vcc, 0, v4, vcc
	global_load_dword v5, v1, s[2:3]
	global_load_dword v6, v1, s[2:3] offset:512
	global_load_dword v7, v1, s[2:3] offset:1024
	;; [unrolled: 1-line block ×7, first 2 shown]
	global_load_dword v18, v[2:3], off
	global_load_dword v19, v[2:3], off offset:512
	s_mov_b64 s[0:1], 0
	s_waitcnt vmcnt(9)
	v_cvt_f64_i32_e32 v[2:3], v5
	s_waitcnt vmcnt(8)
	v_cvt_f64_i32_e32 v[4:5], v6
	;; [unrolled: 2-line block ×8, first 2 shown]
	ds_write2st64_b64 v44, v[2:3], v[4:5] offset1:2
	ds_write2st64_b64 v44, v[6:7], v[8:9] offset0:4 offset1:6
	ds_write2st64_b64 v44, v[10:11], v[12:13] offset0:8 offset1:10
	;; [unrolled: 1-line block ×3, first 2 shown]
	s_waitcnt vmcnt(1)
	v_cvt_f64_i32_e32 v[2:3], v18
	s_waitcnt vmcnt(0)
	v_cvt_f64_i32_e32 v[4:5], v19
	ds_write2st64_b64 v44, v[2:3], v[4:5] offset0:16 offset1:18
	s_waitcnt lgkmcnt(0)
	s_barrier
.LBB143_2:
	s_andn2_b64 vcc, exec, s[0:1]
	v_cmp_gt_u32_e64 s[0:1], s24, v0
	s_cbranch_vccnz .LBB143_24
; %bb.3:
	s_load_dword s7, s[2:3], 0x0
	v_mov_b32_e32 v20, s3
	v_add_co_u32_e32 v36, vcc, s2, v1
	v_addc_co_u32_e32 v37, vcc, 0, v20, vcc
	s_waitcnt lgkmcnt(0)
	v_cvt_f64_i32_e32 v[2:3], s7
	v_mov_b32_e32 v4, v2
	v_mov_b32_e32 v5, v3
	;; [unrolled: 1-line block ×16, first 2 shown]
	v_pk_mov_b32 v[34:35], v[30:31], v[30:31] op_sel:[0,1]
	v_pk_mov_b32 v[32:33], v[28:29], v[28:29] op_sel:[0,1]
	;; [unrolled: 1-line block ×16, first 2 shown]
	s_and_saveexec_b64 s[2:3], s[0:1]
	s_cbranch_execz .LBB143_5
; %bb.4:
	global_load_dword v1, v[36:37], off
	v_mov_b32_e32 v4, v2
	v_mov_b32_e32 v5, v3
	;; [unrolled: 1-line block ×16, first 2 shown]
	s_waitcnt vmcnt(0)
	v_pk_mov_b32 v[34:35], v[30:31], v[30:31] op_sel:[0,1]
	v_pk_mov_b32 v[32:33], v[28:29], v[28:29] op_sel:[0,1]
	;; [unrolled: 1-line block ×15, first 2 shown]
	v_cvt_f64_i32_e32 v[38:39], v1
	v_pk_mov_b32 v[4:5], v[0:1], v[0:1] op_sel:[0,1]
	v_pk_mov_b32 v[2:3], v[38:39], v[38:39] op_sel:[0,1]
.LBB143_5:
	s_or_b64 exec, exec, s[2:3]
	v_or_b32_e32 v1, 0x80, v0
	v_cmp_gt_u32_e32 vcc, s24, v1
	s_and_saveexec_b64 s[0:1], vcc
	s_cbranch_execz .LBB143_7
; %bb.6:
	global_load_dword v1, v[36:37], off offset:512
	s_waitcnt vmcnt(0)
	v_cvt_f64_i32_e32 v[6:7], v1
.LBB143_7:
	s_or_b64 exec, exec, s[0:1]
	v_or_b32_e32 v1, 0x100, v0
	v_cmp_gt_u32_e32 vcc, s24, v1
	s_and_saveexec_b64 s[0:1], vcc
	s_cbranch_execz .LBB143_9
; %bb.8:
	global_load_dword v1, v[36:37], off offset:1024
	s_waitcnt vmcnt(0)
	v_cvt_f64_i32_e32 v[8:9], v1
.LBB143_9:
	s_or_b64 exec, exec, s[0:1]
	v_or_b32_e32 v1, 0x180, v0
	v_cmp_gt_u32_e32 vcc, s24, v1
	s_and_saveexec_b64 s[0:1], vcc
	s_cbranch_execz .LBB143_11
; %bb.10:
	global_load_dword v1, v[36:37], off offset:1536
	s_waitcnt vmcnt(0)
	v_cvt_f64_i32_e32 v[10:11], v1
.LBB143_11:
	s_or_b64 exec, exec, s[0:1]
	v_or_b32_e32 v1, 0x200, v0
	v_cmp_gt_u32_e32 vcc, s24, v1
	s_and_saveexec_b64 s[0:1], vcc
	s_cbranch_execz .LBB143_13
; %bb.12:
	global_load_dword v1, v[36:37], off offset:2048
	s_waitcnt vmcnt(0)
	v_cvt_f64_i32_e32 v[12:13], v1
.LBB143_13:
	s_or_b64 exec, exec, s[0:1]
	v_or_b32_e32 v1, 0x280, v0
	v_cmp_gt_u32_e32 vcc, s24, v1
	s_and_saveexec_b64 s[0:1], vcc
	s_cbranch_execz .LBB143_15
; %bb.14:
	global_load_dword v1, v[36:37], off offset:2560
	s_waitcnt vmcnt(0)
	v_cvt_f64_i32_e32 v[14:15], v1
.LBB143_15:
	s_or_b64 exec, exec, s[0:1]
	v_or_b32_e32 v1, 0x300, v0
	v_cmp_gt_u32_e32 vcc, s24, v1
	s_and_saveexec_b64 s[0:1], vcc
	s_cbranch_execz .LBB143_17
; %bb.16:
	global_load_dword v1, v[36:37], off offset:3072
	s_waitcnt vmcnt(0)
	v_cvt_f64_i32_e32 v[16:17], v1
.LBB143_17:
	s_or_b64 exec, exec, s[0:1]
	v_or_b32_e32 v1, 0x380, v0
	v_cmp_gt_u32_e32 vcc, s24, v1
	s_and_saveexec_b64 s[0:1], vcc
	s_cbranch_execz .LBB143_19
; %bb.18:
	global_load_dword v1, v[36:37], off offset:3584
	s_waitcnt vmcnt(0)
	v_cvt_f64_i32_e32 v[18:19], v1
.LBB143_19:
	s_or_b64 exec, exec, s[0:1]
	v_or_b32_e32 v1, 0x400, v0
	v_cmp_gt_u32_e32 vcc, s24, v1
	s_and_saveexec_b64 s[0:1], vcc
	s_cbranch_execz .LBB143_21
; %bb.20:
	v_add_co_u32_e32 v4, vcc, 0x1000, v36
	v_addc_co_u32_e32 v5, vcc, 0, v37, vcc
	global_load_dword v1, v[4:5], off
	s_waitcnt vmcnt(0)
	v_cvt_f64_i32_e32 v[20:21], v1
.LBB143_21:
	s_or_b64 exec, exec, s[0:1]
	v_or_b32_e32 v1, 0x480, v0
	v_cmp_gt_u32_e32 vcc, s24, v1
	s_and_saveexec_b64 s[0:1], vcc
	s_cbranch_execz .LBB143_23
; %bb.22:
	v_add_co_u32_e32 v4, vcc, 0x1000, v36
	v_addc_co_u32_e32 v5, vcc, 0, v37, vcc
	global_load_dword v1, v[4:5], off offset:512
	s_waitcnt vmcnt(0)
	v_cvt_f64_i32_e32 v[22:23], v1
.LBB143_23:
	s_or_b64 exec, exec, s[0:1]
	ds_write2st64_b64 v44, v[2:3], v[6:7] offset1:2
	ds_write2st64_b64 v44, v[8:9], v[10:11] offset0:4 offset1:6
	ds_write2st64_b64 v44, v[12:13], v[14:15] offset0:8 offset1:10
	;; [unrolled: 1-line block ×4, first 2 shown]
	s_waitcnt lgkmcnt(0)
	s_barrier
.LBB143_24:
	s_load_dwordx2 s[22:23], s[4:5], 0x30
	v_mul_u32_u24_e32 v45, 10, v0
	v_lshlrev_b32_e32 v46, 3, v45
	s_waitcnt lgkmcnt(0)
	ds_read_b128 v[14:17], v46
	ds_read_b128 v[10:13], v46 offset:16
	ds_read_b128 v[6:9], v46 offset:32
	;; [unrolled: 1-line block ×4, first 2 shown]
	s_waitcnt lgkmcnt(4)
	v_add_f64 v[22:23], v[14:15], v[16:17]
	s_cmp_lg_u32 s6, 0
	s_waitcnt lgkmcnt(3)
	v_add_f64 v[42:43], v[10:11], v[22:23]
	v_mbcnt_lo_u32_b32 v1, -1, 0
	s_waitcnt lgkmcnt(0)
	s_barrier
	s_cbranch_scc0 .LBB143_53
; %bb.25:
	v_add_f64 v[22:23], v[12:13], v[42:43]
	v_add_f64 v[22:23], v[6:7], v[22:23]
	;; [unrolled: 1-line block ×7, first 2 shown]
	v_mbcnt_hi_u32_b32 v33, -1, v1
	v_and_b32_e32 v28, 15, v33
	v_mov_b32_dpp v24, v22 row_shr:1 row_mask:0xf bank_mask:0xf
	v_mov_b32_dpp v25, v23 row_shr:1 row_mask:0xf bank_mask:0xf
	v_add_f64 v[24:25], v[22:23], v[24:25]
	v_cmp_eq_u32_e32 vcc, 0, v28
	v_cndmask_b32_e32 v24, v24, v22, vcc
	v_cndmask_b32_e32 v25, v25, v23, vcc
	v_cmp_lt_u32_e32 vcc, 1, v28
	v_mov_b32_dpp v26, v24 row_shr:2 row_mask:0xf bank_mask:0xf
	v_mov_b32_dpp v27, v25 row_shr:2 row_mask:0xf bank_mask:0xf
	v_add_f64 v[26:27], v[24:25], v[26:27]
	v_cndmask_b32_e32 v24, v24, v26, vcc
	v_cndmask_b32_e32 v25, v25, v27, vcc
	v_cmp_lt_u32_e32 vcc, 3, v28
	v_mov_b32_dpp v26, v24 row_shr:4 row_mask:0xf bank_mask:0xf
	v_mov_b32_dpp v27, v25 row_shr:4 row_mask:0xf bank_mask:0xf
	v_add_f64 v[26:27], v[24:25], v[26:27]
	;; [unrolled: 6-line block ×3, first 2 shown]
	v_cndmask_b32_e32 v24, v24, v26, vcc
	v_cndmask_b32_e32 v25, v25, v27, vcc
	v_and_b32_e32 v30, 16, v33
	v_mov_b32_dpp v26, v24 row_bcast:15 row_mask:0xf bank_mask:0xf
	v_mov_b32_dpp v27, v25 row_bcast:15 row_mask:0xf bank_mask:0xf
	v_add_f64 v[28:29], v[24:25], v[26:27]
	v_cmp_eq_u32_e32 vcc, 0, v30
	v_cndmask_b32_e32 v27, v29, v25, vcc
	v_cndmask_b32_e32 v26, v28, v24, vcc
	v_cmp_eq_u32_e64 s[0:1], 0, v33
	v_mov_b32_dpp v27, v27 row_bcast:31 row_mask:0xf bank_mask:0xf
	v_mov_b32_dpp v26, v26 row_bcast:31 row_mask:0xf bank_mask:0xf
	v_cmp_ne_u32_e64 s[2:3], 0, v33
	s_and_saveexec_b64 s[12:13], s[2:3]
; %bb.26:
	v_cndmask_b32_e32 v23, v29, v25, vcc
	v_cndmask_b32_e32 v22, v28, v24, vcc
	v_add_f64 v[24:25], v[22:23], v[26:27]
	v_cmp_lt_u32_e32 vcc, 31, v33
	v_cndmask_b32_e32 v23, v23, v25, vcc
	v_cndmask_b32_e32 v22, v22, v24, vcc
; %bb.27:
	s_or_b64 exec, exec, s[12:13]
	v_or_b32_e32 v25, 63, v0
	v_lshrrev_b32_e32 v24, 6, v0
	v_cmp_eq_u32_e32 vcc, v25, v0
	s_and_saveexec_b64 s[2:3], vcc
	s_cbranch_execz .LBB143_29
; %bb.28:
	v_lshlrev_b32_e32 v25, 3, v24
	ds_write_b64 v25, v[22:23]
.LBB143_29:
	s_or_b64 exec, exec, s[2:3]
	v_cmp_gt_u32_e32 vcc, 2, v0
	s_waitcnt lgkmcnt(0)
	s_barrier
	s_and_saveexec_b64 s[2:3], vcc
	s_cbranch_execz .LBB143_31
; %bb.30:
	ds_read_b64 v[26:27], v44
	v_and_b32_e32 v25, 1, v33
	v_cmp_eq_u32_e32 vcc, 0, v25
	s_waitcnt lgkmcnt(0)
	v_mov_b32_dpp v28, v26 row_shr:1 row_mask:0xf bank_mask:0xf
	v_mov_b32_dpp v29, v27 row_shr:1 row_mask:0xf bank_mask:0xf
	v_add_f64 v[28:29], v[26:27], v[28:29]
	v_cndmask_b32_e32 v27, v29, v27, vcc
	v_cndmask_b32_e32 v26, v28, v26, vcc
	ds_write_b64 v44, v[26:27]
.LBB143_31:
	s_or_b64 exec, exec, s[2:3]
	v_cmp_gt_u32_e32 vcc, 64, v0
	v_cmp_lt_u32_e64 s[2:3], 63, v0
	s_waitcnt lgkmcnt(0)
	s_barrier
	s_waitcnt lgkmcnt(0)
                                        ; implicit-def: $vgpr30_vgpr31
	s_and_saveexec_b64 s[12:13], s[2:3]
	s_cbranch_execz .LBB143_33
; %bb.32:
	v_lshl_add_u32 v24, v24, 3, -8
	ds_read_b64 v[30:31], v24
	s_waitcnt lgkmcnt(0)
	v_add_f64 v[22:23], v[22:23], v[30:31]
.LBB143_33:
	s_or_b64 exec, exec, s[12:13]
	v_add_u32_e32 v24, -1, v33
	v_and_b32_e32 v25, 64, v33
	v_cmp_lt_i32_e64 s[2:3], v24, v25
	v_cndmask_b32_e64 v24, v24, v33, s[2:3]
	v_lshlrev_b32_e32 v24, 2, v24
	ds_bpermute_b32 v38, v24, v22
	ds_bpermute_b32 v39, v24, v23
	s_and_saveexec_b64 s[12:13], vcc
	s_cbranch_execz .LBB143_52
; %bb.34:
	v_mov_b32_e32 v25, 0
	ds_read_b64 v[22:23], v25 offset:8
	s_and_saveexec_b64 s[2:3], s[0:1]
	s_cbranch_execz .LBB143_36
; %bb.35:
	s_add_i32 s14, s6, 64
	s_mov_b32 s15, 0
	s_lshl_b64 s[14:15], s[14:15], 4
	s_add_u32 s14, s22, s14
	s_addc_u32 s15, s23, s15
	v_mov_b32_e32 v24, 1
	v_pk_mov_b32 v[26:27], s[14:15], s[14:15] op_sel:[0,1]
	s_waitcnt lgkmcnt(0)
	;;#ASMSTART
	global_store_dwordx4 v[26:27], v[22:25] off	
s_waitcnt vmcnt(0)
	;;#ASMEND
.LBB143_36:
	s_or_b64 exec, exec, s[2:3]
	v_xad_u32 v32, v33, -1, s6
	v_add_u32_e32 v24, 64, v32
	v_lshlrev_b64 v[26:27], 4, v[24:25]
	v_mov_b32_e32 v24, s23
	v_add_co_u32_e32 v34, vcc, s22, v26
	v_addc_co_u32_e32 v35, vcc, v24, v27, vcc
	;;#ASMSTART
	global_load_dwordx4 v[26:29], v[34:35] off glc	
s_waitcnt vmcnt(0)
	;;#ASMEND
	v_cmp_eq_u16_sdwa s[14:15], v28, v25 src0_sel:BYTE_0 src1_sel:DWORD
	s_and_saveexec_b64 s[2:3], s[14:15]
	s_cbranch_execz .LBB143_40
; %bb.37:
	s_mov_b64 s[14:15], 0
	v_mov_b32_e32 v24, 0
.LBB143_38:                             ; =>This Inner Loop Header: Depth=1
	;;#ASMSTART
	global_load_dwordx4 v[26:29], v[34:35] off glc	
s_waitcnt vmcnt(0)
	;;#ASMEND
	v_cmp_ne_u16_sdwa s[26:27], v28, v24 src0_sel:BYTE_0 src1_sel:DWORD
	s_or_b64 s[14:15], s[26:27], s[14:15]
	s_andn2_b64 exec, exec, s[14:15]
	s_cbranch_execnz .LBB143_38
; %bb.39:
	s_or_b64 exec, exec, s[14:15]
.LBB143_40:
	s_or_b64 exec, exec, s[2:3]
	v_and_b32_e32 v37, 63, v33
	v_cmp_ne_u32_e32 vcc, 63, v37
	v_mov_b32_e32 v40, 2
	v_addc_co_u32_e32 v34, vcc, 0, v33, vcc
	v_cmp_eq_u16_sdwa s[2:3], v28, v40 src0_sel:BYTE_0 src1_sel:DWORD
	v_lshlrev_b64 v[24:25], v33, -1
	v_lshlrev_b32_e32 v41, 2, v34
	v_and_b32_e32 v29, s3, v25
	ds_bpermute_b32 v34, v41, v26
	ds_bpermute_b32 v35, v41, v27
	v_or_b32_e32 v29, 0x80000000, v29
	v_and_b32_e32 v36, s2, v24
	v_ffbl_b32_e32 v29, v29
	v_add_u32_e32 v29, 32, v29
	v_ffbl_b32_e32 v36, v36
	v_min_u32_e32 v29, v36, v29
	v_add_u32_e32 v47, 1, v33
	s_waitcnt lgkmcnt(0)
	v_add_f64 v[34:35], v[26:27], v[34:35]
	v_cmp_gt_u32_e32 vcc, v47, v29
	v_cndmask_b32_e32 v26, v34, v26, vcc
	v_cndmask_b32_e32 v27, v35, v27, vcc
	v_cmp_gt_u32_e32 vcc, 62, v37
	v_cndmask_b32_e64 v34, 0, 1, vcc
	v_lshlrev_b32_e32 v34, 1, v34
	v_add_lshl_u32 v48, v34, v33, 2
	ds_bpermute_b32 v34, v48, v26
	ds_bpermute_b32 v35, v48, v27
	v_add_u32_e32 v49, 2, v33
	v_cmp_gt_u32_e32 vcc, v49, v29
	v_add_u32_e32 v51, 4, v33
	v_add_u32_e32 v53, 8, v33
	s_waitcnt lgkmcnt(0)
	v_add_f64 v[34:35], v[26:27], v[34:35]
	v_cndmask_b32_e32 v26, v34, v26, vcc
	v_cndmask_b32_e32 v27, v35, v27, vcc
	v_cmp_gt_u32_e32 vcc, 60, v37
	v_cndmask_b32_e64 v34, 0, 1, vcc
	v_lshlrev_b32_e32 v34, 2, v34
	v_add_lshl_u32 v50, v34, v33, 2
	ds_bpermute_b32 v34, v50, v26
	ds_bpermute_b32 v35, v50, v27
	v_cmp_gt_u32_e32 vcc, v51, v29
	v_add_u32_e32 v55, 16, v33
	v_cmp_gt_u32_e64 s[2:3], 32, v37
	v_add_u32_e32 v57, 32, v33
	s_waitcnt lgkmcnt(0)
	v_add_f64 v[34:35], v[26:27], v[34:35]
	v_cndmask_b32_e32 v26, v34, v26, vcc
	v_cndmask_b32_e32 v27, v35, v27, vcc
	v_cmp_gt_u32_e32 vcc, 56, v37
	v_cndmask_b32_e64 v34, 0, 1, vcc
	v_lshlrev_b32_e32 v34, 3, v34
	v_add_lshl_u32 v52, v34, v33, 2
	ds_bpermute_b32 v34, v52, v26
	ds_bpermute_b32 v35, v52, v27
	v_cmp_gt_u32_e32 vcc, v53, v29
	s_waitcnt lgkmcnt(0)
	v_add_f64 v[34:35], v[26:27], v[34:35]
	v_cndmask_b32_e32 v26, v34, v26, vcc
	v_cndmask_b32_e32 v27, v35, v27, vcc
	v_cmp_gt_u32_e32 vcc, 48, v37
	v_cndmask_b32_e64 v34, 0, 1, vcc
	v_lshlrev_b32_e32 v34, 4, v34
	v_add_lshl_u32 v54, v34, v33, 2
	ds_bpermute_b32 v34, v54, v26
	ds_bpermute_b32 v35, v54, v27
	v_cmp_gt_u32_e32 vcc, v55, v29
	s_waitcnt lgkmcnt(0)
	v_add_f64 v[34:35], v[26:27], v[34:35]
	v_cndmask_b32_e32 v26, v34, v26, vcc
	v_cndmask_b32_e64 v34, 0, 1, s[2:3]
	v_lshlrev_b32_e32 v34, 5, v34
	v_add_lshl_u32 v56, v34, v33, 2
	v_cndmask_b32_e32 v27, v35, v27, vcc
	ds_bpermute_b32 v34, v56, v26
	ds_bpermute_b32 v35, v56, v27
	v_cmp_gt_u32_e32 vcc, v57, v29
	v_mov_b32_e32 v33, 0
	s_waitcnt lgkmcnt(0)
	v_add_f64 v[34:35], v[26:27], v[34:35]
	v_cndmask_b32_e32 v27, v35, v27, vcc
	v_cndmask_b32_e32 v26, v34, v26, vcc
	s_branch .LBB143_42
.LBB143_41:                             ;   in Loop: Header=BB143_42 Depth=1
	s_or_b64 exec, exec, s[2:3]
	v_cmp_eq_u16_sdwa s[2:3], v28, v40 src0_sel:BYTE_0 src1_sel:DWORD
	v_and_b32_e32 v29, s3, v25
	ds_bpermute_b32 v36, v41, v26
	ds_bpermute_b32 v37, v41, v27
	v_or_b32_e32 v29, 0x80000000, v29
	v_and_b32_e32 v58, s2, v24
	v_ffbl_b32_e32 v29, v29
	v_add_u32_e32 v29, 32, v29
	v_ffbl_b32_e32 v58, v58
	v_min_u32_e32 v29, v58, v29
	s_waitcnt lgkmcnt(0)
	v_add_f64 v[36:37], v[26:27], v[36:37]
	v_cmp_gt_u32_e32 vcc, v47, v29
	v_cndmask_b32_e32 v26, v36, v26, vcc
	v_cndmask_b32_e32 v27, v37, v27, vcc
	ds_bpermute_b32 v36, v48, v26
	ds_bpermute_b32 v37, v48, v27
	v_cmp_gt_u32_e32 vcc, v49, v29
	v_subrev_u32_e32 v32, 64, v32
	s_waitcnt lgkmcnt(0)
	v_add_f64 v[36:37], v[26:27], v[36:37]
	v_cndmask_b32_e32 v26, v36, v26, vcc
	v_cndmask_b32_e32 v27, v37, v27, vcc
	ds_bpermute_b32 v36, v50, v26
	ds_bpermute_b32 v37, v50, v27
	v_cmp_gt_u32_e32 vcc, v51, v29
	s_waitcnt lgkmcnt(0)
	v_add_f64 v[36:37], v[26:27], v[36:37]
	v_cndmask_b32_e32 v26, v36, v26, vcc
	v_cndmask_b32_e32 v27, v37, v27, vcc
	ds_bpermute_b32 v36, v52, v26
	ds_bpermute_b32 v37, v52, v27
	v_cmp_gt_u32_e32 vcc, v53, v29
	;; [unrolled: 7-line block ×4, first 2 shown]
	s_waitcnt lgkmcnt(0)
	v_add_f64 v[36:37], v[26:27], v[36:37]
	v_cndmask_b32_e32 v27, v37, v27, vcc
	v_cndmask_b32_e32 v26, v36, v26, vcc
	v_add_f64 v[26:27], v[34:35], v[26:27]
.LBB143_42:                             ; =>This Loop Header: Depth=1
                                        ;     Child Loop BB143_45 Depth 2
	v_cmp_ne_u16_sdwa s[2:3], v28, v40 src0_sel:BYTE_0 src1_sel:DWORD
	v_cndmask_b32_e64 v28, 0, 1, s[2:3]
	;;#ASMSTART
	;;#ASMEND
	v_cmp_ne_u32_e32 vcc, 0, v28
	s_cmp_lg_u64 vcc, exec
	v_pk_mov_b32 v[34:35], v[26:27], v[26:27] op_sel:[0,1]
	s_cbranch_scc1 .LBB143_47
; %bb.43:                               ;   in Loop: Header=BB143_42 Depth=1
	v_lshlrev_b64 v[26:27], 4, v[32:33]
	v_mov_b32_e32 v28, s23
	v_add_co_u32_e32 v36, vcc, s22, v26
	v_addc_co_u32_e32 v37, vcc, v28, v27, vcc
	;;#ASMSTART
	global_load_dwordx4 v[26:29], v[36:37] off glc	
s_waitcnt vmcnt(0)
	;;#ASMEND
	v_cmp_eq_u16_sdwa s[14:15], v28, v33 src0_sel:BYTE_0 src1_sel:DWORD
	s_and_saveexec_b64 s[2:3], s[14:15]
	s_cbranch_execz .LBB143_41
; %bb.44:                               ;   in Loop: Header=BB143_42 Depth=1
	s_mov_b64 s[14:15], 0
.LBB143_45:                             ;   Parent Loop BB143_42 Depth=1
                                        ; =>  This Inner Loop Header: Depth=2
	;;#ASMSTART
	global_load_dwordx4 v[26:29], v[36:37] off glc	
s_waitcnt vmcnt(0)
	;;#ASMEND
	v_cmp_ne_u16_sdwa s[26:27], v28, v33 src0_sel:BYTE_0 src1_sel:DWORD
	s_or_b64 s[14:15], s[26:27], s[14:15]
	s_andn2_b64 exec, exec, s[14:15]
	s_cbranch_execnz .LBB143_45
; %bb.46:                               ;   in Loop: Header=BB143_42 Depth=1
	s_or_b64 exec, exec, s[14:15]
	s_branch .LBB143_41
.LBB143_47:                             ;   in Loop: Header=BB143_42 Depth=1
                                        ; implicit-def: $vgpr26_vgpr27
                                        ; implicit-def: $vgpr28
	s_cbranch_execz .LBB143_42
; %bb.48:
	s_and_saveexec_b64 s[2:3], s[0:1]
	s_cbranch_execz .LBB143_50
; %bb.49:
	s_add_i32 s6, s6, 64
	s_mov_b32 s7, 0
	s_lshl_b64 s[6:7], s[6:7], 4
	s_add_u32 s6, s22, s6
	s_addc_u32 s7, s23, s7
	v_add_f64 v[22:23], v[22:23], v[34:35]
	v_mov_b32_e32 v24, 2
	v_mov_b32_e32 v25, 0
	v_pk_mov_b32 v[26:27], s[6:7], s[6:7] op_sel:[0,1]
	;;#ASMSTART
	global_store_dwordx4 v[26:27], v[22:25] off	
s_waitcnt vmcnt(0)
	;;#ASMEND
.LBB143_50:
	s_or_b64 exec, exec, s[2:3]
	v_cmp_eq_u32_e32 vcc, 0, v0
	s_and_b64 exec, exec, vcc
	s_cbranch_execz .LBB143_52
; %bb.51:
	v_mov_b32_e32 v22, 0
	ds_write_b64 v22, v[34:35] offset:8
.LBB143_52:
	s_or_b64 exec, exec, s[12:13]
	v_mov_b32_e32 v22, 0
	s_waitcnt lgkmcnt(0)
	s_barrier
	ds_read_b64 v[22:23], v22 offset:8
	v_cndmask_b32_e64 v25, v39, v31, s[0:1]
	v_cndmask_b32_e64 v24, v38, v30, s[0:1]
	v_cmp_eq_u32_e32 vcc, 0, v0
	s_waitcnt lgkmcnt(0)
	v_add_f64 v[24:25], v[24:25], v[22:23]
	v_cndmask_b32_e32 v39, v25, v23, vcc
	v_cndmask_b32_e32 v38, v24, v22, vcc
	v_add_f64 v[40:41], v[14:15], v[38:39]
	v_add_f64 v[34:35], v[16:17], v[40:41]
	;; [unrolled: 1-line block ×9, first 2 shown]
	s_load_dwordx4 s[12:15], s[4:5], 0x40
	s_branch .LBB143_67
.LBB143_53:
                                        ; implicit-def: $vgpr24_vgpr25
                                        ; implicit-def: $vgpr28_vgpr29
                                        ; implicit-def: $vgpr32_vgpr33
                                        ; implicit-def: $vgpr36_vgpr37
                                        ; implicit-def: $vgpr40_vgpr41
	s_load_dwordx4 s[12:15], s[4:5], 0x40
	s_cbranch_execz .LBB143_67
; %bb.54:
	s_load_dword s0, s[4:5], 0x50
	v_pk_mov_b32 v[24:25], s[20:21], s[20:21] op_sel:[0,1]
	s_waitcnt lgkmcnt(0)
	s_bitcmp0_b32 s0, 0
	s_cbranch_scc1 .LBB143_56
; %bb.55:
	v_mov_b32_e32 v22, 0
	global_load_dword v22, v22, s[18:19] offset:-4
	s_load_dwordx2 s[0:1], s[12:13], 0x0
	s_waitcnt vmcnt(0)
	v_cvt_f64_i32_e32 v[22:23], v22
	s_waitcnt lgkmcnt(0)
	v_add_f64 v[24:25], s[0:1], v[22:23]
.LBB143_56:
	v_add_f64 v[22:23], v[12:13], v[42:43]
	v_add_f64 v[22:23], v[6:7], v[22:23]
	v_add_f64 v[22:23], v[8:9], v[22:23]
	v_add_f64 v[22:23], v[2:3], v[22:23]
	v_add_f64 v[22:23], v[4:5], v[22:23]
	v_add_f64 v[22:23], v[18:19], v[22:23]
	v_add_f64 v[20:21], v[20:21], v[22:23]
	v_mbcnt_hi_u32_b32 v1, -1, v1
	v_and_b32_e32 v28, 15, v1
	v_mov_b32_dpp v22, v20 row_shr:1 row_mask:0xf bank_mask:0xf
	v_mov_b32_dpp v23, v21 row_shr:1 row_mask:0xf bank_mask:0xf
	v_add_f64 v[22:23], v[20:21], v[22:23]
	v_cmp_eq_u32_e32 vcc, 0, v28
	v_cndmask_b32_e32 v22, v22, v20, vcc
	v_cndmask_b32_e32 v23, v23, v21, vcc
	v_cmp_lt_u32_e32 vcc, 1, v28
	v_mov_b32_dpp v26, v22 row_shr:2 row_mask:0xf bank_mask:0xf
	v_mov_b32_dpp v27, v23 row_shr:2 row_mask:0xf bank_mask:0xf
	v_add_f64 v[26:27], v[22:23], v[26:27]
	v_cndmask_b32_e32 v22, v22, v26, vcc
	v_cndmask_b32_e32 v23, v23, v27, vcc
	v_cmp_lt_u32_e32 vcc, 3, v28
	v_mov_b32_dpp v26, v22 row_shr:4 row_mask:0xf bank_mask:0xf
	v_mov_b32_dpp v27, v23 row_shr:4 row_mask:0xf bank_mask:0xf
	v_add_f64 v[26:27], v[22:23], v[26:27]
	;; [unrolled: 6-line block ×3, first 2 shown]
	v_cndmask_b32_e32 v22, v22, v26, vcc
	v_cndmask_b32_e32 v23, v23, v27, vcc
	v_and_b32_e32 v30, 16, v1
	v_mov_b32_dpp v26, v22 row_bcast:15 row_mask:0xf bank_mask:0xf
	v_mov_b32_dpp v27, v23 row_bcast:15 row_mask:0xf bank_mask:0xf
	v_add_f64 v[28:29], v[22:23], v[26:27]
	v_cmp_eq_u32_e64 s[0:1], 0, v30
	v_cndmask_b32_e64 v27, v29, v23, s[0:1]
	v_cndmask_b32_e64 v26, v28, v22, s[0:1]
	v_cmp_eq_u32_e32 vcc, 0, v1
	v_mov_b32_dpp v27, v27 row_bcast:31 row_mask:0xf bank_mask:0xf
	v_mov_b32_dpp v26, v26 row_bcast:31 row_mask:0xf bank_mask:0xf
	v_cmp_ne_u32_e64 s[2:3], 0, v1
	s_and_saveexec_b64 s[6:7], s[2:3]
; %bb.57:
	v_cndmask_b32_e64 v21, v29, v23, s[0:1]
	v_cndmask_b32_e64 v20, v28, v22, s[0:1]
	v_add_f64 v[22:23], v[20:21], v[26:27]
	v_cmp_lt_u32_e64 s[0:1], 31, v1
	v_cndmask_b32_e64 v21, v21, v23, s[0:1]
	v_cndmask_b32_e64 v20, v20, v22, s[0:1]
; %bb.58:
	s_or_b64 exec, exec, s[6:7]
	v_or_b32_e32 v22, 63, v0
	v_lshrrev_b32_e32 v26, 6, v0
	v_cmp_eq_u32_e64 s[0:1], v22, v0
	s_and_saveexec_b64 s[2:3], s[0:1]
	s_cbranch_execz .LBB143_60
; %bb.59:
	v_lshlrev_b32_e32 v22, 3, v26
	ds_write_b64 v22, v[20:21]
.LBB143_60:
	s_or_b64 exec, exec, s[2:3]
	v_cmp_gt_u32_e64 s[0:1], 2, v0
	s_waitcnt lgkmcnt(0)
	s_barrier
	s_and_saveexec_b64 s[2:3], s[0:1]
	s_cbranch_execz .LBB143_62
; %bb.61:
	s_movk_i32 s0, 0xffb8
	v_mad_i32_i24 v27, v0, s0, v46
	ds_read_b64 v[22:23], v27
	v_and_b32_e32 v30, 1, v1
	v_cmp_eq_u32_e64 s[0:1], 0, v30
	s_waitcnt lgkmcnt(0)
	v_mov_b32_dpp v28, v22 row_shr:1 row_mask:0xf bank_mask:0xf
	v_mov_b32_dpp v29, v23 row_shr:1 row_mask:0xf bank_mask:0xf
	v_add_f64 v[28:29], v[22:23], v[28:29]
	v_cndmask_b32_e64 v23, v29, v23, s[0:1]
	v_cndmask_b32_e64 v22, v28, v22, s[0:1]
	ds_write_b64 v27, v[22:23]
.LBB143_62:
	s_or_b64 exec, exec, s[2:3]
	v_cmp_lt_u32_e64 s[0:1], 63, v0
	v_pk_mov_b32 v[22:23], v[24:25], v[24:25] op_sel:[0,1]
	s_waitcnt lgkmcnt(0)
	s_barrier
	s_and_saveexec_b64 s[2:3], s[0:1]
	s_cbranch_execz .LBB143_64
; %bb.63:
	v_lshl_add_u32 v22, v26, 3, -8
	ds_read_b64 v[22:23], v22
	s_waitcnt lgkmcnt(0)
	v_add_f64 v[22:23], v[24:25], v[22:23]
.LBB143_64:
	s_or_b64 exec, exec, s[2:3]
	v_add_u32_e32 v26, -1, v1
	v_and_b32_e32 v27, 64, v1
	v_cmp_lt_i32_e64 s[0:1], v26, v27
	v_cndmask_b32_e64 v1, v26, v1, s[0:1]
	v_add_f64 v[20:21], v[20:21], v[22:23]
	v_lshlrev_b32_e32 v1, 2, v1
	ds_bpermute_b32 v20, v1, v20
	ds_bpermute_b32 v1, v1, v21
	s_waitcnt lgkmcnt(1)
	v_cndmask_b32_e32 v20, v20, v22, vcc
	s_waitcnt lgkmcnt(0)
	v_cndmask_b32_e32 v1, v1, v23, vcc
	v_cmp_eq_u32_e32 vcc, 0, v0
	v_cndmask_b32_e32 v39, v1, v25, vcc
	v_cndmask_b32_e32 v38, v20, v24, vcc
	v_add_f64 v[40:41], v[14:15], v[38:39]
	v_add_f64 v[34:35], v[16:17], v[40:41]
	;; [unrolled: 1-line block ×8, first 2 shown]
	s_and_saveexec_b64 s[0:1], vcc
	s_cbranch_execz .LBB143_66
; %bb.65:
	v_mov_b32_e32 v5, 0
	ds_read_b64 v[2:3], v5 offset:8
	s_add_u32 s2, s22, 0x400
	s_addc_u32 s3, s23, 0
	v_mov_b32_e32 v4, 2
	v_pk_mov_b32 v[6:7], s[2:3], s[2:3] op_sel:[0,1]
	s_waitcnt lgkmcnt(0)
	v_add_f64 v[2:3], v[24:25], v[2:3]
	;;#ASMSTART
	global_store_dwordx4 v[6:7], v[2:5] off	
s_waitcnt vmcnt(0)
	;;#ASMEND
.LBB143_66:
	s_or_b64 exec, exec, s[0:1]
	v_add_f64 v[24:25], v[18:19], v[22:23]
.LBB143_67:
	s_lshl_b64 s[0:1], s[16:17], 3
	s_add_u32 s0, s8, s0
	s_addc_u32 s1, s9, s1
	s_mov_b64 s[2:3], -1
	s_and_b64 vcc, exec, s[10:11]
	s_waitcnt lgkmcnt(0)
	s_barrier
	s_cbranch_vccz .LBB143_69
; %bb.68:
	ds_write_b128 v46, v[38:41]
	ds_write_b128 v46, v[34:37] offset:16
	ds_write_b128 v46, v[30:33] offset:32
	;; [unrolled: 1-line block ×4, first 2 shown]
	s_waitcnt lgkmcnt(0)
	s_barrier
	ds_read2st64_b64 v[2:5], v44 offset1:2
	ds_read2st64_b64 v[6:9], v44 offset0:4 offset1:6
	ds_read2st64_b64 v[10:13], v44 offset0:8 offset1:10
	;; [unrolled: 1-line block ×4, first 2 shown]
	v_mov_b32_e32 v1, s1
	v_add_co_u32_e32 v42, vcc, s0, v44
	v_addc_co_u32_e32 v1, vcc, 0, v1, vcc
	s_movk_i32 s2, 0x1000
	s_waitcnt lgkmcnt(4)
	global_store_dwordx2 v44, v[2:3], s[0:1]
	global_store_dwordx2 v44, v[4:5], s[0:1] offset:1024
	s_waitcnt lgkmcnt(3)
	global_store_dwordx2 v44, v[6:7], s[0:1] offset:2048
	global_store_dwordx2 v44, v[8:9], s[0:1] offset:3072
	v_add_co_u32_e32 v2, vcc, s2, v42
	v_addc_co_u32_e32 v3, vcc, 0, v1, vcc
	s_waitcnt lgkmcnt(2)
	global_store_dwordx2 v[2:3], v[10:11], off
	global_store_dwordx2 v[2:3], v[12:13], off offset:1024
	s_waitcnt lgkmcnt(1)
	global_store_dwordx2 v[2:3], v[14:15], off offset:2048
	global_store_dwordx2 v[2:3], v[16:17], off offset:3072
	v_add_co_u32_e32 v2, vcc, 0x2000, v42
	v_addc_co_u32_e32 v3, vcc, 0, v1, vcc
	s_waitcnt lgkmcnt(0)
	global_store_dwordx2 v[2:3], v[18:19], off
	global_store_dwordx2 v[2:3], v[20:21], off offset:1024
	s_mov_b64 s[2:3], 0
.LBB143_69:
	s_andn2_b64 vcc, exec, s[2:3]
	s_cbranch_vccnz .LBB143_125
; %bb.70:
	s_movk_i32 s2, 0xffb8
	v_mad_i32_i24 v18, v0, s2, v46
	ds_write_b128 v46, v[38:41]
	ds_write_b128 v46, v[34:37] offset:16
	ds_write_b128 v46, v[30:33] offset:32
	ds_write_b128 v46, v[26:29] offset:48
	ds_write_b128 v46, v[22:25] offset:64
	s_waitcnt lgkmcnt(0)
	s_barrier
	ds_read2st64_b64 v[2:5], v18 offset1:2
	ds_read2st64_b64 v[10:13], v18 offset0:4 offset1:6
	ds_read2st64_b64 v[6:9], v18 offset0:8 offset1:10
	;; [unrolled: 1-line block ×4, first 2 shown]
	v_mov_b32_e32 v23, s1
	v_add_co_u32_e32 v22, vcc, s0, v44
	v_addc_co_u32_e32 v23, vcc, 0, v23, vcc
	v_mov_b32_e32 v1, 0
	v_cmp_gt_u32_e32 vcc, s24, v0
	s_and_saveexec_b64 s[0:1], vcc
	s_cbranch_execz .LBB143_72
; %bb.71:
	s_waitcnt lgkmcnt(4)
	global_store_dwordx2 v[22:23], v[2:3], off
.LBB143_72:
	s_or_b64 exec, exec, s[0:1]
	v_or_b32_e32 v24, 0x80, v0
	v_cmp_gt_u32_e32 vcc, s24, v24
	s_and_saveexec_b64 s[0:1], vcc
	s_cbranch_execz .LBB143_74
; %bb.73:
	s_waitcnt lgkmcnt(4)
	global_store_dwordx2 v[22:23], v[4:5], off offset:1024
.LBB143_74:
	s_or_b64 exec, exec, s[0:1]
	v_or_b32_e32 v24, 0x100, v0
	v_cmp_gt_u32_e32 vcc, s24, v24
	s_and_saveexec_b64 s[0:1], vcc
	s_cbranch_execz .LBB143_76
; %bb.75:
	s_waitcnt lgkmcnt(3)
	global_store_dwordx2 v[22:23], v[10:11], off offset:2048
.LBB143_76:
	;; [unrolled: 9-line block ×3, first 2 shown]
	s_or_b64 exec, exec, s[0:1]
	v_or_b32_e32 v24, 0x200, v0
	v_cmp_gt_u32_e32 vcc, s24, v24
	s_and_saveexec_b64 s[0:1], vcc
	s_cbranch_execz .LBB143_80
; %bb.79:
	v_add_co_u32_e32 v24, vcc, 0x1000, v22
	v_addc_co_u32_e32 v25, vcc, 0, v23, vcc
	s_waitcnt lgkmcnt(2)
	global_store_dwordx2 v[24:25], v[6:7], off
.LBB143_80:
	s_or_b64 exec, exec, s[0:1]
	v_or_b32_e32 v24, 0x280, v0
	v_cmp_gt_u32_e32 vcc, s24, v24
	s_and_saveexec_b64 s[0:1], vcc
	s_cbranch_execz .LBB143_82
; %bb.81:
	v_add_co_u32_e32 v24, vcc, 0x1000, v22
	v_addc_co_u32_e32 v25, vcc, 0, v23, vcc
	s_waitcnt lgkmcnt(2)
	global_store_dwordx2 v[24:25], v[8:9], off offset:1024
.LBB143_82:
	s_or_b64 exec, exec, s[0:1]
	v_or_b32_e32 v24, 0x300, v0
	v_cmp_gt_u32_e32 vcc, s24, v24
	s_and_saveexec_b64 s[0:1], vcc
	s_cbranch_execz .LBB143_84
; %bb.83:
	v_add_co_u32_e32 v24, vcc, 0x1000, v22
	v_addc_co_u32_e32 v25, vcc, 0, v23, vcc
	s_waitcnt lgkmcnt(1)
	global_store_dwordx2 v[24:25], v[14:15], off offset:2048
.LBB143_84:
	;; [unrolled: 11-line block ×3, first 2 shown]
	s_or_b64 exec, exec, s[0:1]
	v_or_b32_e32 v24, 0x400, v0
	v_cmp_gt_u32_e32 vcc, s24, v24
	s_and_saveexec_b64 s[0:1], vcc
	s_cbranch_execz .LBB143_88
; %bb.87:
	v_add_co_u32_e32 v24, vcc, 0x2000, v22
	v_addc_co_u32_e32 v25, vcc, 0, v23, vcc
	s_waitcnt lgkmcnt(0)
	global_store_dwordx2 v[24:25], v[18:19], off
.LBB143_88:
	s_or_b64 exec, exec, s[0:1]
	v_or_b32_e32 v24, 0x480, v0
	v_cmp_gt_u32_e32 vcc, s24, v24
	s_and_saveexec_b64 s[0:1], vcc
	s_cbranch_execz .LBB143_90
; %bb.89:
	v_add_co_u32_e32 v22, vcc, 0x2000, v22
	v_addc_co_u32_e32 v23, vcc, 0, v23, vcc
	s_waitcnt lgkmcnt(0)
	global_store_dwordx2 v[22:23], v[20:21], off offset:1024
.LBB143_90:
	s_or_b64 exec, exec, s[0:1]
	s_load_dword s0, s[4:5], 0x50
	s_waitcnt lgkmcnt(0)
	s_bfe_u32 s0, s0, 0x10008
	s_cmp_eq_u32 s0, 0
	s_cbranch_scc1 .LBB143_125
; %bb.91:
	s_add_u32 s0, s24, -1
	s_addc_u32 s1, s25, -1
	s_add_u32 s2, 0, 0x99986000
	s_addc_u32 s3, 0, 0x59
	s_add_i32 s3, s3, 0x19999940
	s_mul_hi_u32 s7, s2, -10
	s_sub_i32 s7, s7, s2
	s_mul_i32 s8, s3, -10
	s_mul_i32 s4, s2, -10
	s_add_i32 s7, s7, s8
	s_mul_hi_u32 s5, s3, s4
	s_mul_i32 s6, s3, s4
	s_mul_i32 s9, s2, s7
	s_mul_hi_u32 s4, s2, s4
	s_mul_hi_u32 s8, s2, s7
	s_add_u32 s4, s4, s9
	s_addc_u32 s8, 0, s8
	s_add_u32 s4, s4, s6
	s_mul_hi_u32 s9, s3, s7
	s_addc_u32 s4, s8, s5
	s_addc_u32 s5, s9, 0
	s_mul_i32 s6, s3, s7
	s_add_u32 s4, s4, s6
	v_mov_b32_e32 v22, s4
	s_addc_u32 s5, 0, s5
	v_add_co_u32_e32 v22, vcc, s2, v22
	s_cmp_lg_u64 vcc, 0
	s_addc_u32 s2, s3, s5
	v_readfirstlane_b32 s5, v22
	s_mul_i32 s4, s0, s2
	s_mul_hi_u32 s6, s0, s5
	s_mul_hi_u32 s3, s0, s2
	s_add_u32 s4, s6, s4
	s_addc_u32 s3, 0, s3
	s_mul_hi_u32 s7, s1, s5
	s_mul_i32 s5, s1, s5
	s_add_u32 s4, s4, s5
	s_mul_hi_u32 s6, s1, s2
	s_addc_u32 s3, s3, s7
	s_addc_u32 s4, s6, 0
	s_mul_i32 s2, s1, s2
	s_add_u32 s2, s3, s2
	s_addc_u32 s3, 0, s4
	s_add_u32 s4, s2, 1
	s_addc_u32 s5, s3, 0
	s_add_u32 s6, s2, 2
	s_mul_i32 s8, s3, 10
	s_mul_hi_u32 s9, s2, 10
	s_addc_u32 s7, s3, 0
	s_add_i32 s9, s9, s8
	s_mul_i32 s8, s2, 10
	v_mov_b32_e32 v22, s8
	v_sub_co_u32_e32 v22, vcc, s0, v22
	s_cmp_lg_u64 vcc, 0
	s_subb_u32 s8, s1, s9
	v_subrev_co_u32_e32 v23, vcc, 10, v22
	s_cmp_lg_u64 vcc, 0
	s_subb_u32 s9, s8, 0
	v_readfirstlane_b32 s10, v23
	s_cmp_gt_u32 s10, 9
	s_cselect_b32 s10, -1, 0
	s_cmp_eq_u32 s9, 0
	s_cselect_b32 s9, s10, -1
	s_cmp_lg_u32 s9, 0
	s_cselect_b32 s4, s6, s4
	v_readfirstlane_b32 s6, v22
	s_cselect_b32 s5, s7, s5
	s_cmp_gt_u32 s6, 9
	s_cselect_b32 s6, -1, 0
	s_cmp_eq_u32 s8, 0
	s_cselect_b32 s6, s6, -1
	s_cmp_lg_u32 s6, 0
	s_cselect_b32 s3, s5, s3
	s_cselect_b32 s2, s4, s2
	v_cmp_eq_u64_e32 vcc, s[2:3], v[0:1]
	s_and_saveexec_b64 s[2:3], vcc
	s_cbranch_execz .LBB143_125
; %bb.92:
	v_mul_hi_u32_u24_e32 v1, 10, v0
	v_mov_b32_e32 v22, s1
	v_sub_co_u32_e32 v0, vcc, s0, v45
	v_subb_co_u32_e32 v1, vcc, v22, v1, vcc
	v_cmp_lt_i64_e32 vcc, 4, v[0:1]
	s_and_saveexec_b64 s[0:1], vcc
	s_xor_b64 s[0:1], exec, s[0:1]
	s_cbranch_execz .LBB143_110
; %bb.93:
	v_cmp_lt_i64_e32 vcc, 6, v[0:1]
	s_and_saveexec_b64 s[2:3], vcc
	s_xor_b64 s[2:3], exec, s[2:3]
	s_cbranch_execz .LBB143_103
; %bb.94:
	;; [unrolled: 5-line block ×4, first 2 shown]
	v_mov_b32_e32 v0, 0
	global_store_dwordx2 v0, v[20:21], s[14:15]
                                        ; implicit-def: $vgpr18_vgpr19_vgpr20_vgpr21
.LBB143_97:
	s_andn2_saveexec_b64 s[6:7], s[6:7]
	s_cbranch_execz .LBB143_99
; %bb.98:
	v_mov_b32_e32 v0, 0
	global_store_dwordx2 v0, v[18:19], s[14:15]
.LBB143_99:
	s_or_b64 exec, exec, s[6:7]
                                        ; implicit-def: $vgpr14_vgpr15_vgpr16_vgpr17
.LBB143_100:
	s_andn2_saveexec_b64 s[4:5], s[4:5]
	s_cbranch_execz .LBB143_102
; %bb.101:
	v_mov_b32_e32 v0, 0
	global_store_dwordx2 v0, v[16:17], s[14:15]
.LBB143_102:
	s_or_b64 exec, exec, s[4:5]
                                        ; implicit-def: $vgpr6_vgpr7_vgpr8_vgpr9
                                        ; implicit-def: $vgpr0_vgpr1
                                        ; implicit-def: $vgpr14_vgpr15_vgpr16_vgpr17
.LBB143_103:
	s_andn2_saveexec_b64 s[2:3], s[2:3]
	s_cbranch_execz .LBB143_109
; %bb.104:
	v_cmp_lt_i64_e32 vcc, 5, v[0:1]
	s_and_saveexec_b64 s[4:5], vcc
	s_xor_b64 s[4:5], exec, s[4:5]
	s_cbranch_execz .LBB143_106
; %bb.105:
	v_mov_b32_e32 v0, 0
	global_store_dwordx2 v0, v[14:15], s[14:15]
                                        ; implicit-def: $vgpr6_vgpr7_vgpr8_vgpr9
.LBB143_106:
	s_andn2_saveexec_b64 s[4:5], s[4:5]
	s_cbranch_execz .LBB143_108
; %bb.107:
	v_mov_b32_e32 v0, 0
	global_store_dwordx2 v0, v[8:9], s[14:15]
.LBB143_108:
	s_or_b64 exec, exec, s[4:5]
.LBB143_109:
	s_or_b64 exec, exec, s[2:3]
                                        ; implicit-def: $vgpr0_vgpr1
                                        ; implicit-def: $vgpr10_vgpr11_vgpr12_vgpr13
                                        ; implicit-def: $vgpr2_vgpr3_vgpr4_vgpr5
                                        ; implicit-def: $vgpr6_vgpr7_vgpr8_vgpr9
.LBB143_110:
	s_andn2_saveexec_b64 s[0:1], s[0:1]
	s_cbranch_execz .LBB143_125
; %bb.111:
	v_cmp_lt_i64_e32 vcc, 2, v[0:1]
	s_and_saveexec_b64 s[0:1], vcc
	s_xor_b64 s[0:1], exec, s[0:1]
	s_cbranch_execz .LBB143_117
; %bb.112:
	v_cmp_lt_i64_e32 vcc, 3, v[0:1]
	s_and_saveexec_b64 s[2:3], vcc
	s_xor_b64 s[2:3], exec, s[2:3]
	s_cbranch_execz .LBB143_114
; %bb.113:
	v_mov_b32_e32 v0, 0
	global_store_dwordx2 v0, v[6:7], s[14:15]
                                        ; implicit-def: $vgpr10_vgpr11_vgpr12_vgpr13
.LBB143_114:
	s_andn2_saveexec_b64 s[2:3], s[2:3]
	s_cbranch_execz .LBB143_116
; %bb.115:
	v_mov_b32_e32 v0, 0
	global_store_dwordx2 v0, v[12:13], s[14:15]
.LBB143_116:
	s_or_b64 exec, exec, s[2:3]
                                        ; implicit-def: $vgpr0_vgpr1
                                        ; implicit-def: $vgpr10_vgpr11_vgpr12_vgpr13
                                        ; implicit-def: $vgpr2_vgpr3_vgpr4_vgpr5
.LBB143_117:
	s_andn2_saveexec_b64 s[0:1], s[0:1]
	s_cbranch_execz .LBB143_125
; %bb.118:
	v_cmp_lt_i64_e32 vcc, 1, v[0:1]
	s_and_saveexec_b64 s[0:1], vcc
	s_xor_b64 s[0:1], exec, s[0:1]
	s_cbranch_execz .LBB143_120
; %bb.119:
	v_mov_b32_e32 v0, 0
	global_store_dwordx2 v0, v[10:11], s[14:15]
                                        ; implicit-def: $vgpr2_vgpr3_vgpr4_vgpr5
                                        ; implicit-def: $vgpr0_vgpr1
.LBB143_120:
	s_andn2_saveexec_b64 s[0:1], s[0:1]
	s_cbranch_execz .LBB143_125
; %bb.121:
	v_cmp_ne_u64_e32 vcc, 1, v[0:1]
	s_and_saveexec_b64 s[0:1], vcc
	s_xor_b64 s[0:1], exec, s[0:1]
	s_cbranch_execz .LBB143_123
; %bb.122:
	v_mov_b32_e32 v0, 0
	global_store_dwordx2 v0, v[2:3], s[14:15]
                                        ; implicit-def: $vgpr2_vgpr3_vgpr4_vgpr5
.LBB143_123:
	s_andn2_saveexec_b64 s[0:1], s[0:1]
	s_cbranch_execz .LBB143_125
; %bb.124:
	v_mov_b32_e32 v0, 0
	global_store_dwordx2 v0, v[4:5], s[14:15]
.LBB143_125:
	s_endpgm
	.section	.rodata,"a",@progbits
	.p2align	6, 0x0
	.amdhsa_kernel _ZN7rocprim6detail20lookback_scan_kernelILNS0_25lookback_scan_determinismE0ELb1ENS0_19wrapped_scan_configINS_14default_configEdEEN6hipcub22TransformInputIteratorIiNS6_6CastOpIiEEPilEEPdNS6_3SumENS_12future_valueIdSC_EEdNS0_19lookback_scan_stateIdLb0ELb1EEEEEvT2_T3_mT5_T4_T7_jPT6_SO_bb
		.amdhsa_group_segment_fixed_size 10240
		.amdhsa_private_segment_fixed_size 0
		.amdhsa_kernarg_size 84
		.amdhsa_user_sgpr_count 6
		.amdhsa_user_sgpr_private_segment_buffer 1
		.amdhsa_user_sgpr_dispatch_ptr 0
		.amdhsa_user_sgpr_queue_ptr 0
		.amdhsa_user_sgpr_kernarg_segment_ptr 1
		.amdhsa_user_sgpr_dispatch_id 0
		.amdhsa_user_sgpr_flat_scratch_init 0
		.amdhsa_user_sgpr_kernarg_preload_length 0
		.amdhsa_user_sgpr_kernarg_preload_offset 0
		.amdhsa_user_sgpr_private_segment_size 0
		.amdhsa_uses_dynamic_stack 0
		.amdhsa_system_sgpr_private_segment_wavefront_offset 0
		.amdhsa_system_sgpr_workgroup_id_x 1
		.amdhsa_system_sgpr_workgroup_id_y 0
		.amdhsa_system_sgpr_workgroup_id_z 0
		.amdhsa_system_sgpr_workgroup_info 0
		.amdhsa_system_vgpr_workitem_id 0
		.amdhsa_next_free_vgpr 59
		.amdhsa_next_free_sgpr 28
		.amdhsa_accum_offset 60
		.amdhsa_reserve_vcc 1
		.amdhsa_reserve_flat_scratch 0
		.amdhsa_float_round_mode_32 0
		.amdhsa_float_round_mode_16_64 0
		.amdhsa_float_denorm_mode_32 3
		.amdhsa_float_denorm_mode_16_64 3
		.amdhsa_dx10_clamp 1
		.amdhsa_ieee_mode 1
		.amdhsa_fp16_overflow 0
		.amdhsa_tg_split 0
		.amdhsa_exception_fp_ieee_invalid_op 0
		.amdhsa_exception_fp_denorm_src 0
		.amdhsa_exception_fp_ieee_div_zero 0
		.amdhsa_exception_fp_ieee_overflow 0
		.amdhsa_exception_fp_ieee_underflow 0
		.amdhsa_exception_fp_ieee_inexact 0
		.amdhsa_exception_int_div_zero 0
	.end_amdhsa_kernel
	.section	.text._ZN7rocprim6detail20lookback_scan_kernelILNS0_25lookback_scan_determinismE0ELb1ENS0_19wrapped_scan_configINS_14default_configEdEEN6hipcub22TransformInputIteratorIiNS6_6CastOpIiEEPilEEPdNS6_3SumENS_12future_valueIdSC_EEdNS0_19lookback_scan_stateIdLb0ELb1EEEEEvT2_T3_mT5_T4_T7_jPT6_SO_bb,"axG",@progbits,_ZN7rocprim6detail20lookback_scan_kernelILNS0_25lookback_scan_determinismE0ELb1ENS0_19wrapped_scan_configINS_14default_configEdEEN6hipcub22TransformInputIteratorIiNS6_6CastOpIiEEPilEEPdNS6_3SumENS_12future_valueIdSC_EEdNS0_19lookback_scan_stateIdLb0ELb1EEEEEvT2_T3_mT5_T4_T7_jPT6_SO_bb,comdat
.Lfunc_end143:
	.size	_ZN7rocprim6detail20lookback_scan_kernelILNS0_25lookback_scan_determinismE0ELb1ENS0_19wrapped_scan_configINS_14default_configEdEEN6hipcub22TransformInputIteratorIiNS6_6CastOpIiEEPilEEPdNS6_3SumENS_12future_valueIdSC_EEdNS0_19lookback_scan_stateIdLb0ELb1EEEEEvT2_T3_mT5_T4_T7_jPT6_SO_bb, .Lfunc_end143-_ZN7rocprim6detail20lookback_scan_kernelILNS0_25lookback_scan_determinismE0ELb1ENS0_19wrapped_scan_configINS_14default_configEdEEN6hipcub22TransformInputIteratorIiNS6_6CastOpIiEEPilEEPdNS6_3SumENS_12future_valueIdSC_EEdNS0_19lookback_scan_stateIdLb0ELb1EEEEEvT2_T3_mT5_T4_T7_jPT6_SO_bb
                                        ; -- End function
	.section	.AMDGPU.csdata,"",@progbits
; Kernel info:
; codeLenInByte = 5652
; NumSgprs: 32
; NumVgprs: 59
; NumAgprs: 0
; TotalNumVgprs: 59
; ScratchSize: 0
; MemoryBound: 0
; FloatMode: 240
; IeeeMode: 1
; LDSByteSize: 10240 bytes/workgroup (compile time only)
; SGPRBlocks: 3
; VGPRBlocks: 7
; NumSGPRsForWavesPerEU: 32
; NumVGPRsForWavesPerEU: 59
; AccumOffset: 60
; Occupancy: 3
; WaveLimiterHint : 1
; COMPUTE_PGM_RSRC2:SCRATCH_EN: 0
; COMPUTE_PGM_RSRC2:USER_SGPR: 6
; COMPUTE_PGM_RSRC2:TRAP_HANDLER: 0
; COMPUTE_PGM_RSRC2:TGID_X_EN: 1
; COMPUTE_PGM_RSRC2:TGID_Y_EN: 0
; COMPUTE_PGM_RSRC2:TGID_Z_EN: 0
; COMPUTE_PGM_RSRC2:TIDIG_COMP_CNT: 0
; COMPUTE_PGM_RSRC3_GFX90A:ACCUM_OFFSET: 14
; COMPUTE_PGM_RSRC3_GFX90A:TG_SPLIT: 0
	.section	.text._ZN7rocprim6detail16transform_kernelINS0_24wrapped_transform_configINS_14default_configEdEEdPdS5_NS_8identityIdEEEEvT1_mT2_T3_,"axG",@progbits,_ZN7rocprim6detail16transform_kernelINS0_24wrapped_transform_configINS_14default_configEdEEdPdS5_NS_8identityIdEEEEvT1_mT2_T3_,comdat
	.protected	_ZN7rocprim6detail16transform_kernelINS0_24wrapped_transform_configINS_14default_configEdEEdPdS5_NS_8identityIdEEEEvT1_mT2_T3_ ; -- Begin function _ZN7rocprim6detail16transform_kernelINS0_24wrapped_transform_configINS_14default_configEdEEdPdS5_NS_8identityIdEEEEvT1_mT2_T3_
	.globl	_ZN7rocprim6detail16transform_kernelINS0_24wrapped_transform_configINS_14default_configEdEEdPdS5_NS_8identityIdEEEEvT1_mT2_T3_
	.p2align	8
	.type	_ZN7rocprim6detail16transform_kernelINS0_24wrapped_transform_configINS_14default_configEdEEdPdS5_NS_8identityIdEEEEvT1_mT2_T3_,@function
_ZN7rocprim6detail16transform_kernelINS0_24wrapped_transform_configINS_14default_configEdEEdPdS5_NS_8identityIdEEEEvT1_mT2_T3_: ; @_ZN7rocprim6detail16transform_kernelINS0_24wrapped_transform_configINS_14default_configEdEEdPdS5_NS_8identityIdEEEEvT1_mT2_T3_
; %bb.0:
	s_load_dword s7, s[4:5], 0x20
	s_load_dwordx4 s[0:3], s[4:5], 0x0
	s_load_dwordx2 s[8:9], s[4:5], 0x10
	s_lshl_b32 s10, s6, 9
	s_mov_b32 s11, 0
	s_waitcnt lgkmcnt(0)
	s_add_i32 s7, s7, -1
	s_lshl_b64 s[4:5], s[10:11], 3
	s_add_u32 s0, s0, s4
	s_addc_u32 s1, s1, s5
	v_lshlrev_b32_e32 v1, 3, v0
	v_mov_b32_e32 v2, s1
	v_add_co_u32_e32 v6, vcc, s0, v1
	s_cmp_lg_u32 s6, s7
	v_addc_co_u32_e32 v7, vcc, 0, v2, vcc
	s_cbranch_scc0 .LBB144_2
; %bb.1:
	global_load_dwordx2 v[2:3], v[6:7], off
	global_load_dwordx2 v[4:5], v[6:7], off offset:2048
	s_add_u32 s6, s8, s4
	s_addc_u32 s7, s9, s5
	s_waitcnt vmcnt(1)
	global_store_dwordx2 v1, v[2:3], s[6:7]
	s_mov_b64 s[6:7], -1
	s_cbranch_execz .LBB144_3
	s_branch .LBB144_10
.LBB144_2:
	s_mov_b64 s[6:7], 0
                                        ; implicit-def: $vgpr4_vgpr5
.LBB144_3:
	s_sub_i32 s2, s2, s10
	v_cmp_gt_u32_e32 vcc, s2, v0
                                        ; implicit-def: $vgpr2_vgpr3_vgpr4_vgpr5
	s_and_saveexec_b64 s[0:1], vcc
	s_cbranch_execz .LBB144_5
; %bb.4:
	global_load_dwordx2 v[2:3], v[6:7], off
.LBB144_5:
	s_or_b64 exec, exec, s[0:1]
	v_or_b32_e32 v0, 0x100, v0
	v_cmp_gt_u32_e64 s[0:1], s2, v0
	s_and_saveexec_b64 s[2:3], s[0:1]
	s_cbranch_execnz .LBB144_13
; %bb.6:
	s_or_b64 exec, exec, s[2:3]
	s_and_saveexec_b64 s[2:3], vcc
	s_cbranch_execnz .LBB144_14
.LBB144_7:
	s_or_b64 exec, exec, s[2:3]
	s_and_saveexec_b64 s[2:3], s[0:1]
.LBB144_8:
	s_or_b64 s[6:7], s[6:7], exec
.LBB144_9:
	s_or_b64 exec, exec, s[2:3]
.LBB144_10:
	s_and_saveexec_b64 s[0:1], s[6:7]
	s_cbranch_execnz .LBB144_12
; %bb.11:
	s_endpgm
.LBB144_12:
	s_add_u32 s0, s8, s4
	s_addc_u32 s1, s9, s5
	s_waitcnt vmcnt(0)
	global_store_dwordx2 v1, v[4:5], s[0:1] offset:2048
	s_endpgm
.LBB144_13:
	global_load_dwordx2 v[4:5], v[6:7], off offset:2048
	s_or_b64 exec, exec, s[2:3]
	s_and_saveexec_b64 s[2:3], vcc
	s_cbranch_execz .LBB144_7
.LBB144_14:
	s_add_u32 s10, s8, s4
	s_addc_u32 s11, s9, s5
	s_waitcnt vmcnt(0)
	global_store_dwordx2 v1, v[2:3], s[10:11]
	s_or_b64 exec, exec, s[2:3]
	s_and_saveexec_b64 s[2:3], s[0:1]
	s_cbranch_execnz .LBB144_8
	s_branch .LBB144_9
	.section	.rodata,"a",@progbits
	.p2align	6, 0x0
	.amdhsa_kernel _ZN7rocprim6detail16transform_kernelINS0_24wrapped_transform_configINS_14default_configEdEEdPdS5_NS_8identityIdEEEEvT1_mT2_T3_
		.amdhsa_group_segment_fixed_size 0
		.amdhsa_private_segment_fixed_size 0
		.amdhsa_kernarg_size 288
		.amdhsa_user_sgpr_count 6
		.amdhsa_user_sgpr_private_segment_buffer 1
		.amdhsa_user_sgpr_dispatch_ptr 0
		.amdhsa_user_sgpr_queue_ptr 0
		.amdhsa_user_sgpr_kernarg_segment_ptr 1
		.amdhsa_user_sgpr_dispatch_id 0
		.amdhsa_user_sgpr_flat_scratch_init 0
		.amdhsa_user_sgpr_kernarg_preload_length 0
		.amdhsa_user_sgpr_kernarg_preload_offset 0
		.amdhsa_user_sgpr_private_segment_size 0
		.amdhsa_uses_dynamic_stack 0
		.amdhsa_system_sgpr_private_segment_wavefront_offset 0
		.amdhsa_system_sgpr_workgroup_id_x 1
		.amdhsa_system_sgpr_workgroup_id_y 0
		.amdhsa_system_sgpr_workgroup_id_z 0
		.amdhsa_system_sgpr_workgroup_info 0
		.amdhsa_system_vgpr_workitem_id 0
		.amdhsa_next_free_vgpr 8
		.amdhsa_next_free_sgpr 12
		.amdhsa_accum_offset 8
		.amdhsa_reserve_vcc 1
		.amdhsa_reserve_flat_scratch 0
		.amdhsa_float_round_mode_32 0
		.amdhsa_float_round_mode_16_64 0
		.amdhsa_float_denorm_mode_32 3
		.amdhsa_float_denorm_mode_16_64 3
		.amdhsa_dx10_clamp 1
		.amdhsa_ieee_mode 1
		.amdhsa_fp16_overflow 0
		.amdhsa_tg_split 0
		.amdhsa_exception_fp_ieee_invalid_op 0
		.amdhsa_exception_fp_denorm_src 0
		.amdhsa_exception_fp_ieee_div_zero 0
		.amdhsa_exception_fp_ieee_overflow 0
		.amdhsa_exception_fp_ieee_underflow 0
		.amdhsa_exception_fp_ieee_inexact 0
		.amdhsa_exception_int_div_zero 0
	.end_amdhsa_kernel
	.section	.text._ZN7rocprim6detail16transform_kernelINS0_24wrapped_transform_configINS_14default_configEdEEdPdS5_NS_8identityIdEEEEvT1_mT2_T3_,"axG",@progbits,_ZN7rocprim6detail16transform_kernelINS0_24wrapped_transform_configINS_14default_configEdEEdPdS5_NS_8identityIdEEEEvT1_mT2_T3_,comdat
.Lfunc_end144:
	.size	_ZN7rocprim6detail16transform_kernelINS0_24wrapped_transform_configINS_14default_configEdEEdPdS5_NS_8identityIdEEEEvT1_mT2_T3_, .Lfunc_end144-_ZN7rocprim6detail16transform_kernelINS0_24wrapped_transform_configINS_14default_configEdEEdPdS5_NS_8identityIdEEEEvT1_mT2_T3_
                                        ; -- End function
	.section	.AMDGPU.csdata,"",@progbits
; Kernel info:
; codeLenInByte = 300
; NumSgprs: 16
; NumVgprs: 8
; NumAgprs: 0
; TotalNumVgprs: 8
; ScratchSize: 0
; MemoryBound: 1
; FloatMode: 240
; IeeeMode: 1
; LDSByteSize: 0 bytes/workgroup (compile time only)
; SGPRBlocks: 1
; VGPRBlocks: 0
; NumSGPRsForWavesPerEU: 16
; NumVGPRsForWavesPerEU: 8
; AccumOffset: 8
; Occupancy: 8
; WaveLimiterHint : 1
; COMPUTE_PGM_RSRC2:SCRATCH_EN: 0
; COMPUTE_PGM_RSRC2:USER_SGPR: 6
; COMPUTE_PGM_RSRC2:TRAP_HANDLER: 0
; COMPUTE_PGM_RSRC2:TGID_X_EN: 1
; COMPUTE_PGM_RSRC2:TGID_Y_EN: 0
; COMPUTE_PGM_RSRC2:TGID_Z_EN: 0
; COMPUTE_PGM_RSRC2:TIDIG_COMP_CNT: 0
; COMPUTE_PGM_RSRC3_GFX90A:ACCUM_OFFSET: 1
; COMPUTE_PGM_RSRC3_GFX90A:TG_SPLIT: 0
	.section	.text._ZN7rocprim6detail18single_scan_kernelILb1ENS0_19wrapped_scan_configINS_14default_configEdEEN6hipcub22TransformInputIteratorIiNS5_6CastOpIiEEPilEEPdNS5_3SumENS_12future_valueIdSB_EEdEEvT1_mT4_T2_T3_,"axG",@progbits,_ZN7rocprim6detail18single_scan_kernelILb1ENS0_19wrapped_scan_configINS_14default_configEdEEN6hipcub22TransformInputIteratorIiNS5_6CastOpIiEEPilEEPdNS5_3SumENS_12future_valueIdSB_EEdEEvT1_mT4_T2_T3_,comdat
	.protected	_ZN7rocprim6detail18single_scan_kernelILb1ENS0_19wrapped_scan_configINS_14default_configEdEEN6hipcub22TransformInputIteratorIiNS5_6CastOpIiEEPilEEPdNS5_3SumENS_12future_valueIdSB_EEdEEvT1_mT4_T2_T3_ ; -- Begin function _ZN7rocprim6detail18single_scan_kernelILb1ENS0_19wrapped_scan_configINS_14default_configEdEEN6hipcub22TransformInputIteratorIiNS5_6CastOpIiEEPilEEPdNS5_3SumENS_12future_valueIdSB_EEdEEvT1_mT4_T2_T3_
	.globl	_ZN7rocprim6detail18single_scan_kernelILb1ENS0_19wrapped_scan_configINS_14default_configEdEEN6hipcub22TransformInputIteratorIiNS5_6CastOpIiEEPilEEPdNS5_3SumENS_12future_valueIdSB_EEdEEvT1_mT4_T2_T3_
	.p2align	8
	.type	_ZN7rocprim6detail18single_scan_kernelILb1ENS0_19wrapped_scan_configINS_14default_configEdEEN6hipcub22TransformInputIteratorIiNS5_6CastOpIiEEPilEEPdNS5_3SumENS_12future_valueIdSB_EEdEEvT1_mT4_T2_T3_,@function
_ZN7rocprim6detail18single_scan_kernelILb1ENS0_19wrapped_scan_configINS_14default_configEdEEN6hipcub22TransformInputIteratorIiNS5_6CastOpIiEEPilEEPdNS5_3SumENS_12future_valueIdSB_EEdEEvT1_mT4_T2_T3_: ; @_ZN7rocprim6detail18single_scan_kernelILb1ENS0_19wrapped_scan_configINS_14default_configEdEEN6hipcub22TransformInputIteratorIiNS5_6CastOpIiEEPilEEPdNS5_3SumENS_12future_valueIdSB_EEdEEvT1_mT4_T2_T3_
; %bb.0:
	s_load_dwordx2 s[0:1], s[4:5], 0x0
	s_load_dwordx4 s[20:23], s[4:5], 0x10
	v_lshlrev_b32_e32 v1, 2, v0
	s_waitcnt lgkmcnt(0)
	s_load_dword s2, s[0:1], 0x0
	v_mov_b32_e32 v20, s1
	v_add_co_u32_e32 v36, vcc, s0, v1
	v_addc_co_u32_e32 v37, vcc, 0, v20, vcc
	s_waitcnt lgkmcnt(0)
	v_cvt_f64_i32_e32 v[2:3], s2
	v_mov_b32_e32 v4, v2
	v_mov_b32_e32 v5, v3
	;; [unrolled: 1-line block ×16, first 2 shown]
	v_pk_mov_b32 v[34:35], v[30:31], v[30:31] op_sel:[0,1]
	v_cmp_gt_u32_e64 s[0:1], s20, v0
	v_pk_mov_b32 v[32:33], v[28:29], v[28:29] op_sel:[0,1]
	v_pk_mov_b32 v[30:31], v[26:27], v[26:27] op_sel:[0,1]
	;; [unrolled: 1-line block ×15, first 2 shown]
	s_and_saveexec_b64 s[2:3], s[0:1]
	s_cbranch_execz .LBB145_2
; %bb.1:
	global_load_dword v1, v[36:37], off
	v_mov_b32_e32 v4, v2
	v_mov_b32_e32 v5, v3
	;; [unrolled: 1-line block ×16, first 2 shown]
	s_waitcnt vmcnt(0)
	v_pk_mov_b32 v[34:35], v[30:31], v[30:31] op_sel:[0,1]
	v_pk_mov_b32 v[32:33], v[28:29], v[28:29] op_sel:[0,1]
	;; [unrolled: 1-line block ×15, first 2 shown]
	v_cvt_f64_i32_e32 v[38:39], v1
	v_pk_mov_b32 v[4:5], v[0:1], v[0:1] op_sel:[0,1]
	v_pk_mov_b32 v[2:3], v[38:39], v[38:39] op_sel:[0,1]
.LBB145_2:
	s_or_b64 exec, exec, s[2:3]
	v_or_b32_e32 v1, 0x80, v0
	v_cmp_gt_u32_e64 s[2:3], s20, v1
	s_and_saveexec_b64 s[6:7], s[2:3]
	s_cbranch_execz .LBB145_4
; %bb.3:
	global_load_dword v1, v[36:37], off offset:512
	s_waitcnt vmcnt(0)
	v_cvt_f64_i32_e32 v[6:7], v1
.LBB145_4:
	s_or_b64 exec, exec, s[6:7]
	v_or_b32_e32 v1, 0x100, v0
	v_cmp_gt_u32_e64 s[8:9], s20, v1
	s_and_saveexec_b64 s[6:7], s[8:9]
	s_cbranch_execz .LBB145_6
; %bb.5:
	global_load_dword v1, v[36:37], off offset:1024
	s_waitcnt vmcnt(0)
	v_cvt_f64_i32_e32 v[8:9], v1
.LBB145_6:
	;; [unrolled: 10-line block ×7, first 2 shown]
	s_or_b64 exec, exec, s[18:19]
	v_or_b32_e32 v1, 0x400, v0
	v_cmp_gt_u32_e64 s[18:19], s20, v1
	s_and_saveexec_b64 s[24:25], s[18:19]
	s_cbranch_execz .LBB145_18
; %bb.17:
	v_add_co_u32_e32 v4, vcc, 0x1000, v36
	v_addc_co_u32_e32 v5, vcc, 0, v37, vcc
	global_load_dword v1, v[4:5], off
	s_waitcnt vmcnt(0)
	v_cvt_f64_i32_e32 v[20:21], v1
.LBB145_18:
	s_or_b64 exec, exec, s[24:25]
	v_or_b32_e32 v1, 0x480, v0
	v_cmp_gt_u32_e64 s[20:21], s20, v1
	s_and_saveexec_b64 s[24:25], s[20:21]
	s_cbranch_execz .LBB145_20
; %bb.19:
	v_add_co_u32_e32 v4, vcc, 0x1000, v36
	v_addc_co_u32_e32 v5, vcc, 0, v37, vcc
	global_load_dword v1, v[4:5], off offset:512
	s_waitcnt vmcnt(0)
	v_cvt_f64_i32_e32 v[22:23], v1
.LBB145_20:
	s_or_b64 exec, exec, s[24:25]
	s_load_dwordx2 s[26:27], s[22:23], 0x0
	v_lshlrev_b32_e32 v28, 3, v0
	s_movk_i32 s22, 0x48
	v_mad_u32_u24 v1, v0, s22, v28
	ds_write2st64_b64 v28, v[2:3], v[6:7] offset1:2
	ds_write2st64_b64 v28, v[8:9], v[10:11] offset0:4 offset1:6
	ds_write2st64_b64 v28, v[12:13], v[14:15] offset0:8 offset1:10
	;; [unrolled: 1-line block ×4, first 2 shown]
	s_waitcnt lgkmcnt(0)
	s_barrier
	ds_read_b128 v[14:17], v1
	ds_read_b128 v[10:13], v1 offset:16
	ds_read_b128 v[6:9], v1 offset:32
	ds_read_b128 v[2:5], v1 offset:48
	ds_read_b128 v[18:21], v1 offset:64
	s_waitcnt lgkmcnt(4)
	v_add_f64 v[22:23], v[14:15], v[16:17]
	s_waitcnt lgkmcnt(3)
	v_add_f64 v[22:23], v[22:23], v[10:11]
	v_add_f64 v[22:23], v[22:23], v[12:13]
	s_waitcnt lgkmcnt(2)
	v_add_f64 v[22:23], v[22:23], v[6:7]
	;; [unrolled: 3-line block ×4, first 2 shown]
	v_add_f64 v[20:21], v[22:23], v[20:21]
	v_mbcnt_lo_u32_b32 v22, -1, 0
	v_mbcnt_hi_u32_b32 v29, -1, v22
	v_and_b32_e32 v26, 15, v29
	v_mov_b32_dpp v22, v20 row_shr:1 row_mask:0xf bank_mask:0xf
	v_mov_b32_dpp v23, v21 row_shr:1 row_mask:0xf bank_mask:0xf
	v_add_f64 v[22:23], v[20:21], v[22:23]
	v_cmp_eq_u32_e32 vcc, 0, v26
	v_cndmask_b32_e32 v22, v22, v20, vcc
	v_cndmask_b32_e32 v23, v23, v21, vcc
	v_cmp_lt_u32_e32 vcc, 1, v26
	v_mov_b32_dpp v24, v22 row_shr:2 row_mask:0xf bank_mask:0xf
	v_mov_b32_dpp v25, v23 row_shr:2 row_mask:0xf bank_mask:0xf
	v_add_f64 v[24:25], v[22:23], v[24:25]
	v_cndmask_b32_e32 v22, v22, v24, vcc
	v_cndmask_b32_e32 v23, v23, v25, vcc
	v_cmp_lt_u32_e32 vcc, 3, v26
	v_mov_b32_dpp v24, v22 row_shr:4 row_mask:0xf bank_mask:0xf
	v_mov_b32_dpp v25, v23 row_shr:4 row_mask:0xf bank_mask:0xf
	v_add_f64 v[24:25], v[22:23], v[24:25]
	v_cndmask_b32_e32 v22, v22, v24, vcc
	v_cndmask_b32_e32 v23, v23, v25, vcc
	v_cmp_lt_u32_e32 vcc, 7, v26
	v_mov_b32_dpp v24, v22 row_shr:8 row_mask:0xf bank_mask:0xf
	v_mov_b32_dpp v25, v23 row_shr:8 row_mask:0xf bank_mask:0xf
	v_add_f64 v[24:25], v[22:23], v[24:25]
	v_cndmask_b32_e32 v22, v22, v24, vcc
	v_cndmask_b32_e32 v23, v23, v25, vcc
	v_and_b32_e32 v30, 16, v29
	v_mov_b32_dpp v24, v22 row_bcast:15 row_mask:0xf bank_mask:0xf
	v_mov_b32_dpp v25, v23 row_bcast:15 row_mask:0xf bank_mask:0xf
	v_add_f64 v[26:27], v[22:23], v[24:25]
	v_cmp_eq_u32_e64 s[22:23], 0, v30
	v_cndmask_b32_e64 v25, v27, v23, s[22:23]
	v_cndmask_b32_e64 v24, v26, v22, s[22:23]
	v_cmp_eq_u32_e32 vcc, 0, v29
	v_mov_b32_dpp v25, v25 row_bcast:31 row_mask:0xf bank_mask:0xf
	v_mov_b32_dpp v24, v24 row_bcast:31 row_mask:0xf bank_mask:0xf
	v_cmp_ne_u32_e64 s[24:25], 0, v29
	s_barrier
	s_and_saveexec_b64 s[28:29], s[24:25]
; %bb.21:
	v_cndmask_b32_e64 v21, v27, v23, s[22:23]
	v_cndmask_b32_e64 v20, v26, v22, s[22:23]
	v_add_f64 v[22:23], v[20:21], v[24:25]
	v_cmp_lt_u32_e64 s[22:23], 31, v29
	v_cndmask_b32_e64 v21, v21, v23, s[22:23]
	v_cndmask_b32_e64 v20, v20, v22, s[22:23]
; %bb.22:
	s_or_b64 exec, exec, s[28:29]
	s_load_dwordx2 s[22:23], s[4:5], 0x20
	v_or_b32_e32 v22, 63, v0
	v_lshrrev_b32_e32 v24, 6, v0
	v_cmp_eq_u32_e64 s[4:5], v22, v0
	s_and_saveexec_b64 s[24:25], s[4:5]
	s_cbranch_execz .LBB145_24
; %bb.23:
	v_lshlrev_b32_e32 v22, 3, v24
	ds_write_b64 v22, v[20:21]
.LBB145_24:
	s_or_b64 exec, exec, s[24:25]
	v_cmp_gt_u32_e64 s[4:5], 2, v0
	s_waitcnt lgkmcnt(0)
	s_barrier
	s_and_saveexec_b64 s[24:25], s[4:5]
	s_cbranch_execz .LBB145_26
; %bb.25:
	ds_read_b64 v[22:23], v28
	v_and_b32_e32 v25, 1, v29
	v_cmp_eq_u32_e64 s[4:5], 0, v25
	s_waitcnt lgkmcnt(0)
	v_mov_b32_dpp v26, v22 row_shr:1 row_mask:0xf bank_mask:0xf
	v_mov_b32_dpp v27, v23 row_shr:1 row_mask:0xf bank_mask:0xf
	v_add_f64 v[26:27], v[22:23], v[26:27]
	v_cndmask_b32_e64 v23, v27, v23, s[4:5]
	v_cndmask_b32_e64 v22, v26, v22, s[4:5]
	ds_write_b64 v28, v[22:23]
.LBB145_26:
	s_or_b64 exec, exec, s[24:25]
	v_cmp_lt_u32_e64 s[4:5], 63, v0
	v_pk_mov_b32 v[22:23], s[26:27], s[26:27] op_sel:[0,1]
	s_waitcnt lgkmcnt(0)
	s_barrier
	s_and_saveexec_b64 s[24:25], s[4:5]
	s_cbranch_execz .LBB145_28
; %bb.27:
	v_lshl_add_u32 v22, v24, 3, -8
	ds_read_b64 v[22:23], v22
	s_waitcnt lgkmcnt(0)
	v_add_f64 v[22:23], s[26:27], v[22:23]
.LBB145_28:
	s_or_b64 exec, exec, s[24:25]
	v_add_u32_e32 v24, -1, v29
	v_and_b32_e32 v25, 64, v29
	v_cmp_lt_i32_e64 s[4:5], v24, v25
	v_cndmask_b32_e64 v24, v24, v29, s[4:5]
	v_add_f64 v[20:21], v[20:21], v[22:23]
	v_lshlrev_b32_e32 v24, 2, v24
	ds_bpermute_b32 v20, v24, v20
	ds_bpermute_b32 v21, v24, v21
	s_movk_i32 s4, 0xffb8
	s_waitcnt lgkmcnt(0)
	s_barrier
	v_cndmask_b32_e32 v20, v20, v22, vcc
	v_cndmask_b32_e32 v21, v21, v23, vcc
	v_mov_b32_e32 v22, s27
	v_cmp_eq_u32_e32 vcc, 0, v0
	v_cndmask_b32_e32 v21, v21, v22, vcc
	v_mov_b32_e32 v22, s26
	v_cndmask_b32_e32 v20, v20, v22, vcc
	v_add_f64 v[22:23], v[14:15], v[20:21]
	v_add_f64 v[14:15], v[16:17], v[22:23]
	;; [unrolled: 1-line block ×9, first 2 shown]
	v_mad_i32_i24 v0, v0, s4, v1
	ds_write_b128 v1, v[20:23]
	ds_write_b128 v1, v[14:17] offset:16
	ds_write_b128 v1, v[10:13] offset:32
	;; [unrolled: 1-line block ×4, first 2 shown]
	s_waitcnt lgkmcnt(0)
	s_barrier
	ds_read2st64_b64 v[12:15], v0 offset0:2 offset1:4
	ds_read2st64_b64 v[8:11], v0 offset0:6 offset1:8
	;; [unrolled: 1-line block ×4, first 2 shown]
	ds_read_b64 v[18:19], v28 offset:8192
	v_mov_b32_e32 v17, s23
	v_add_co_u32_e32 v16, vcc, s22, v28
	v_addc_co_u32_e32 v17, vcc, 0, v17, vcc
	s_and_saveexec_b64 s[4:5], s[0:1]
	s_cbranch_execnz .LBB145_39
; %bb.29:
	s_or_b64 exec, exec, s[4:5]
	s_and_saveexec_b64 s[0:1], s[2:3]
	s_cbranch_execnz .LBB145_40
.LBB145_30:
	s_or_b64 exec, exec, s[0:1]
	s_and_saveexec_b64 s[0:1], s[8:9]
	s_cbranch_execnz .LBB145_41
.LBB145_31:
	s_or_b64 exec, exec, s[0:1]
	s_and_saveexec_b64 s[0:1], s[6:7]
	s_cbranch_execnz .LBB145_42
.LBB145_32:
	s_or_b64 exec, exec, s[0:1]
	s_and_saveexec_b64 s[0:1], s[10:11]
	s_cbranch_execnz .LBB145_43
.LBB145_33:
	s_or_b64 exec, exec, s[0:1]
	s_and_saveexec_b64 s[0:1], s[12:13]
	s_cbranch_execnz .LBB145_44
.LBB145_34:
	s_or_b64 exec, exec, s[0:1]
	s_and_saveexec_b64 s[0:1], s[14:15]
	s_cbranch_execnz .LBB145_45
.LBB145_35:
	s_or_b64 exec, exec, s[0:1]
	s_and_saveexec_b64 s[0:1], s[16:17]
	s_cbranch_execnz .LBB145_46
.LBB145_36:
	s_or_b64 exec, exec, s[0:1]
	s_and_saveexec_b64 s[0:1], s[18:19]
	s_cbranch_execnz .LBB145_47
.LBB145_37:
	s_or_b64 exec, exec, s[0:1]
	s_and_saveexec_b64 s[0:1], s[20:21]
	s_cbranch_execnz .LBB145_48
.LBB145_38:
	s_endpgm
.LBB145_39:
	ds_read_b64 v[20:21], v28
	s_waitcnt lgkmcnt(0)
	global_store_dwordx2 v[16:17], v[20:21], off
	s_or_b64 exec, exec, s[4:5]
	s_and_saveexec_b64 s[0:1], s[2:3]
	s_cbranch_execz .LBB145_30
.LBB145_40:
	s_waitcnt lgkmcnt(4)
	global_store_dwordx2 v[16:17], v[12:13], off offset:1024
	s_or_b64 exec, exec, s[0:1]
	s_and_saveexec_b64 s[0:1], s[8:9]
	s_cbranch_execz .LBB145_31
.LBB145_41:
	s_waitcnt lgkmcnt(4)
	global_store_dwordx2 v[16:17], v[14:15], off offset:2048
	s_or_b64 exec, exec, s[0:1]
	s_and_saveexec_b64 s[0:1], s[6:7]
	s_cbranch_execz .LBB145_32
.LBB145_42:
	s_waitcnt lgkmcnt(3)
	global_store_dwordx2 v[16:17], v[8:9], off offset:3072
	s_or_b64 exec, exec, s[0:1]
	s_and_saveexec_b64 s[0:1], s[10:11]
	s_cbranch_execz .LBB145_33
.LBB145_43:
	s_waitcnt lgkmcnt(3)
	v_add_co_u32_e32 v8, vcc, 0x1000, v16
	v_addc_co_u32_e32 v9, vcc, 0, v17, vcc
	global_store_dwordx2 v[8:9], v[10:11], off
	s_or_b64 exec, exec, s[0:1]
	s_and_saveexec_b64 s[0:1], s[12:13]
	s_cbranch_execz .LBB145_34
.LBB145_44:
	s_waitcnt lgkmcnt(3)
	v_add_co_u32_e32 v8, vcc, 0x1000, v16
	v_addc_co_u32_e32 v9, vcc, 0, v17, vcc
	s_waitcnt lgkmcnt(2)
	global_store_dwordx2 v[8:9], v[4:5], off offset:1024
	s_or_b64 exec, exec, s[0:1]
	s_and_saveexec_b64 s[0:1], s[14:15]
	s_cbranch_execz .LBB145_35
.LBB145_45:
	s_waitcnt lgkmcnt(2)
	v_add_co_u32_e32 v4, vcc, 0x1000, v16
	v_addc_co_u32_e32 v5, vcc, 0, v17, vcc
	global_store_dwordx2 v[4:5], v[6:7], off offset:2048
	s_or_b64 exec, exec, s[0:1]
	s_and_saveexec_b64 s[0:1], s[16:17]
	s_cbranch_execz .LBB145_36
.LBB145_46:
	s_waitcnt lgkmcnt(2)
	v_add_co_u32_e32 v4, vcc, 0x1000, v16
	v_addc_co_u32_e32 v5, vcc, 0, v17, vcc
	s_waitcnt lgkmcnt(1)
	global_store_dwordx2 v[4:5], v[0:1], off offset:3072
	s_or_b64 exec, exec, s[0:1]
	s_and_saveexec_b64 s[0:1], s[18:19]
	s_cbranch_execz .LBB145_37
.LBB145_47:
	s_waitcnt lgkmcnt(1)
	v_add_co_u32_e32 v0, vcc, 0x2000, v16
	v_addc_co_u32_e32 v1, vcc, 0, v17, vcc
	s_waitcnt lgkmcnt(0)
	global_store_dwordx2 v[0:1], v[18:19], off
	s_or_b64 exec, exec, s[0:1]
	s_and_saveexec_b64 s[0:1], s[20:21]
	s_cbranch_execz .LBB145_38
.LBB145_48:
	s_waitcnt lgkmcnt(1)
	v_add_co_u32_e32 v0, vcc, 0x2000, v16
	v_addc_co_u32_e32 v1, vcc, 0, v17, vcc
	global_store_dwordx2 v[0:1], v[2:3], off offset:1024
	s_endpgm
	.section	.rodata,"a",@progbits
	.p2align	6, 0x0
	.amdhsa_kernel _ZN7rocprim6detail18single_scan_kernelILb1ENS0_19wrapped_scan_configINS_14default_configEdEEN6hipcub22TransformInputIteratorIiNS5_6CastOpIiEEPilEEPdNS5_3SumENS_12future_valueIdSB_EEdEEvT1_mT4_T2_T3_
		.amdhsa_group_segment_fixed_size 10240
		.amdhsa_private_segment_fixed_size 0
		.amdhsa_kernarg_size 44
		.amdhsa_user_sgpr_count 6
		.amdhsa_user_sgpr_private_segment_buffer 1
		.amdhsa_user_sgpr_dispatch_ptr 0
		.amdhsa_user_sgpr_queue_ptr 0
		.amdhsa_user_sgpr_kernarg_segment_ptr 1
		.amdhsa_user_sgpr_dispatch_id 0
		.amdhsa_user_sgpr_flat_scratch_init 0
		.amdhsa_user_sgpr_kernarg_preload_length 0
		.amdhsa_user_sgpr_kernarg_preload_offset 0
		.amdhsa_user_sgpr_private_segment_size 0
		.amdhsa_uses_dynamic_stack 0
		.amdhsa_system_sgpr_private_segment_wavefront_offset 0
		.amdhsa_system_sgpr_workgroup_id_x 1
		.amdhsa_system_sgpr_workgroup_id_y 0
		.amdhsa_system_sgpr_workgroup_id_z 0
		.amdhsa_system_sgpr_workgroup_info 0
		.amdhsa_system_vgpr_workitem_id 0
		.amdhsa_next_free_vgpr 40
		.amdhsa_next_free_sgpr 30
		.amdhsa_accum_offset 40
		.amdhsa_reserve_vcc 1
		.amdhsa_reserve_flat_scratch 0
		.amdhsa_float_round_mode_32 0
		.amdhsa_float_round_mode_16_64 0
		.amdhsa_float_denorm_mode_32 3
		.amdhsa_float_denorm_mode_16_64 3
		.amdhsa_dx10_clamp 1
		.amdhsa_ieee_mode 1
		.amdhsa_fp16_overflow 0
		.amdhsa_tg_split 0
		.amdhsa_exception_fp_ieee_invalid_op 0
		.amdhsa_exception_fp_denorm_src 0
		.amdhsa_exception_fp_ieee_div_zero 0
		.amdhsa_exception_fp_ieee_overflow 0
		.amdhsa_exception_fp_ieee_underflow 0
		.amdhsa_exception_fp_ieee_inexact 0
		.amdhsa_exception_int_div_zero 0
	.end_amdhsa_kernel
	.section	.text._ZN7rocprim6detail18single_scan_kernelILb1ENS0_19wrapped_scan_configINS_14default_configEdEEN6hipcub22TransformInputIteratorIiNS5_6CastOpIiEEPilEEPdNS5_3SumENS_12future_valueIdSB_EEdEEvT1_mT4_T2_T3_,"axG",@progbits,_ZN7rocprim6detail18single_scan_kernelILb1ENS0_19wrapped_scan_configINS_14default_configEdEEN6hipcub22TransformInputIteratorIiNS5_6CastOpIiEEPilEEPdNS5_3SumENS_12future_valueIdSB_EEdEEvT1_mT4_T2_T3_,comdat
.Lfunc_end145:
	.size	_ZN7rocprim6detail18single_scan_kernelILb1ENS0_19wrapped_scan_configINS_14default_configEdEEN6hipcub22TransformInputIteratorIiNS5_6CastOpIiEEPilEEPdNS5_3SumENS_12future_valueIdSB_EEdEEvT1_mT4_T2_T3_, .Lfunc_end145-_ZN7rocprim6detail18single_scan_kernelILb1ENS0_19wrapped_scan_configINS_14default_configEdEEN6hipcub22TransformInputIteratorIiNS5_6CastOpIiEEPilEEPdNS5_3SumENS_12future_valueIdSB_EEdEEvT1_mT4_T2_T3_
                                        ; -- End function
	.section	.AMDGPU.csdata,"",@progbits
; Kernel info:
; codeLenInByte = 2336
; NumSgprs: 34
; NumVgprs: 40
; NumAgprs: 0
; TotalNumVgprs: 40
; ScratchSize: 0
; MemoryBound: 0
; FloatMode: 240
; IeeeMode: 1
; LDSByteSize: 10240 bytes/workgroup (compile time only)
; SGPRBlocks: 4
; VGPRBlocks: 4
; NumSGPRsForWavesPerEU: 34
; NumVGPRsForWavesPerEU: 40
; AccumOffset: 40
; Occupancy: 3
; WaveLimiterHint : 0
; COMPUTE_PGM_RSRC2:SCRATCH_EN: 0
; COMPUTE_PGM_RSRC2:USER_SGPR: 6
; COMPUTE_PGM_RSRC2:TRAP_HANDLER: 0
; COMPUTE_PGM_RSRC2:TGID_X_EN: 1
; COMPUTE_PGM_RSRC2:TGID_Y_EN: 0
; COMPUTE_PGM_RSRC2:TGID_Z_EN: 0
; COMPUTE_PGM_RSRC2:TIDIG_COMP_CNT: 0
; COMPUTE_PGM_RSRC3_GFX90A:ACCUM_OFFSET: 9
; COMPUTE_PGM_RSRC3_GFX90A:TG_SPLIT: 0
	.section	.text._ZL18fill_initial_valueIdEvPT_S0_,"axG",@progbits,_ZL18fill_initial_valueIdEvPT_S0_,comdat
	.globl	_ZL18fill_initial_valueIdEvPT_S0_ ; -- Begin function _ZL18fill_initial_valueIdEvPT_S0_
	.p2align	8
	.type	_ZL18fill_initial_valueIdEvPT_S0_,@function
_ZL18fill_initial_valueIdEvPT_S0_:      ; @_ZL18fill_initial_valueIdEvPT_S0_
; %bb.0:
	s_load_dwordx4 s[0:3], s[4:5], 0x0
	v_mov_b32_e32 v2, 0
	s_waitcnt lgkmcnt(0)
	v_mov_b32_e32 v0, s2
	v_mov_b32_e32 v1, s3
	global_store_dwordx2 v2, v[0:1], s[0:1]
	s_endpgm
	.section	.rodata,"a",@progbits
	.p2align	6, 0x0
	.amdhsa_kernel _ZL18fill_initial_valueIdEvPT_S0_
		.amdhsa_group_segment_fixed_size 0
		.amdhsa_private_segment_fixed_size 0
		.amdhsa_kernarg_size 16
		.amdhsa_user_sgpr_count 6
		.amdhsa_user_sgpr_private_segment_buffer 1
		.amdhsa_user_sgpr_dispatch_ptr 0
		.amdhsa_user_sgpr_queue_ptr 0
		.amdhsa_user_sgpr_kernarg_segment_ptr 1
		.amdhsa_user_sgpr_dispatch_id 0
		.amdhsa_user_sgpr_flat_scratch_init 0
		.amdhsa_user_sgpr_kernarg_preload_length 0
		.amdhsa_user_sgpr_kernarg_preload_offset 0
		.amdhsa_user_sgpr_private_segment_size 0
		.amdhsa_uses_dynamic_stack 0
		.amdhsa_system_sgpr_private_segment_wavefront_offset 0
		.amdhsa_system_sgpr_workgroup_id_x 1
		.amdhsa_system_sgpr_workgroup_id_y 0
		.amdhsa_system_sgpr_workgroup_id_z 0
		.amdhsa_system_sgpr_workgroup_info 0
		.amdhsa_system_vgpr_workitem_id 0
		.amdhsa_next_free_vgpr 3
		.amdhsa_next_free_sgpr 6
		.amdhsa_accum_offset 4
		.amdhsa_reserve_vcc 0
		.amdhsa_reserve_flat_scratch 0
		.amdhsa_float_round_mode_32 0
		.amdhsa_float_round_mode_16_64 0
		.amdhsa_float_denorm_mode_32 3
		.amdhsa_float_denorm_mode_16_64 3
		.amdhsa_dx10_clamp 1
		.amdhsa_ieee_mode 1
		.amdhsa_fp16_overflow 0
		.amdhsa_tg_split 0
		.amdhsa_exception_fp_ieee_invalid_op 0
		.amdhsa_exception_fp_denorm_src 0
		.amdhsa_exception_fp_ieee_div_zero 0
		.amdhsa_exception_fp_ieee_overflow 0
		.amdhsa_exception_fp_ieee_underflow 0
		.amdhsa_exception_fp_ieee_inexact 0
		.amdhsa_exception_int_div_zero 0
	.end_amdhsa_kernel
	.section	.text._ZL18fill_initial_valueIdEvPT_S0_,"axG",@progbits,_ZL18fill_initial_valueIdEvPT_S0_,comdat
.Lfunc_end146:
	.size	_ZL18fill_initial_valueIdEvPT_S0_, .Lfunc_end146-_ZL18fill_initial_valueIdEvPT_S0_
                                        ; -- End function
	.section	.AMDGPU.csdata,"",@progbits
; Kernel info:
; codeLenInByte = 36
; NumSgprs: 10
; NumVgprs: 3
; NumAgprs: 0
; TotalNumVgprs: 3
; ScratchSize: 0
; MemoryBound: 0
; FloatMode: 240
; IeeeMode: 1
; LDSByteSize: 0 bytes/workgroup (compile time only)
; SGPRBlocks: 1
; VGPRBlocks: 0
; NumSGPRsForWavesPerEU: 10
; NumVGPRsForWavesPerEU: 3
; AccumOffset: 4
; Occupancy: 8
; WaveLimiterHint : 0
; COMPUTE_PGM_RSRC2:SCRATCH_EN: 0
; COMPUTE_PGM_RSRC2:USER_SGPR: 6
; COMPUTE_PGM_RSRC2:TRAP_HANDLER: 0
; COMPUTE_PGM_RSRC2:TGID_X_EN: 1
; COMPUTE_PGM_RSRC2:TGID_Y_EN: 0
; COMPUTE_PGM_RSRC2:TGID_Z_EN: 0
; COMPUTE_PGM_RSRC2:TIDIG_COMP_CNT: 0
; COMPUTE_PGM_RSRC3_GFX90A:ACCUM_OFFSET: 0
; COMPUTE_PGM_RSRC3_GFX90A:TG_SPLIT: 0
	.section	.text._ZN7rocprim6detail31init_lookback_scan_state_kernelINS0_19lookback_scan_stateIfLb1ELb1EEEEEvT_jjPNS4_10value_typeE,"axG",@progbits,_ZN7rocprim6detail31init_lookback_scan_state_kernelINS0_19lookback_scan_stateIfLb1ELb1EEEEEvT_jjPNS4_10value_typeE,comdat
	.protected	_ZN7rocprim6detail31init_lookback_scan_state_kernelINS0_19lookback_scan_stateIfLb1ELb1EEEEEvT_jjPNS4_10value_typeE ; -- Begin function _ZN7rocprim6detail31init_lookback_scan_state_kernelINS0_19lookback_scan_stateIfLb1ELb1EEEEEvT_jjPNS4_10value_typeE
	.globl	_ZN7rocprim6detail31init_lookback_scan_state_kernelINS0_19lookback_scan_stateIfLb1ELb1EEEEEvT_jjPNS4_10value_typeE
	.p2align	8
	.type	_ZN7rocprim6detail31init_lookback_scan_state_kernelINS0_19lookback_scan_stateIfLb1ELb1EEEEEvT_jjPNS4_10value_typeE,@function
_ZN7rocprim6detail31init_lookback_scan_state_kernelINS0_19lookback_scan_stateIfLb1ELb1EEEEEvT_jjPNS4_10value_typeE: ; @_ZN7rocprim6detail31init_lookback_scan_state_kernelINS0_19lookback_scan_stateIfLb1ELb1EEEEEvT_jjPNS4_10value_typeE
; %bb.0:
	s_load_dword s7, s[4:5], 0x24
	s_load_dwordx2 s[8:9], s[4:5], 0x10
	s_load_dwordx4 s[0:3], s[4:5], 0x0
	s_waitcnt lgkmcnt(0)
	s_and_b32 s4, s7, 0xffff
	s_mul_i32 s6, s6, s4
	s_cmp_eq_u64 s[8:9], 0
	v_add_u32_e32 v0, s6, v0
	s_cbranch_scc1 .LBB147_9
; %bb.1:
	s_cmp_lt_u32 s3, s2
	s_cselect_b32 s4, s3, 0
	s_mov_b32 s7, 0
	v_cmp_eq_u32_e32 vcc, s4, v0
	s_and_saveexec_b64 s[4:5], vcc
	s_cbranch_execz .LBB147_8
; %bb.2:
	s_add_i32 s6, s3, 64
	s_lshl_b64 s[6:7], s[6:7], 3
	s_add_u32 s6, s0, s6
	s_addc_u32 s7, s1, s7
	v_mov_b32_e32 v2, 0
	global_load_dwordx2 v[4:5], v2, s[6:7] glc
	s_waitcnt vmcnt(0)
	v_and_b32_e32 v3, 0xff, v5
	v_cmp_ne_u64_e32 vcc, 0, v[2:3]
	s_cbranch_vccnz .LBB147_7
; %bb.3:
	s_mov_b32 s3, 1
.LBB147_4:                              ; =>This Loop Header: Depth=1
                                        ;     Child Loop BB147_5 Depth 2
	s_max_u32 s10, s3, 1
.LBB147_5:                              ;   Parent Loop BB147_4 Depth=1
                                        ; =>  This Inner Loop Header: Depth=2
	s_add_i32 s10, s10, -1
	s_cmp_eq_u32 s10, 0
	s_sleep 1
	s_cbranch_scc0 .LBB147_5
; %bb.6:                                ;   in Loop: Header=BB147_4 Depth=1
	global_load_dwordx2 v[4:5], v2, s[6:7] glc
	s_cmp_lt_u32 s3, 32
	s_cselect_b64 s[10:11], -1, 0
	s_cmp_lg_u64 s[10:11], 0
	s_addc_u32 s3, s3, 0
	s_waitcnt vmcnt(0)
	v_and_b32_e32 v3, 0xff, v5
	v_cmp_ne_u64_e32 vcc, 0, v[2:3]
	s_cbranch_vccz .LBB147_4
.LBB147_7:
	v_mov_b32_e32 v1, 0
	global_store_dword v1, v4, s[8:9]
.LBB147_8:
	s_or_b64 exec, exec, s[4:5]
.LBB147_9:
	v_cmp_gt_u32_e32 vcc, s2, v0
	s_and_saveexec_b64 s[2:3], vcc
	s_cbranch_execnz .LBB147_12
; %bb.10:
	s_or_b64 exec, exec, s[2:3]
	v_cmp_gt_u32_e32 vcc, 64, v0
	s_and_saveexec_b64 s[2:3], vcc
	s_cbranch_execnz .LBB147_13
.LBB147_11:
	s_endpgm
.LBB147_12:
	v_add_u32_e32 v2, 64, v0
	v_mov_b32_e32 v3, 0
	v_lshlrev_b64 v[4:5], 3, v[2:3]
	v_mov_b32_e32 v1, s1
	v_add_co_u32_e32 v4, vcc, s0, v4
	v_addc_co_u32_e32 v5, vcc, v1, v5, vcc
	v_mov_b32_e32 v2, v3
	global_store_dwordx2 v[4:5], v[2:3], off
	s_or_b64 exec, exec, s[2:3]
	v_cmp_gt_u32_e32 vcc, 64, v0
	s_and_saveexec_b64 s[2:3], vcc
	s_cbranch_execz .LBB147_11
.LBB147_13:
	v_mov_b32_e32 v1, 0
	v_lshlrev_b64 v[2:3], 3, v[0:1]
	v_mov_b32_e32 v0, s1
	v_add_co_u32_e32 v2, vcc, s0, v2
	v_addc_co_u32_e32 v3, vcc, v0, v3, vcc
	v_mov_b32_e32 v5, 0xff
	v_mov_b32_e32 v4, v1
	global_store_dwordx2 v[2:3], v[4:5], off
	s_endpgm
	.section	.rodata,"a",@progbits
	.p2align	6, 0x0
	.amdhsa_kernel _ZN7rocprim6detail31init_lookback_scan_state_kernelINS0_19lookback_scan_stateIfLb1ELb1EEEEEvT_jjPNS4_10value_typeE
		.amdhsa_group_segment_fixed_size 0
		.amdhsa_private_segment_fixed_size 0
		.amdhsa_kernarg_size 280
		.amdhsa_user_sgpr_count 6
		.amdhsa_user_sgpr_private_segment_buffer 1
		.amdhsa_user_sgpr_dispatch_ptr 0
		.amdhsa_user_sgpr_queue_ptr 0
		.amdhsa_user_sgpr_kernarg_segment_ptr 1
		.amdhsa_user_sgpr_dispatch_id 0
		.amdhsa_user_sgpr_flat_scratch_init 0
		.amdhsa_user_sgpr_kernarg_preload_length 0
		.amdhsa_user_sgpr_kernarg_preload_offset 0
		.amdhsa_user_sgpr_private_segment_size 0
		.amdhsa_uses_dynamic_stack 0
		.amdhsa_system_sgpr_private_segment_wavefront_offset 0
		.amdhsa_system_sgpr_workgroup_id_x 1
		.amdhsa_system_sgpr_workgroup_id_y 0
		.amdhsa_system_sgpr_workgroup_id_z 0
		.amdhsa_system_sgpr_workgroup_info 0
		.amdhsa_system_vgpr_workitem_id 0
		.amdhsa_next_free_vgpr 6
		.amdhsa_next_free_sgpr 12
		.amdhsa_accum_offset 8
		.amdhsa_reserve_vcc 1
		.amdhsa_reserve_flat_scratch 0
		.amdhsa_float_round_mode_32 0
		.amdhsa_float_round_mode_16_64 0
		.amdhsa_float_denorm_mode_32 3
		.amdhsa_float_denorm_mode_16_64 3
		.amdhsa_dx10_clamp 1
		.amdhsa_ieee_mode 1
		.amdhsa_fp16_overflow 0
		.amdhsa_tg_split 0
		.amdhsa_exception_fp_ieee_invalid_op 0
		.amdhsa_exception_fp_denorm_src 0
		.amdhsa_exception_fp_ieee_div_zero 0
		.amdhsa_exception_fp_ieee_overflow 0
		.amdhsa_exception_fp_ieee_underflow 0
		.amdhsa_exception_fp_ieee_inexact 0
		.amdhsa_exception_int_div_zero 0
	.end_amdhsa_kernel
	.section	.text._ZN7rocprim6detail31init_lookback_scan_state_kernelINS0_19lookback_scan_stateIfLb1ELb1EEEEEvT_jjPNS4_10value_typeE,"axG",@progbits,_ZN7rocprim6detail31init_lookback_scan_state_kernelINS0_19lookback_scan_stateIfLb1ELb1EEEEEvT_jjPNS4_10value_typeE,comdat
.Lfunc_end147:
	.size	_ZN7rocprim6detail31init_lookback_scan_state_kernelINS0_19lookback_scan_stateIfLb1ELb1EEEEEvT_jjPNS4_10value_typeE, .Lfunc_end147-_ZN7rocprim6detail31init_lookback_scan_state_kernelINS0_19lookback_scan_stateIfLb1ELb1EEEEEvT_jjPNS4_10value_typeE
                                        ; -- End function
	.section	.AMDGPU.csdata,"",@progbits
; Kernel info:
; codeLenInByte = 344
; NumSgprs: 16
; NumVgprs: 6
; NumAgprs: 0
; TotalNumVgprs: 6
; ScratchSize: 0
; MemoryBound: 0
; FloatMode: 240
; IeeeMode: 1
; LDSByteSize: 0 bytes/workgroup (compile time only)
; SGPRBlocks: 1
; VGPRBlocks: 0
; NumSGPRsForWavesPerEU: 16
; NumVGPRsForWavesPerEU: 6
; AccumOffset: 8
; Occupancy: 8
; WaveLimiterHint : 0
; COMPUTE_PGM_RSRC2:SCRATCH_EN: 0
; COMPUTE_PGM_RSRC2:USER_SGPR: 6
; COMPUTE_PGM_RSRC2:TRAP_HANDLER: 0
; COMPUTE_PGM_RSRC2:TGID_X_EN: 1
; COMPUTE_PGM_RSRC2:TGID_Y_EN: 0
; COMPUTE_PGM_RSRC2:TGID_Z_EN: 0
; COMPUTE_PGM_RSRC2:TIDIG_COMP_CNT: 0
; COMPUTE_PGM_RSRC3_GFX90A:ACCUM_OFFSET: 1
; COMPUTE_PGM_RSRC3_GFX90A:TG_SPLIT: 0
	.section	.text._ZN7rocprim6detail31init_lookback_scan_state_kernelINS0_19lookback_scan_stateIfLb0ELb1EEEEEvT_jjPNS4_10value_typeE,"axG",@progbits,_ZN7rocprim6detail31init_lookback_scan_state_kernelINS0_19lookback_scan_stateIfLb0ELb1EEEEEvT_jjPNS4_10value_typeE,comdat
	.protected	_ZN7rocprim6detail31init_lookback_scan_state_kernelINS0_19lookback_scan_stateIfLb0ELb1EEEEEvT_jjPNS4_10value_typeE ; -- Begin function _ZN7rocprim6detail31init_lookback_scan_state_kernelINS0_19lookback_scan_stateIfLb0ELb1EEEEEvT_jjPNS4_10value_typeE
	.globl	_ZN7rocprim6detail31init_lookback_scan_state_kernelINS0_19lookback_scan_stateIfLb0ELb1EEEEEvT_jjPNS4_10value_typeE
	.p2align	8
	.type	_ZN7rocprim6detail31init_lookback_scan_state_kernelINS0_19lookback_scan_stateIfLb0ELb1EEEEEvT_jjPNS4_10value_typeE,@function
_ZN7rocprim6detail31init_lookback_scan_state_kernelINS0_19lookback_scan_stateIfLb0ELb1EEEEEvT_jjPNS4_10value_typeE: ; @_ZN7rocprim6detail31init_lookback_scan_state_kernelINS0_19lookback_scan_stateIfLb0ELb1EEEEEvT_jjPNS4_10value_typeE
; %bb.0:
	s_load_dword s7, s[4:5], 0x24
	s_load_dwordx2 s[8:9], s[4:5], 0x10
	s_load_dwordx4 s[0:3], s[4:5], 0x0
	s_waitcnt lgkmcnt(0)
	s_and_b32 s4, s7, 0xffff
	s_mul_i32 s6, s6, s4
	s_cmp_eq_u64 s[8:9], 0
	v_add_u32_e32 v0, s6, v0
	s_cbranch_scc1 .LBB148_6
; %bb.1:
	s_cmp_lt_u32 s3, s2
	s_cselect_b32 s4, s3, 0
	s_mov_b32 s7, 0
	v_cmp_eq_u32_e32 vcc, s4, v0
	s_and_saveexec_b64 s[4:5], vcc
	s_cbranch_execz .LBB148_5
; %bb.2:
	s_add_i32 s6, s3, 64
	s_lshl_b64 s[6:7], s[6:7], 3
	s_add_u32 s6, s0, s6
	s_addc_u32 s7, s1, s7
	v_mov_b32_e32 v4, 0
	global_load_dwordx2 v[2:3], v4, s[6:7] glc
	s_waitcnt vmcnt(0)
	v_and_b32_e32 v5, 0xff, v3
	v_cmp_ne_u64_e32 vcc, 0, v[4:5]
	s_cbranch_vccnz .LBB148_4
.LBB148_3:                              ; =>This Inner Loop Header: Depth=1
	global_load_dwordx2 v[2:3], v4, s[6:7] glc
	s_waitcnt vmcnt(0)
	v_and_b32_e32 v5, 0xff, v3
	v_cmp_eq_u64_e32 vcc, 0, v[4:5]
	s_cbranch_vccnz .LBB148_3
.LBB148_4:
	v_mov_b32_e32 v1, 0
	global_store_dword v1, v2, s[8:9]
.LBB148_5:
	s_or_b64 exec, exec, s[4:5]
.LBB148_6:
	v_cmp_gt_u32_e32 vcc, s2, v0
	s_and_saveexec_b64 s[2:3], vcc
	s_cbranch_execnz .LBB148_9
; %bb.7:
	s_or_b64 exec, exec, s[2:3]
	v_cmp_gt_u32_e32 vcc, 64, v0
	s_and_saveexec_b64 s[2:3], vcc
	s_cbranch_execnz .LBB148_10
.LBB148_8:
	s_endpgm
.LBB148_9:
	v_add_u32_e32 v2, 64, v0
	v_mov_b32_e32 v3, 0
	v_lshlrev_b64 v[4:5], 3, v[2:3]
	v_mov_b32_e32 v1, s1
	v_add_co_u32_e32 v4, vcc, s0, v4
	v_addc_co_u32_e32 v5, vcc, v1, v5, vcc
	v_mov_b32_e32 v2, v3
	global_store_dwordx2 v[4:5], v[2:3], off
	s_or_b64 exec, exec, s[2:3]
	v_cmp_gt_u32_e32 vcc, 64, v0
	s_and_saveexec_b64 s[2:3], vcc
	s_cbranch_execz .LBB148_8
.LBB148_10:
	v_mov_b32_e32 v1, 0
	v_lshlrev_b64 v[2:3], 3, v[0:1]
	v_mov_b32_e32 v0, s1
	v_add_co_u32_e32 v2, vcc, s0, v2
	v_addc_co_u32_e32 v3, vcc, v0, v3, vcc
	v_mov_b32_e32 v5, 0xff
	v_mov_b32_e32 v4, v1
	global_store_dwordx2 v[2:3], v[4:5], off
	s_endpgm
	.section	.rodata,"a",@progbits
	.p2align	6, 0x0
	.amdhsa_kernel _ZN7rocprim6detail31init_lookback_scan_state_kernelINS0_19lookback_scan_stateIfLb0ELb1EEEEEvT_jjPNS4_10value_typeE
		.amdhsa_group_segment_fixed_size 0
		.amdhsa_private_segment_fixed_size 0
		.amdhsa_kernarg_size 280
		.amdhsa_user_sgpr_count 6
		.amdhsa_user_sgpr_private_segment_buffer 1
		.amdhsa_user_sgpr_dispatch_ptr 0
		.amdhsa_user_sgpr_queue_ptr 0
		.amdhsa_user_sgpr_kernarg_segment_ptr 1
		.amdhsa_user_sgpr_dispatch_id 0
		.amdhsa_user_sgpr_flat_scratch_init 0
		.amdhsa_user_sgpr_kernarg_preload_length 0
		.amdhsa_user_sgpr_kernarg_preload_offset 0
		.amdhsa_user_sgpr_private_segment_size 0
		.amdhsa_uses_dynamic_stack 0
		.amdhsa_system_sgpr_private_segment_wavefront_offset 0
		.amdhsa_system_sgpr_workgroup_id_x 1
		.amdhsa_system_sgpr_workgroup_id_y 0
		.amdhsa_system_sgpr_workgroup_id_z 0
		.amdhsa_system_sgpr_workgroup_info 0
		.amdhsa_system_vgpr_workitem_id 0
		.amdhsa_next_free_vgpr 6
		.amdhsa_next_free_sgpr 10
		.amdhsa_accum_offset 8
		.amdhsa_reserve_vcc 1
		.amdhsa_reserve_flat_scratch 0
		.amdhsa_float_round_mode_32 0
		.amdhsa_float_round_mode_16_64 0
		.amdhsa_float_denorm_mode_32 3
		.amdhsa_float_denorm_mode_16_64 3
		.amdhsa_dx10_clamp 1
		.amdhsa_ieee_mode 1
		.amdhsa_fp16_overflow 0
		.amdhsa_tg_split 0
		.amdhsa_exception_fp_ieee_invalid_op 0
		.amdhsa_exception_fp_denorm_src 0
		.amdhsa_exception_fp_ieee_div_zero 0
		.amdhsa_exception_fp_ieee_overflow 0
		.amdhsa_exception_fp_ieee_underflow 0
		.amdhsa_exception_fp_ieee_inexact 0
		.amdhsa_exception_int_div_zero 0
	.end_amdhsa_kernel
	.section	.text._ZN7rocprim6detail31init_lookback_scan_state_kernelINS0_19lookback_scan_stateIfLb0ELb1EEEEEvT_jjPNS4_10value_typeE,"axG",@progbits,_ZN7rocprim6detail31init_lookback_scan_state_kernelINS0_19lookback_scan_stateIfLb0ELb1EEEEEvT_jjPNS4_10value_typeE,comdat
.Lfunc_end148:
	.size	_ZN7rocprim6detail31init_lookback_scan_state_kernelINS0_19lookback_scan_stateIfLb0ELb1EEEEEvT_jjPNS4_10value_typeE, .Lfunc_end148-_ZN7rocprim6detail31init_lookback_scan_state_kernelINS0_19lookback_scan_stateIfLb0ELb1EEEEEvT_jjPNS4_10value_typeE
                                        ; -- End function
	.section	.AMDGPU.csdata,"",@progbits
; Kernel info:
; codeLenInByte = 304
; NumSgprs: 14
; NumVgprs: 6
; NumAgprs: 0
; TotalNumVgprs: 6
; ScratchSize: 0
; MemoryBound: 0
; FloatMode: 240
; IeeeMode: 1
; LDSByteSize: 0 bytes/workgroup (compile time only)
; SGPRBlocks: 1
; VGPRBlocks: 0
; NumSGPRsForWavesPerEU: 14
; NumVGPRsForWavesPerEU: 6
; AccumOffset: 8
; Occupancy: 8
; WaveLimiterHint : 0
; COMPUTE_PGM_RSRC2:SCRATCH_EN: 0
; COMPUTE_PGM_RSRC2:USER_SGPR: 6
; COMPUTE_PGM_RSRC2:TRAP_HANDLER: 0
; COMPUTE_PGM_RSRC2:TGID_X_EN: 1
; COMPUTE_PGM_RSRC2:TGID_Y_EN: 0
; COMPUTE_PGM_RSRC2:TGID_Z_EN: 0
; COMPUTE_PGM_RSRC2:TIDIG_COMP_CNT: 0
; COMPUTE_PGM_RSRC3_GFX90A:ACCUM_OFFSET: 1
; COMPUTE_PGM_RSRC3_GFX90A:TG_SPLIT: 0
	.section	.text._ZN7rocprim6detail20lookback_scan_kernelILNS0_25lookback_scan_determinismE0ELb1ENS0_19wrapped_scan_configINS_14default_configEfEEN6hipcub22TransformInputIteratorIsNS6_6CastOpIsEEPslEEPfNS6_3MaxENS_12future_valueIfSC_EEfNS0_19lookback_scan_stateIfLb1ELb1EEEEEvT2_T3_mT5_T4_T7_jPT6_SO_bb,"axG",@progbits,_ZN7rocprim6detail20lookback_scan_kernelILNS0_25lookback_scan_determinismE0ELb1ENS0_19wrapped_scan_configINS_14default_configEfEEN6hipcub22TransformInputIteratorIsNS6_6CastOpIsEEPslEEPfNS6_3MaxENS_12future_valueIfSC_EEfNS0_19lookback_scan_stateIfLb1ELb1EEEEEvT2_T3_mT5_T4_T7_jPT6_SO_bb,comdat
	.protected	_ZN7rocprim6detail20lookback_scan_kernelILNS0_25lookback_scan_determinismE0ELb1ENS0_19wrapped_scan_configINS_14default_configEfEEN6hipcub22TransformInputIteratorIsNS6_6CastOpIsEEPslEEPfNS6_3MaxENS_12future_valueIfSC_EEfNS0_19lookback_scan_stateIfLb1ELb1EEEEEvT2_T3_mT5_T4_T7_jPT6_SO_bb ; -- Begin function _ZN7rocprim6detail20lookback_scan_kernelILNS0_25lookback_scan_determinismE0ELb1ENS0_19wrapped_scan_configINS_14default_configEfEEN6hipcub22TransformInputIteratorIsNS6_6CastOpIsEEPslEEPfNS6_3MaxENS_12future_valueIfSC_EEfNS0_19lookback_scan_stateIfLb1ELb1EEEEEvT2_T3_mT5_T4_T7_jPT6_SO_bb
	.globl	_ZN7rocprim6detail20lookback_scan_kernelILNS0_25lookback_scan_determinismE0ELb1ENS0_19wrapped_scan_configINS_14default_configEfEEN6hipcub22TransformInputIteratorIsNS6_6CastOpIsEEPslEEPfNS6_3MaxENS_12future_valueIfSC_EEfNS0_19lookback_scan_stateIfLb1ELb1EEEEEvT2_T3_mT5_T4_T7_jPT6_SO_bb
	.p2align	8
	.type	_ZN7rocprim6detail20lookback_scan_kernelILNS0_25lookback_scan_determinismE0ELb1ENS0_19wrapped_scan_configINS_14default_configEfEEN6hipcub22TransformInputIteratorIsNS6_6CastOpIsEEPslEEPfNS6_3MaxENS_12future_valueIfSC_EEfNS0_19lookback_scan_stateIfLb1ELb1EEEEEvT2_T3_mT5_T4_T7_jPT6_SO_bb,@function
_ZN7rocprim6detail20lookback_scan_kernelILNS0_25lookback_scan_determinismE0ELb1ENS0_19wrapped_scan_configINS_14default_configEfEEN6hipcub22TransformInputIteratorIsNS6_6CastOpIsEEPslEEPfNS6_3MaxENS_12future_valueIfSC_EEfNS0_19lookback_scan_stateIfLb1ELb1EEEEEvT2_T3_mT5_T4_T7_jPT6_SO_bb: ; @_ZN7rocprim6detail20lookback_scan_kernelILNS0_25lookback_scan_determinismE0ELb1ENS0_19wrapped_scan_configINS_14default_configEfEEN6hipcub22TransformInputIteratorIsNS6_6CastOpIsEEPslEEPfNS6_3MaxENS_12future_valueIfSC_EEfNS0_19lookback_scan_stateIfLb1ELb1EEEEEvT2_T3_mT5_T4_T7_jPT6_SO_bb
; %bb.0:
	s_endpgm
	.section	.rodata,"a",@progbits
	.p2align	6, 0x0
	.amdhsa_kernel _ZN7rocprim6detail20lookback_scan_kernelILNS0_25lookback_scan_determinismE0ELb1ENS0_19wrapped_scan_configINS_14default_configEfEEN6hipcub22TransformInputIteratorIsNS6_6CastOpIsEEPslEEPfNS6_3MaxENS_12future_valueIfSC_EEfNS0_19lookback_scan_stateIfLb1ELb1EEEEEvT2_T3_mT5_T4_T7_jPT6_SO_bb
		.amdhsa_group_segment_fixed_size 0
		.amdhsa_private_segment_fixed_size 0
		.amdhsa_kernarg_size 84
		.amdhsa_user_sgpr_count 6
		.amdhsa_user_sgpr_private_segment_buffer 1
		.amdhsa_user_sgpr_dispatch_ptr 0
		.amdhsa_user_sgpr_queue_ptr 0
		.amdhsa_user_sgpr_kernarg_segment_ptr 1
		.amdhsa_user_sgpr_dispatch_id 0
		.amdhsa_user_sgpr_flat_scratch_init 0
		.amdhsa_user_sgpr_kernarg_preload_length 0
		.amdhsa_user_sgpr_kernarg_preload_offset 0
		.amdhsa_user_sgpr_private_segment_size 0
		.amdhsa_uses_dynamic_stack 0
		.amdhsa_system_sgpr_private_segment_wavefront_offset 0
		.amdhsa_system_sgpr_workgroup_id_x 1
		.amdhsa_system_sgpr_workgroup_id_y 0
		.amdhsa_system_sgpr_workgroup_id_z 0
		.amdhsa_system_sgpr_workgroup_info 0
		.amdhsa_system_vgpr_workitem_id 0
		.amdhsa_next_free_vgpr 1
		.amdhsa_next_free_sgpr 0
		.amdhsa_accum_offset 4
		.amdhsa_reserve_vcc 0
		.amdhsa_reserve_flat_scratch 0
		.amdhsa_float_round_mode_32 0
		.amdhsa_float_round_mode_16_64 0
		.amdhsa_float_denorm_mode_32 3
		.amdhsa_float_denorm_mode_16_64 3
		.amdhsa_dx10_clamp 1
		.amdhsa_ieee_mode 1
		.amdhsa_fp16_overflow 0
		.amdhsa_tg_split 0
		.amdhsa_exception_fp_ieee_invalid_op 0
		.amdhsa_exception_fp_denorm_src 0
		.amdhsa_exception_fp_ieee_div_zero 0
		.amdhsa_exception_fp_ieee_overflow 0
		.amdhsa_exception_fp_ieee_underflow 0
		.amdhsa_exception_fp_ieee_inexact 0
		.amdhsa_exception_int_div_zero 0
	.end_amdhsa_kernel
	.section	.text._ZN7rocprim6detail20lookback_scan_kernelILNS0_25lookback_scan_determinismE0ELb1ENS0_19wrapped_scan_configINS_14default_configEfEEN6hipcub22TransformInputIteratorIsNS6_6CastOpIsEEPslEEPfNS6_3MaxENS_12future_valueIfSC_EEfNS0_19lookback_scan_stateIfLb1ELb1EEEEEvT2_T3_mT5_T4_T7_jPT6_SO_bb,"axG",@progbits,_ZN7rocprim6detail20lookback_scan_kernelILNS0_25lookback_scan_determinismE0ELb1ENS0_19wrapped_scan_configINS_14default_configEfEEN6hipcub22TransformInputIteratorIsNS6_6CastOpIsEEPslEEPfNS6_3MaxENS_12future_valueIfSC_EEfNS0_19lookback_scan_stateIfLb1ELb1EEEEEvT2_T3_mT5_T4_T7_jPT6_SO_bb,comdat
.Lfunc_end149:
	.size	_ZN7rocprim6detail20lookback_scan_kernelILNS0_25lookback_scan_determinismE0ELb1ENS0_19wrapped_scan_configINS_14default_configEfEEN6hipcub22TransformInputIteratorIsNS6_6CastOpIsEEPslEEPfNS6_3MaxENS_12future_valueIfSC_EEfNS0_19lookback_scan_stateIfLb1ELb1EEEEEvT2_T3_mT5_T4_T7_jPT6_SO_bb, .Lfunc_end149-_ZN7rocprim6detail20lookback_scan_kernelILNS0_25lookback_scan_determinismE0ELb1ENS0_19wrapped_scan_configINS_14default_configEfEEN6hipcub22TransformInputIteratorIsNS6_6CastOpIsEEPslEEPfNS6_3MaxENS_12future_valueIfSC_EEfNS0_19lookback_scan_stateIfLb1ELb1EEEEEvT2_T3_mT5_T4_T7_jPT6_SO_bb
                                        ; -- End function
	.section	.AMDGPU.csdata,"",@progbits
; Kernel info:
; codeLenInByte = 4
; NumSgprs: 4
; NumVgprs: 0
; NumAgprs: 0
; TotalNumVgprs: 0
; ScratchSize: 0
; MemoryBound: 0
; FloatMode: 240
; IeeeMode: 1
; LDSByteSize: 0 bytes/workgroup (compile time only)
; SGPRBlocks: 0
; VGPRBlocks: 0
; NumSGPRsForWavesPerEU: 4
; NumVGPRsForWavesPerEU: 1
; AccumOffset: 4
; Occupancy: 8
; WaveLimiterHint : 0
; COMPUTE_PGM_RSRC2:SCRATCH_EN: 0
; COMPUTE_PGM_RSRC2:USER_SGPR: 6
; COMPUTE_PGM_RSRC2:TRAP_HANDLER: 0
; COMPUTE_PGM_RSRC2:TGID_X_EN: 1
; COMPUTE_PGM_RSRC2:TGID_Y_EN: 0
; COMPUTE_PGM_RSRC2:TGID_Z_EN: 0
; COMPUTE_PGM_RSRC2:TIDIG_COMP_CNT: 0
; COMPUTE_PGM_RSRC3_GFX90A:ACCUM_OFFSET: 0
; COMPUTE_PGM_RSRC3_GFX90A:TG_SPLIT: 0
	.section	.text._ZN7rocprim6detail20lookback_scan_kernelILNS0_25lookback_scan_determinismE0ELb1ENS0_19wrapped_scan_configINS_14default_configEfEEN6hipcub22TransformInputIteratorIsNS6_6CastOpIsEEPslEEPfNS6_3MaxENS_12future_valueIfSC_EEfNS0_19lookback_scan_stateIfLb0ELb1EEEEEvT2_T3_mT5_T4_T7_jPT6_SO_bb,"axG",@progbits,_ZN7rocprim6detail20lookback_scan_kernelILNS0_25lookback_scan_determinismE0ELb1ENS0_19wrapped_scan_configINS_14default_configEfEEN6hipcub22TransformInputIteratorIsNS6_6CastOpIsEEPslEEPfNS6_3MaxENS_12future_valueIfSC_EEfNS0_19lookback_scan_stateIfLb0ELb1EEEEEvT2_T3_mT5_T4_T7_jPT6_SO_bb,comdat
	.protected	_ZN7rocprim6detail20lookback_scan_kernelILNS0_25lookback_scan_determinismE0ELb1ENS0_19wrapped_scan_configINS_14default_configEfEEN6hipcub22TransformInputIteratorIsNS6_6CastOpIsEEPslEEPfNS6_3MaxENS_12future_valueIfSC_EEfNS0_19lookback_scan_stateIfLb0ELb1EEEEEvT2_T3_mT5_T4_T7_jPT6_SO_bb ; -- Begin function _ZN7rocprim6detail20lookback_scan_kernelILNS0_25lookback_scan_determinismE0ELb1ENS0_19wrapped_scan_configINS_14default_configEfEEN6hipcub22TransformInputIteratorIsNS6_6CastOpIsEEPslEEPfNS6_3MaxENS_12future_valueIfSC_EEfNS0_19lookback_scan_stateIfLb0ELb1EEEEEvT2_T3_mT5_T4_T7_jPT6_SO_bb
	.globl	_ZN7rocprim6detail20lookback_scan_kernelILNS0_25lookback_scan_determinismE0ELb1ENS0_19wrapped_scan_configINS_14default_configEfEEN6hipcub22TransformInputIteratorIsNS6_6CastOpIsEEPslEEPfNS6_3MaxENS_12future_valueIfSC_EEfNS0_19lookback_scan_stateIfLb0ELb1EEEEEvT2_T3_mT5_T4_T7_jPT6_SO_bb
	.p2align	8
	.type	_ZN7rocprim6detail20lookback_scan_kernelILNS0_25lookback_scan_determinismE0ELb1ENS0_19wrapped_scan_configINS_14default_configEfEEN6hipcub22TransformInputIteratorIsNS6_6CastOpIsEEPslEEPfNS6_3MaxENS_12future_valueIfSC_EEfNS0_19lookback_scan_stateIfLb0ELb1EEEEEvT2_T3_mT5_T4_T7_jPT6_SO_bb,@function
_ZN7rocprim6detail20lookback_scan_kernelILNS0_25lookback_scan_determinismE0ELb1ENS0_19wrapped_scan_configINS_14default_configEfEEN6hipcub22TransformInputIteratorIsNS6_6CastOpIsEEPslEEPfNS6_3MaxENS_12future_valueIfSC_EEfNS0_19lookback_scan_stateIfLb0ELb1EEEEEvT2_T3_mT5_T4_T7_jPT6_SO_bb: ; @_ZN7rocprim6detail20lookback_scan_kernelILNS0_25lookback_scan_determinismE0ELb1ENS0_19wrapped_scan_configINS_14default_configEfEEN6hipcub22TransformInputIteratorIsNS6_6CastOpIsEEPslEEPfNS6_3MaxENS_12future_valueIfSC_EEfNS0_19lookback_scan_stateIfLb0ELb1EEEEEvT2_T3_mT5_T4_T7_jPT6_SO_bb
; %bb.0:
	s_load_dwordx2 s[0:1], s[4:5], 0x20
	s_load_dword s2, s[4:5], 0x38
	s_load_dwordx2 s[26:27], s[4:5], 0x0
	s_load_dwordx4 s[20:23], s[4:5], 0x10
	s_mul_i32 s24, s6, 0x700
	s_waitcnt lgkmcnt(0)
	s_load_dword s35, s[0:1], 0x0
	s_add_i32 s0, s2, -1
	s_mul_i32 s1, s0, 0x700
	s_sub_u32 s33, s22, s1
	s_subb_u32 s34, s23, 0
	s_mov_b32 s25, 0
	s_cmp_lg_u32 s6, s0
	s_cselect_b64 s[22:23], -1, 0
	s_lshl_b64 s[0:1], s[24:25], 1
	s_add_u32 s2, s26, s0
	s_addc_u32 s3, s27, s1
	s_mov_b64 s[0:1], -1
	s_and_b64 vcc, exec, s[22:23]
	v_lshlrev_b32_e32 v32, 2, v0
	s_cbranch_vccz .LBB150_2
; %bb.1:
	v_lshlrev_b32_e32 v1, 1, v0
	global_load_sshort v2, v1, s[2:3]
	global_load_sshort v3, v1, s[2:3] offset:256
	global_load_sshort v4, v1, s[2:3] offset:512
	;; [unrolled: 1-line block ×13, first 2 shown]
	s_mov_b64 s[0:1], 0
	s_waitcnt vmcnt(13)
	v_cvt_f32_i32_e32 v1, v2
	s_waitcnt vmcnt(12)
	v_cvt_f32_i32_e32 v2, v3
	;; [unrolled: 2-line block ×14, first 2 shown]
	ds_write2st64_b32 v32, v1, v2 offset1:2
	ds_write2st64_b32 v32, v3, v4 offset0:4 offset1:6
	ds_write2st64_b32 v32, v5, v6 offset0:8 offset1:10
	;; [unrolled: 1-line block ×6, first 2 shown]
	s_waitcnt lgkmcnt(0)
	s_barrier
.LBB150_2:
	s_andn2_b64 vcc, exec, s[0:1]
	v_cmp_gt_u32_e64 s[0:1], s33, v0
	s_cbranch_vccnz .LBB150_32
; %bb.3:
	v_mov_b32_e32 v1, 0
	global_load_sshort v1, v1, s[2:3]
	v_lshlrev_b32_e32 v14, 1, v0
	v_mov_b32_e32 v15, s3
	v_add_co_u32_e32 v18, vcc, s2, v14
	v_addc_co_u32_e32 v19, vcc, 0, v15, vcc
	s_waitcnt vmcnt(0)
	v_cvt_f32_i32_e32 v1, v1
	v_mov_b32_e32 v2, v1
	v_mov_b32_e32 v3, v1
	;; [unrolled: 1-line block ×12, first 2 shown]
	v_pk_mov_b32 v[16:17], v[14:15], v[14:15] op_sel:[0,1]
	v_pk_mov_b32 v[14:15], v[12:13], v[12:13] op_sel:[0,1]
	;; [unrolled: 1-line block ×8, first 2 shown]
	s_and_saveexec_b64 s[2:3], s[0:1]
	s_cbranch_execz .LBB150_5
; %bb.4:
	global_load_sshort v11, v[18:19], off
	v_mov_b32_e32 v2, v1
	v_mov_b32_e32 v3, v1
	v_mov_b32_e32 v4, v1
	v_mov_b32_e32 v5, v1
	v_mov_b32_e32 v6, v1
	v_mov_b32_e32 v7, v1
	v_mov_b32_e32 v8, v1
	v_mov_b32_e32 v9, v1
	v_mov_b32_e32 v10, v1
	v_mov_b32_e32 v12, v1
	v_mov_b32_e32 v13, v1
	s_waitcnt vmcnt(0)
	v_cvt_f32_i32_e32 v20, v11
	v_mov_b32_e32 v11, v1
	v_pk_mov_b32 v[16:17], v[14:15], v[14:15] op_sel:[0,1]
	v_pk_mov_b32 v[14:15], v[12:13], v[12:13] op_sel:[0,1]
	;; [unrolled: 1-line block ×8, first 2 shown]
	v_mov_b32_e32 v1, v20
.LBB150_5:
	s_or_b64 exec, exec, s[2:3]
	v_or_b32_e32 v2, 0x80, v0
	v_cmp_gt_u32_e32 vcc, s33, v2
	s_and_saveexec_b64 s[0:1], vcc
	s_cbranch_execz .LBB150_7
; %bb.6:
	global_load_sshort v2, v[18:19], off offset:256
	s_waitcnt vmcnt(0)
	v_cvt_f32_i32_e32 v3, v2
.LBB150_7:
	s_or_b64 exec, exec, s[0:1]
	v_or_b32_e32 v2, 0x100, v0
	v_cmp_gt_u32_e32 vcc, s33, v2
	s_and_saveexec_b64 s[0:1], vcc
	s_cbranch_execz .LBB150_9
; %bb.8:
	global_load_sshort v2, v[18:19], off offset:512
	s_waitcnt vmcnt(0)
	v_cvt_f32_i32_e32 v4, v2
.LBB150_9:
	;; [unrolled: 10-line block ×13, first 2 shown]
	s_or_b64 exec, exec, s[0:1]
	ds_write2st64_b32 v32, v1, v3 offset1:2
	ds_write2st64_b32 v32, v4, v5 offset0:4 offset1:6
	ds_write2st64_b32 v32, v6, v7 offset0:8 offset1:10
	;; [unrolled: 1-line block ×6, first 2 shown]
	s_waitcnt lgkmcnt(0)
	s_barrier
.LBB150_32:
	s_load_dwordx2 s[28:29], s[4:5], 0x30
	v_mul_u32_u24_e32 v33, 14, v0
	v_lshlrev_b32_e32 v34, 2, v33
	s_waitcnt lgkmcnt(0)
	ds_read2_b64 v[26:29], v34 offset1:1
	ds_read2_b64 v[22:25], v34 offset0:2 offset1:3
	ds_read2_b64 v[18:21], v34 offset0:4 offset1:5
	ds_read_b64 v[30:31], v34 offset:48
	s_cmp_lg_u32 s6, 0
	s_waitcnt lgkmcnt(3)
	v_cmp_lt_f32_e64 s[0:1], v26, v27
	v_lshrrev_b32_e32 v1, 5, v0
	v_cmp_gt_u32_e32 vcc, 64, v0
	s_waitcnt lgkmcnt(0)
	s_barrier
	s_cbranch_scc0 .LBB150_57
; %bb.33:
	v_cndmask_b32_e64 v2, v26, v27, s[0:1]
	v_cmp_lt_f32_e64 s[0:1], v2, v28
	v_cndmask_b32_e64 v2, v2, v28, s[0:1]
	v_cmp_lt_f32_e64 s[0:1], v2, v29
	;; [unrolled: 2-line block ×12, first 2 shown]
	v_cndmask_b32_e64 v12, v2, v31, s[0:1]
	v_add_lshl_u32 v2, v1, v0, 2
	ds_write_b32 v2, v12
	s_waitcnt lgkmcnt(0)
	s_barrier
	s_and_saveexec_b64 s[8:9], vcc
	s_cbranch_execz .LBB150_35
; %bb.34:
	v_lshlrev_b32_e32 v2, 1, v0
	v_lshrrev_b32_e32 v3, 4, v0
	v_add_lshl_u32 v4, v3, v2, 2
	ds_read2_b32 v[2:3], v4 offset1:1
	v_mbcnt_lo_u32_b32 v5, -1, 0
	v_mbcnt_hi_u32_b32 v5, -1, v5
	v_and_b32_e32 v7, 15, v5
	s_waitcnt lgkmcnt(0)
	v_cmp_lt_f32_e64 s[0:1], v2, v3
	v_cndmask_b32_e64 v6, v2, v3, s[0:1]
	v_cmp_eq_u32_e64 s[0:1], 0, v7
	s_nop 0
	v_mov_b32_dpp v8, v6 row_shr:1 row_mask:0xf bank_mask:0xf
	v_cmp_gt_f32_e64 s[2:3], v6, v8
	s_or_b64 s[0:1], s[0:1], s[2:3]
	v_cndmask_b32_e64 v6, v8, v6, s[0:1]
	s_nop 1
	v_mov_b32_dpp v8, v6 row_shr:2 row_mask:0xf bank_mask:0xf
	v_cmp_gt_f32_e64 s[0:1], v6, v8
	v_cndmask_b32_e64 v8, v8, v6, s[0:1]
	v_cmp_lt_u32_e64 s[0:1], 1, v7
	v_cndmask_b32_e64 v6, v6, v8, s[0:1]
	s_nop 1
	v_mov_b32_dpp v8, v6 row_shr:4 row_mask:0xf bank_mask:0xf
	v_cmp_gt_f32_e64 s[0:1], v6, v8
	v_cndmask_b32_e64 v8, v8, v6, s[0:1]
	v_cmp_lt_u32_e64 s[0:1], 3, v7
	;; [unrolled: 6-line block ×3, first 2 shown]
	v_cndmask_b32_e64 v6, v6, v8, s[0:1]
	v_and_b32_e32 v8, 16, v5
	v_cmp_eq_u32_e64 s[0:1], 0, v8
	v_mov_b32_dpp v7, v6 row_bcast:15 row_mask:0xf bank_mask:0xf
	v_cmp_gt_f32_e64 s[2:3], v6, v7
	s_or_b64 s[0:1], s[0:1], s[2:3]
	v_cndmask_b32_e64 v6, v7, v6, s[0:1]
	v_and_b32_e32 v8, 64, v5
	s_nop 0
	v_mov_b32_dpp v7, v6 row_bcast:31 row_mask:0xf bank_mask:0xf
	v_cmp_gt_f32_e64 s[0:1], v6, v7
	v_cndmask_b32_e64 v7, v7, v6, s[0:1]
	v_cmp_lt_u32_e64 s[0:1], 31, v5
	v_cndmask_b32_e64 v6, v6, v7, s[0:1]
	v_add_u32_e32 v7, -1, v5
	v_cmp_lt_i32_e64 s[0:1], v7, v8
	v_cndmask_b32_e64 v5, v7, v5, s[0:1]
	v_lshlrev_b32_e32 v5, 2, v5
	ds_bpermute_b32 v5, v5, v6
	s_waitcnt lgkmcnt(0)
	v_cmp_gt_f32_e64 s[0:1], v2, v5
	v_cndmask_b32_e64 v2, v5, v2, s[0:1]
	v_cmp_eq_u32_e64 s[0:1], 0, v0
	v_cndmask_b32_e64 v2, v2, v12, s[0:1]
	v_cmp_lt_f32_e64 s[0:1], v2, v3
	v_cndmask_b32_e64 v3, v2, v3, s[0:1]
	ds_write2_b32 v4, v2, v3 offset1:1
.LBB150_35:
	s_or_b64 exec, exec, s[8:9]
	v_cmp_eq_u32_e64 s[0:1], 0, v0
	v_cmp_ne_u32_e64 s[2:3], 0, v0
	s_waitcnt lgkmcnt(0)
	s_barrier
	s_and_saveexec_b64 s[8:9], s[2:3]
	s_cbranch_execz .LBB150_37
; %bb.36:
	v_add_u32_e32 v2, -1, v0
	v_lshrrev_b32_e32 v3, 5, v2
	v_add_lshl_u32 v2, v3, v2, 2
	ds_read_b32 v12, v2
.LBB150_37:
	s_or_b64 exec, exec, s[8:9]
	s_and_saveexec_b64 s[30:31], vcc
	s_cbranch_execz .LBB150_56
; %bb.38:
	v_mov_b32_e32 v9, 0
	ds_read_b32 v2, v9 offset:520
	v_mbcnt_lo_u32_b32 v3, -1, 0
	v_mbcnt_hi_u32_b32 v5, -1, v3
	s_mov_b32 s11, 0
	v_cmp_eq_u32_e64 s[2:3], 0, v5
	s_and_saveexec_b64 s[8:9], s[2:3]
	s_cbranch_execz .LBB150_40
; %bb.39:
	s_add_i32 s10, s6, 64
	s_lshl_b64 s[10:11], s[10:11], 3
	s_add_u32 s10, s28, s10
	s_addc_u32 s11, s29, s11
	v_mov_b32_e32 v3, 1
	s_waitcnt lgkmcnt(0)
	global_store_dwordx2 v9, v[2:3], s[10:11]
.LBB150_40:
	s_or_b64 exec, exec, s[8:9]
	v_xad_u32 v4, v5, -1, s6
	v_add_u32_e32 v8, 64, v4
	v_lshlrev_b64 v[6:7], 3, v[8:9]
	v_mov_b32_e32 v3, s29
	v_add_co_u32_e32 v10, vcc, s28, v6
	v_addc_co_u32_e32 v11, vcc, v3, v7, vcc
	global_load_dwordx2 v[6:7], v[10:11], off glc
	s_waitcnt vmcnt(0)
	v_cmp_eq_u16_sdwa s[10:11], v7, v9 src0_sel:BYTE_0 src1_sel:DWORD
	s_and_saveexec_b64 s[8:9], s[10:11]
	s_cbranch_execz .LBB150_44
; %bb.41:
	s_mov_b64 s[10:11], 0
	v_mov_b32_e32 v3, 0
.LBB150_42:                             ; =>This Inner Loop Header: Depth=1
	global_load_dwordx2 v[6:7], v[10:11], off glc
	s_waitcnt vmcnt(0)
	v_cmp_ne_u16_sdwa s[12:13], v7, v3 src0_sel:BYTE_0 src1_sel:DWORD
	s_or_b64 s[10:11], s[12:13], s[10:11]
	s_andn2_b64 exec, exec, s[10:11]
	s_cbranch_execnz .LBB150_42
; %bb.43:
	s_or_b64 exec, exec, s[10:11]
.LBB150_44:
	s_or_b64 exec, exec, s[8:9]
	v_and_b32_e32 v40, 63, v5
	v_cmp_ne_u32_e32 vcc, 63, v40
	v_addc_co_u32_e32 v13, vcc, 0, v5, vcc
	v_lshlrev_b32_e32 v13, 2, v13
	v_mov_b32_e32 v3, 2
	ds_bpermute_b32 v15, v13, v6
	v_cmp_eq_u16_sdwa s[8:9], v7, v3 src0_sel:BYTE_0 src1_sel:DWORD
	v_lshlrev_b64 v[8:9], v5, -1
	v_and_b32_e32 v10, s9, v9
	v_or_b32_e32 v10, 0x80000000, v10
	v_and_b32_e32 v11, s8, v8
	v_ffbl_b32_e32 v10, v10
	v_add_u32_e32 v10, 32, v10
	v_ffbl_b32_e32 v11, v11
	s_waitcnt lgkmcnt(0)
	v_cmp_lt_f32_e32 vcc, v15, v6
	v_cmp_gt_u32_e64 s[8:9], 62, v40
	v_min_u32_e32 v10, v11, v10
	v_add_u32_e32 v14, 1, v5
	v_cndmask_b32_e32 v11, v15, v6, vcc
	v_cndmask_b32_e64 v15, 0, 1, s[8:9]
	v_cmp_le_u32_e32 vcc, v14, v10
	v_lshlrev_b32_e32 v15, 1, v15
	v_cndmask_b32_e32 v11, v6, v11, vcc
	v_add_lshl_u32 v15, v15, v5, 2
	ds_bpermute_b32 v17, v15, v11
	v_add_u32_e32 v16, 2, v5
	v_cmp_gt_u32_e64 s[10:11], 60, v40
	v_add_u32_e32 v35, 4, v5
	v_cmp_gt_u32_e64 s[12:13], 56, v40
	s_waitcnt lgkmcnt(0)
	v_cmp_gt_f32_e64 s[8:9], v11, v17
	v_cndmask_b32_e64 v17, v17, v11, s[8:9]
	v_cmp_le_u32_e64 s[8:9], v16, v10
	v_cndmask_b32_e64 v11, v11, v17, s[8:9]
	v_cndmask_b32_e64 v17, 0, 1, s[10:11]
	v_lshlrev_b32_e32 v17, 2, v17
	v_add_lshl_u32 v17, v17, v5, 2
	ds_bpermute_b32 v36, v17, v11
	v_add_u32_e32 v37, 8, v5
	v_cmp_gt_u32_e64 s[14:15], 48, v40
	v_cmp_gt_u32_e64 s[16:17], 32, v40
	v_add_u32_e32 v39, 16, v5
	s_waitcnt lgkmcnt(0)
	v_cmp_gt_f32_e64 s[10:11], v11, v36
	v_cndmask_b32_e64 v36, v36, v11, s[10:11]
	v_cmp_le_u32_e64 s[10:11], v35, v10
	v_cndmask_b32_e64 v11, v11, v36, s[10:11]
	v_cndmask_b32_e64 v36, 0, 1, s[12:13]
	v_lshlrev_b32_e32 v36, 3, v36
	v_add_lshl_u32 v36, v36, v5, 2
	ds_bpermute_b32 v38, v36, v11
	v_cndmask_b32_e64 v40, 0, 1, s[16:17]
	v_lshlrev_b32_e32 v40, 5, v40
	v_add_u32_e32 v42, 32, v5
	v_cmp_le_u32_e64 s[18:19], v42, v10
	s_waitcnt lgkmcnt(0)
	v_cmp_gt_f32_e64 s[12:13], v11, v38
	v_cndmask_b32_e64 v38, v38, v11, s[12:13]
	v_cmp_le_u32_e64 s[12:13], v37, v10
	v_cndmask_b32_e64 v11, v11, v38, s[12:13]
	v_cndmask_b32_e64 v38, 0, 1, s[14:15]
	v_lshlrev_b32_e32 v38, 4, v38
	v_add_lshl_u32 v38, v38, v5, 2
	ds_bpermute_b32 v41, v38, v11
	s_or_b64 s[8:9], s[8:9], s[18:19]
	s_or_b64 s[8:9], vcc, s[8:9]
	v_cmp_gt_u32_e64 s[16:17], v42, v10
	s_or_b64 s[8:9], s[10:11], s[8:9]
	s_waitcnt lgkmcnt(0)
	v_cmp_gt_f32_e64 s[14:15], v11, v41
	v_cndmask_b32_e64 v41, v41, v11, s[14:15]
	v_cmp_le_u32_e64 s[14:15], v39, v10
	v_cndmask_b32_e64 v11, v11, v41, s[14:15]
	v_add_lshl_u32 v41, v40, v5, 2
	ds_bpermute_b32 v40, v41, v11
	s_or_b64 s[8:9], s[12:13], s[8:9]
	s_waitcnt lgkmcnt(0)
	v_cmp_gt_f32_e32 vcc, v11, v40
	s_or_b64 vcc, s[16:17], vcc
	v_cndmask_b32_e32 v5, v40, v11, vcc
	s_or_b64 vcc, s[14:15], s[8:9]
	v_cndmask_b32_e32 v6, v6, v5, vcc
	v_mov_b32_e32 v5, 0
	s_branch .LBB150_46
.LBB150_45:                             ;   in Loop: Header=BB150_46 Depth=1
	s_or_b64 exec, exec, s[8:9]
	v_cmp_eq_u16_sdwa s[8:9], v7, v3 src0_sel:BYTE_0 src1_sel:DWORD
	ds_bpermute_b32 v43, v13, v6
	v_and_b32_e32 v10, s9, v9
	v_or_b32_e32 v10, 0x80000000, v10
	v_and_b32_e32 v11, s8, v8
	v_ffbl_b32_e32 v10, v10
	v_add_u32_e32 v10, 32, v10
	v_ffbl_b32_e32 v11, v11
	v_min_u32_e32 v10, v11, v10
	s_waitcnt lgkmcnt(0)
	v_cmp_lt_f32_e32 vcc, v43, v6
	v_cndmask_b32_e32 v11, v43, v6, vcc
	v_cmp_le_u32_e32 vcc, v14, v10
	v_cndmask_b32_e32 v11, v6, v11, vcc
	ds_bpermute_b32 v43, v15, v11
	v_cmp_le_u32_e64 s[18:19], v42, v10
	v_cmp_gt_u32_e64 s[14:15], v42, v10
	v_subrev_u32_e32 v4, 64, v4
	s_waitcnt lgkmcnt(0)
	v_cmp_gt_f32_e64 s[8:9], v11, v43
	v_cndmask_b32_e64 v43, v43, v11, s[8:9]
	v_cmp_le_u32_e64 s[8:9], v16, v10
	v_cndmask_b32_e64 v11, v11, v43, s[8:9]
	ds_bpermute_b32 v43, v17, v11
	s_or_b64 s[8:9], s[8:9], s[18:19]
	s_or_b64 s[8:9], vcc, s[8:9]
	s_waitcnt lgkmcnt(0)
	v_cmp_gt_f32_e64 s[10:11], v11, v43
	v_cndmask_b32_e64 v43, v43, v11, s[10:11]
	v_cmp_le_u32_e64 s[10:11], v35, v10
	v_cndmask_b32_e64 v11, v11, v43, s[10:11]
	ds_bpermute_b32 v43, v36, v11
	s_or_b64 s[8:9], s[10:11], s[8:9]
	s_waitcnt lgkmcnt(0)
	v_cmp_gt_f32_e64 s[12:13], v11, v43
	v_cndmask_b32_e64 v43, v43, v11, s[12:13]
	v_cmp_le_u32_e64 s[12:13], v37, v10
	v_cndmask_b32_e64 v11, v11, v43, s[12:13]
	ds_bpermute_b32 v43, v38, v11
	s_or_b64 s[8:9], s[12:13], s[8:9]
	s_waitcnt lgkmcnt(0)
	v_cmp_gt_f32_e64 s[16:17], v11, v43
	v_cndmask_b32_e64 v43, v43, v11, s[16:17]
	v_cmp_le_u32_e64 s[16:17], v39, v10
	v_cndmask_b32_e64 v11, v11, v43, s[16:17]
	ds_bpermute_b32 v43, v41, v11
	s_waitcnt lgkmcnt(0)
	v_cmp_gt_f32_e32 vcc, v11, v43
	s_or_b64 vcc, s[14:15], vcc
	v_cndmask_b32_e32 v10, v43, v11, vcc
	s_or_b64 vcc, s[16:17], s[8:9]
	v_cndmask_b32_e32 v6, v6, v10, vcc
	v_cmp_lt_f32_e32 vcc, v6, v40
	v_cndmask_b32_e32 v6, v6, v40, vcc
.LBB150_46:                             ; =>This Loop Header: Depth=1
                                        ;     Child Loop BB150_49 Depth 2
	v_cmp_ne_u16_sdwa s[8:9], v7, v3 src0_sel:BYTE_0 src1_sel:DWORD
	v_cndmask_b32_e64 v7, 0, 1, s[8:9]
	;;#ASMSTART
	;;#ASMEND
	v_cmp_ne_u32_e32 vcc, 0, v7
	s_cmp_lg_u64 vcc, exec
	v_mov_b32_e32 v40, v6
	s_cbranch_scc1 .LBB150_51
; %bb.47:                               ;   in Loop: Header=BB150_46 Depth=1
	v_lshlrev_b64 v[6:7], 3, v[4:5]
	v_mov_b32_e32 v11, s29
	v_add_co_u32_e32 v10, vcc, s28, v6
	v_addc_co_u32_e32 v11, vcc, v11, v7, vcc
	global_load_dwordx2 v[6:7], v[10:11], off glc
	s_waitcnt vmcnt(0)
	v_cmp_eq_u16_sdwa s[10:11], v7, v5 src0_sel:BYTE_0 src1_sel:DWORD
	s_and_saveexec_b64 s[8:9], s[10:11]
	s_cbranch_execz .LBB150_45
; %bb.48:                               ;   in Loop: Header=BB150_46 Depth=1
	s_mov_b64 s[10:11], 0
.LBB150_49:                             ;   Parent Loop BB150_46 Depth=1
                                        ; =>  This Inner Loop Header: Depth=2
	global_load_dwordx2 v[6:7], v[10:11], off glc
	s_waitcnt vmcnt(0)
	v_cmp_ne_u16_sdwa s[12:13], v7, v5 src0_sel:BYTE_0 src1_sel:DWORD
	s_or_b64 s[10:11], s[12:13], s[10:11]
	s_andn2_b64 exec, exec, s[10:11]
	s_cbranch_execnz .LBB150_49
; %bb.50:                               ;   in Loop: Header=BB150_46 Depth=1
	s_or_b64 exec, exec, s[10:11]
	s_branch .LBB150_45
.LBB150_51:                             ;   in Loop: Header=BB150_46 Depth=1
                                        ; implicit-def: $vgpr6
                                        ; implicit-def: $vgpr7
	s_cbranch_execz .LBB150_46
; %bb.52:
	s_and_saveexec_b64 s[8:9], s[2:3]
	s_cbranch_execz .LBB150_54
; %bb.53:
	s_add_i32 s2, s6, 64
	s_mov_b32 s3, 0
	s_lshl_b64 s[2:3], s[2:3], 3
	s_add_u32 s2, s28, s2
	v_cmp_lt_f32_e32 vcc, v40, v2
	s_addc_u32 s3, s29, s3
	v_mov_b32_e32 v4, 0
	v_cndmask_b32_e32 v2, v40, v2, vcc
	v_mov_b32_e32 v3, 2
	global_store_dwordx2 v4, v[2:3], s[2:3]
.LBB150_54:
	s_or_b64 exec, exec, s[8:9]
	s_and_b64 exec, exec, s[0:1]
	s_cbranch_execz .LBB150_56
; %bb.55:
	v_mov_b32_e32 v2, 0
	ds_write_b32 v2, v40
.LBB150_56:
	s_or_b64 exec, exec, s[30:31]
	v_mov_b32_e32 v2, 0
	s_waitcnt lgkmcnt(0)
	s_barrier
	ds_read_b32 v2, v2
	s_waitcnt lgkmcnt(0)
	v_cmp_lt_f32_e32 vcc, v2, v12
	v_cndmask_b32_e32 v3, v2, v12, vcc
	v_cndmask_b32_e64 v2, v3, v2, s[0:1]
	v_cmp_lt_f32_e32 vcc, v2, v26
	v_cndmask_b32_e32 v3, v2, v26, vcc
	v_cmp_lt_f32_e32 vcc, v3, v27
	v_cndmask_b32_e32 v4, v3, v27, vcc
	;; [unrolled: 2-line block ×13, first 2 shown]
	s_load_dwordx4 s[0:3], s[4:5], 0x40
	s_branch .LBB150_67
.LBB150_57:
                                        ; implicit-def: $vgpr2_vgpr3_vgpr4_vgpr5_vgpr6_vgpr7_vgpr8_vgpr9_vgpr10_vgpr11_vgpr12_vgpr13_vgpr14_vgpr15_vgpr16_vgpr17
	s_load_dwordx4 s[0:3], s[4:5], 0x40
	s_cbranch_execz .LBB150_67
; %bb.58:
	s_load_dword s6, s[4:5], 0x50
	v_mov_b32_e32 v16, s35
	s_waitcnt lgkmcnt(0)
	s_bitcmp0_b32 s6, 0
	s_cbranch_scc1 .LBB150_60
; %bb.59:
	v_mov_b32_e32 v2, 0
	global_load_sshort v2, v2, s[26:27] offset:-2
	s_load_dword s0, s[0:1], 0x0
	s_waitcnt lgkmcnt(0)
	v_mov_b32_e32 v3, s0
	s_waitcnt vmcnt(0)
	v_cvt_f32_i32_e32 v2, v2
	v_cmp_lt_f32_e32 vcc, s0, v2
	v_cndmask_b32_e32 v16, v3, v2, vcc
.LBB150_60:
	v_cmp_lt_f32_e32 vcc, v26, v27
	v_cndmask_b32_e32 v2, v26, v27, vcc
	v_cmp_lt_f32_e32 vcc, v2, v28
	v_cndmask_b32_e32 v2, v2, v28, vcc
	;; [unrolled: 2-line block ×13, first 2 shown]
	v_add_lshl_u32 v1, v1, v0, 2
	v_cmp_gt_u32_e32 vcc, 64, v0
	ds_write_b32 v1, v2
	s_waitcnt lgkmcnt(0)
	s_barrier
	s_and_saveexec_b64 s[6:7], vcc
	s_cbranch_execz .LBB150_62
; %bb.61:
	v_lshlrev_b32_e32 v1, 1, v0
	v_lshrrev_b32_e32 v3, 4, v0
	v_add_lshl_u32 v1, v3, v1, 2
	ds_read2_b32 v[4:5], v1 offset1:1
	v_mbcnt_lo_u32_b32 v3, -1, 0
	v_mbcnt_hi_u32_b32 v3, -1, v3
	v_and_b32_e32 v7, 15, v3
	s_waitcnt lgkmcnt(0)
	v_cmp_lt_f32_e32 vcc, v4, v5
	v_cndmask_b32_e32 v6, v4, v5, vcc
	v_cmp_eq_u32_e32 vcc, 0, v7
	s_nop 0
	v_mov_b32_dpp v8, v6 row_shr:1 row_mask:0xf bank_mask:0xf
	v_cmp_gt_f32_e64 s[0:1], v6, v8
	s_or_b64 vcc, vcc, s[0:1]
	v_cndmask_b32_e32 v6, v8, v6, vcc
	s_nop 1
	v_mov_b32_dpp v8, v6 row_shr:2 row_mask:0xf bank_mask:0xf
	v_cmp_gt_f32_e32 vcc, v6, v8
	v_cndmask_b32_e32 v8, v8, v6, vcc
	v_cmp_lt_u32_e32 vcc, 1, v7
	v_cndmask_b32_e32 v6, v6, v8, vcc
	s_nop 1
	v_mov_b32_dpp v8, v6 row_shr:4 row_mask:0xf bank_mask:0xf
	v_cmp_gt_f32_e32 vcc, v6, v8
	v_cndmask_b32_e32 v8, v8, v6, vcc
	v_cmp_lt_u32_e32 vcc, 3, v7
	;; [unrolled: 6-line block ×3, first 2 shown]
	v_cndmask_b32_e32 v6, v6, v8, vcc
	v_and_b32_e32 v8, 16, v3
	v_cmp_eq_u32_e32 vcc, 0, v8
	v_mov_b32_dpp v7, v6 row_bcast:15 row_mask:0xf bank_mask:0xf
	v_cmp_gt_f32_e64 s[0:1], v6, v7
	s_or_b64 vcc, vcc, s[0:1]
	v_cndmask_b32_e32 v6, v7, v6, vcc
	v_and_b32_e32 v8, 64, v3
	s_nop 0
	v_mov_b32_dpp v7, v6 row_bcast:31 row_mask:0xf bank_mask:0xf
	v_cmp_gt_f32_e32 vcc, v6, v7
	v_cndmask_b32_e32 v7, v7, v6, vcc
	v_cmp_lt_u32_e32 vcc, 31, v3
	v_cndmask_b32_e32 v6, v6, v7, vcc
	v_add_u32_e32 v7, -1, v3
	v_cmp_lt_i32_e32 vcc, v7, v8
	v_cndmask_b32_e32 v3, v7, v3, vcc
	v_lshlrev_b32_e32 v3, 2, v3
	ds_bpermute_b32 v3, v3, v6
	s_waitcnt lgkmcnt(0)
	v_cmp_gt_f32_e32 vcc, v4, v3
	v_cndmask_b32_e32 v3, v3, v4, vcc
	v_cmp_eq_u32_e32 vcc, 0, v0
	v_cndmask_b32_e32 v2, v3, v2, vcc
	v_cmp_lt_f32_e32 vcc, v2, v5
	v_cndmask_b32_e32 v3, v2, v5, vcc
	ds_write2_b32 v1, v2, v3 offset1:1
.LBB150_62:
	s_or_b64 exec, exec, s[6:7]
	v_cmp_eq_u32_e32 vcc, 0, v0
	v_cmp_ne_u32_e64 s[0:1], 0, v0
	v_mov_b32_e32 v2, v16
	s_waitcnt lgkmcnt(0)
	s_barrier
	s_and_saveexec_b64 s[6:7], s[0:1]
	s_cbranch_execz .LBB150_64
; %bb.63:
	v_add_u32_e32 v1, -1, v0
	v_lshrrev_b32_e32 v2, 5, v1
	v_add_lshl_u32 v1, v2, v1, 2
	ds_read_b32 v1, v1
	s_waitcnt lgkmcnt(0)
	v_cmp_gt_f32_e64 s[0:1], v1, v16
	v_cndmask_b32_e64 v2, v16, v1, s[0:1]
.LBB150_64:
	s_or_b64 exec, exec, s[6:7]
	v_cmp_lt_f32_e64 s[0:1], v2, v26
	v_cndmask_b32_e64 v3, v2, v26, s[0:1]
	v_cmp_lt_f32_e64 s[0:1], v3, v27
	v_cndmask_b32_e64 v4, v3, v27, s[0:1]
	;; [unrolled: 2-line block ×13, first 2 shown]
	s_and_saveexec_b64 s[0:1], vcc
	s_cbranch_execz .LBB150_66
; %bb.65:
	v_mov_b32_e32 v1, 0
	ds_read_b32 v17, v1 offset:520
	s_waitcnt lgkmcnt(0)
	v_cmp_gt_f32_e32 vcc, v17, v16
	v_cndmask_b32_e32 v16, v16, v17, vcc
	v_mov_b32_e32 v17, 2
	global_store_dwordx2 v1, v[16:17], s[28:29] offset:512
.LBB150_66:
	s_or_b64 exec, exec, s[0:1]
.LBB150_67:
	s_waitcnt lgkmcnt(0)
	s_lshl_b64 s[0:1], s[24:25], 2
	s_add_u32 s0, s20, s0
	s_addc_u32 s1, s21, s1
	s_mov_b64 s[6:7], -1
	s_and_b64 vcc, exec, s[22:23]
	s_barrier
	s_cbranch_vccz .LBB150_69
; %bb.68:
	ds_write2_b64 v34, v[2:3], v[4:5] offset1:1
	ds_write2_b64 v34, v[6:7], v[8:9] offset0:2 offset1:3
	ds_write2_b64 v34, v[10:11], v[12:13] offset0:4 offset1:5
	ds_write_b64 v34, v[14:15] offset:48
	s_waitcnt lgkmcnt(0)
	s_barrier
	ds_read2st64_b32 v[16:17], v32 offset1:2
	ds_read2st64_b32 v[18:19], v32 offset0:4 offset1:6
	ds_read2st64_b32 v[20:21], v32 offset0:8 offset1:10
	ds_read2st64_b32 v[22:23], v32 offset0:12 offset1:14
	ds_read2st64_b32 v[24:25], v32 offset0:16 offset1:18
	ds_read2st64_b32 v[26:27], v32 offset0:20 offset1:22
	ds_read2st64_b32 v[28:29], v32 offset0:24 offset1:26
	v_mov_b32_e32 v1, s1
	v_add_co_u32_e32 v30, vcc, s0, v32
	v_addc_co_u32_e32 v1, vcc, 0, v1, vcc
	s_waitcnt lgkmcnt(6)
	global_store_dword v32, v16, s[0:1]
	global_store_dword v32, v17, s[0:1] offset:512
	s_waitcnt lgkmcnt(5)
	global_store_dword v32, v18, s[0:1] offset:1024
	global_store_dword v32, v19, s[0:1] offset:1536
	s_waitcnt lgkmcnt(4)
	global_store_dword v32, v20, s[0:1] offset:2048
	global_store_dword v32, v21, s[0:1] offset:2560
	s_waitcnt lgkmcnt(3)
	global_store_dword v32, v22, s[0:1] offset:3072
	global_store_dword v32, v23, s[0:1] offset:3584
	v_add_co_u32_e32 v16, vcc, 0x1000, v30
	v_addc_co_u32_e32 v17, vcc, 0, v1, vcc
	s_waitcnt lgkmcnt(2)
	global_store_dword v[16:17], v24, off
	global_store_dword v[16:17], v25, off offset:512
	s_waitcnt lgkmcnt(1)
	global_store_dword v[16:17], v26, off offset:1024
	global_store_dword v[16:17], v27, off offset:1536
	s_waitcnt lgkmcnt(0)
	global_store_dword v[16:17], v28, off offset:2048
	global_store_dword v[16:17], v29, off offset:2560
	s_mov_b64 s[6:7], 0
.LBB150_69:
	s_andn2_b64 vcc, exec, s[6:7]
	s_cbranch_vccnz .LBB150_149
; %bb.70:
	s_movk_i32 s6, 0xffcc
	ds_write2_b64 v34, v[2:3], v[4:5] offset1:1
	ds_write2_b64 v34, v[6:7], v[8:9] offset0:2 offset1:3
	ds_write2_b64 v34, v[10:11], v[12:13] offset0:4 offset1:5
	ds_write_b64 v34, v[14:15] offset:48
	v_mad_i32_i24 v14, v0, s6, v34
	s_waitcnt lgkmcnt(0)
	s_barrier
	ds_read2st64_b32 v[4:5], v14 offset1:2
	ds_read2st64_b32 v[6:7], v14 offset0:4 offset1:6
	ds_read2st64_b32 v[8:9], v14 offset0:8 offset1:10
	;; [unrolled: 1-line block ×6, first 2 shown]
	v_mov_b32_e32 v17, s1
	v_add_co_u32_e32 v16, vcc, s0, v32
	v_addc_co_u32_e32 v17, vcc, 0, v17, vcc
	v_mov_b32_e32 v1, 0
	v_cmp_gt_u32_e32 vcc, s33, v0
	s_and_saveexec_b64 s[0:1], vcc
	s_cbranch_execz .LBB150_72
; %bb.71:
	s_waitcnt lgkmcnt(6)
	global_store_dword v[16:17], v4, off
.LBB150_72:
	s_or_b64 exec, exec, s[0:1]
	v_or_b32_e32 v18, 0x80, v0
	v_cmp_gt_u32_e32 vcc, s33, v18
	s_and_saveexec_b64 s[0:1], vcc
	s_cbranch_execz .LBB150_74
; %bb.73:
	s_waitcnt lgkmcnt(6)
	global_store_dword v[16:17], v5, off offset:512
.LBB150_74:
	s_or_b64 exec, exec, s[0:1]
	v_or_b32_e32 v18, 0x100, v0
	v_cmp_gt_u32_e32 vcc, s33, v18
	s_and_saveexec_b64 s[0:1], vcc
	s_cbranch_execz .LBB150_76
; %bb.75:
	s_waitcnt lgkmcnt(5)
	global_store_dword v[16:17], v6, off offset:1024
.LBB150_76:
	;; [unrolled: 9-line block ×7, first 2 shown]
	s_or_b64 exec, exec, s[0:1]
	v_or_b32_e32 v18, 0x400, v0
	v_cmp_gt_u32_e32 vcc, s33, v18
	s_and_saveexec_b64 s[0:1], vcc
	s_cbranch_execz .LBB150_88
; %bb.87:
	v_add_co_u32_e32 v18, vcc, 0x1000, v16
	v_addc_co_u32_e32 v19, vcc, 0, v17, vcc
	s_waitcnt lgkmcnt(2)
	global_store_dword v[18:19], v12, off
.LBB150_88:
	s_or_b64 exec, exec, s[0:1]
	v_or_b32_e32 v18, 0x480, v0
	v_cmp_gt_u32_e32 vcc, s33, v18
	s_and_saveexec_b64 s[0:1], vcc
	s_cbranch_execz .LBB150_90
; %bb.89:
	v_add_co_u32_e32 v18, vcc, 0x1000, v16
	v_addc_co_u32_e32 v19, vcc, 0, v17, vcc
	s_waitcnt lgkmcnt(2)
	global_store_dword v[18:19], v13, off offset:512
.LBB150_90:
	s_or_b64 exec, exec, s[0:1]
	v_or_b32_e32 v18, 0x500, v0
	v_cmp_gt_u32_e32 vcc, s33, v18
	s_and_saveexec_b64 s[0:1], vcc
	s_cbranch_execz .LBB150_92
; %bb.91:
	v_add_co_u32_e32 v18, vcc, 0x1000, v16
	v_addc_co_u32_e32 v19, vcc, 0, v17, vcc
	s_waitcnt lgkmcnt(1)
	global_store_dword v[18:19], v10, off offset:1024
.LBB150_92:
	;; [unrolled: 11-line block ×5, first 2 shown]
	s_or_b64 exec, exec, s[0:1]
	s_load_dword s0, s[4:5], 0x50
	s_waitcnt lgkmcnt(0)
	s_bfe_u32 s0, s0, 0x10008
	s_cmp_eq_u32 s0, 0
	s_cbranch_scc1 .LBB150_149
; %bb.99:
	s_add_u32 s0, s33, -1
	s_addc_u32 s1, s34, -1
	s_add_u32 s4, 0, 0x49240800
	s_addc_u32 s5, 0, 50
	s_add_i32 s5, s5, 0x12492460
	s_mul_hi_u32 s9, s4, -14
	s_sub_i32 s9, s9, s4
	s_mul_i32 s10, s5, -14
	s_mul_i32 s6, s4, -14
	s_add_i32 s9, s9, s10
	s_mul_hi_u32 s7, s5, s6
	s_mul_i32 s8, s5, s6
	s_mul_i32 s11, s4, s9
	s_mul_hi_u32 s6, s4, s6
	s_mul_hi_u32 s10, s4, s9
	s_add_u32 s6, s6, s11
	s_addc_u32 s10, 0, s10
	s_add_u32 s6, s6, s8
	s_mul_hi_u32 s11, s5, s9
	s_addc_u32 s6, s10, s7
	s_addc_u32 s7, s11, 0
	s_mul_i32 s8, s5, s9
	s_add_u32 s6, s6, s8
	v_mov_b32_e32 v16, s6
	s_addc_u32 s7, 0, s7
	v_add_co_u32_e32 v16, vcc, s4, v16
	s_cmp_lg_u64 vcc, 0
	s_addc_u32 s4, s5, s7
	v_readfirstlane_b32 s7, v16
	s_mul_i32 s6, s0, s4
	s_mul_hi_u32 s8, s0, s7
	s_mul_hi_u32 s5, s0, s4
	s_add_u32 s6, s8, s6
	s_addc_u32 s5, 0, s5
	s_mul_hi_u32 s9, s1, s7
	s_mul_i32 s7, s1, s7
	s_add_u32 s6, s6, s7
	s_mul_hi_u32 s8, s1, s4
	s_addc_u32 s5, s5, s9
	s_addc_u32 s6, s8, 0
	s_mul_i32 s4, s1, s4
	s_add_u32 s4, s5, s4
	s_addc_u32 s5, 0, s6
	s_add_u32 s6, s4, 1
	s_addc_u32 s7, s5, 0
	s_add_u32 s8, s4, 2
	s_mul_i32 s10, s5, 14
	s_mul_hi_u32 s11, s4, 14
	s_addc_u32 s9, s5, 0
	s_add_i32 s11, s11, s10
	s_mul_i32 s10, s4, 14
	v_mov_b32_e32 v16, s10
	v_sub_co_u32_e32 v16, vcc, s0, v16
	s_cmp_lg_u64 vcc, 0
	s_subb_u32 s10, s1, s11
	v_subrev_co_u32_e32 v17, vcc, 14, v16
	s_cmp_lg_u64 vcc, 0
	s_subb_u32 s11, s10, 0
	v_readfirstlane_b32 s12, v17
	s_cmp_gt_u32 s12, 13
	s_cselect_b32 s12, -1, 0
	s_cmp_eq_u32 s11, 0
	s_cselect_b32 s11, s12, -1
	s_cmp_lg_u32 s11, 0
	s_cselect_b32 s6, s8, s6
	v_readfirstlane_b32 s8, v16
	s_cselect_b32 s7, s9, s7
	s_cmp_gt_u32 s8, 13
	s_cselect_b32 s8, -1, 0
	s_cmp_eq_u32 s10, 0
	s_cselect_b32 s8, s8, -1
	s_cmp_lg_u32 s8, 0
	s_cselect_b32 s5, s7, s5
	s_cselect_b32 s4, s6, s4
	v_cmp_eq_u64_e32 vcc, s[4:5], v[0:1]
	s_and_saveexec_b64 s[4:5], vcc
	s_cbranch_execz .LBB150_149
; %bb.100:
	v_mul_hi_u32_u24_e32 v1, 14, v0
	v_mov_b32_e32 v16, s1
	v_sub_co_u32_e32 v0, vcc, s0, v33
	v_subb_co_u32_e32 v1, vcc, v16, v1, vcc
	v_cmp_lt_i64_e32 vcc, 6, v[0:1]
	s_and_saveexec_b64 s[0:1], vcc
	s_xor_b64 s[0:1], exec, s[0:1]
	s_cbranch_execz .LBB150_126
; %bb.101:
	v_cmp_lt_i64_e32 vcc, 9, v[0:1]
	s_and_saveexec_b64 s[4:5], vcc
	s_xor_b64 s[4:5], exec, s[4:5]
	s_cbranch_execz .LBB150_115
; %bb.102:
	;; [unrolled: 5-line block ×4, first 2 shown]
	v_mov_b32_e32 v0, 0
	global_store_dword v0, v15, s[2:3]
                                        ; implicit-def: $vgpr14_vgpr15
.LBB150_105:
	s_andn2_saveexec_b64 s[8:9], s[8:9]
	s_cbranch_execz .LBB150_107
; %bb.106:
	v_mov_b32_e32 v0, 0
	global_store_dword v0, v14, s[2:3]
.LBB150_107:
	s_or_b64 exec, exec, s[8:9]
                                        ; implicit-def: $vgpr10_vgpr11
                                        ; implicit-def: $vgpr0_vgpr1
.LBB150_108:
	s_andn2_saveexec_b64 s[6:7], s[6:7]
	s_cbranch_execz .LBB150_114
; %bb.109:
	v_cmp_lt_i64_e32 vcc, 10, v[0:1]
	s_and_saveexec_b64 s[8:9], vcc
	s_xor_b64 s[8:9], exec, s[8:9]
	s_cbranch_execz .LBB150_111
; %bb.110:
	v_mov_b32_e32 v0, 0
	global_store_dword v0, v11, s[2:3]
                                        ; implicit-def: $vgpr10_vgpr11
.LBB150_111:
	s_andn2_saveexec_b64 s[8:9], s[8:9]
	s_cbranch_execz .LBB150_113
; %bb.112:
	v_mov_b32_e32 v0, 0
	global_store_dword v0, v10, s[2:3]
.LBB150_113:
	s_or_b64 exec, exec, s[8:9]
.LBB150_114:
	s_or_b64 exec, exec, s[6:7]
                                        ; implicit-def: $vgpr2_vgpr3
                                        ; implicit-def: $vgpr0_vgpr1
                                        ; implicit-def: $vgpr12_vgpr13
.LBB150_115:
	s_andn2_saveexec_b64 s[4:5], s[4:5]
	s_cbranch_execz .LBB150_125
; %bb.116:
	v_cmp_lt_i64_e32 vcc, 7, v[0:1]
	s_and_saveexec_b64 s[6:7], vcc
	s_xor_b64 s[6:7], exec, s[6:7]
	s_cbranch_execz .LBB150_122
; %bb.117:
	v_cmp_lt_i64_e32 vcc, 8, v[0:1]
	s_and_saveexec_b64 s[8:9], vcc
	s_xor_b64 s[8:9], exec, s[8:9]
	s_cbranch_execz .LBB150_119
; %bb.118:
	v_mov_b32_e32 v0, 0
	global_store_dword v0, v13, s[2:3]
                                        ; implicit-def: $vgpr12_vgpr13
.LBB150_119:
	s_andn2_saveexec_b64 s[8:9], s[8:9]
	s_cbranch_execz .LBB150_121
; %bb.120:
	v_mov_b32_e32 v0, 0
	global_store_dword v0, v12, s[2:3]
.LBB150_121:
	s_or_b64 exec, exec, s[8:9]
                                        ; implicit-def: $vgpr2_vgpr3
.LBB150_122:
	s_andn2_saveexec_b64 s[6:7], s[6:7]
	s_cbranch_execz .LBB150_124
; %bb.123:
	v_mov_b32_e32 v0, 0
	global_store_dword v0, v3, s[2:3]
.LBB150_124:
	s_or_b64 exec, exec, s[6:7]
.LBB150_125:
	s_or_b64 exec, exec, s[4:5]
                                        ; implicit-def: $vgpr0_vgpr1
                                        ; implicit-def: $vgpr8_vgpr9
                                        ; implicit-def: $vgpr4_vgpr5
                                        ; implicit-def: $vgpr6_vgpr7
                                        ; implicit-def: $vgpr2_vgpr3
.LBB150_126:
	s_andn2_saveexec_b64 s[0:1], s[0:1]
	s_cbranch_execz .LBB150_149
; %bb.127:
	v_cmp_lt_i64_e32 vcc, 3, v[0:1]
	s_and_saveexec_b64 s[0:1], vcc
	s_xor_b64 s[0:1], exec, s[0:1]
	s_cbranch_execz .LBB150_137
; %bb.128:
	v_cmp_lt_i64_e32 vcc, 4, v[0:1]
	s_and_saveexec_b64 s[4:5], vcc
	s_xor_b64 s[4:5], exec, s[4:5]
	;; [unrolled: 5-line block ×3, first 2 shown]
	s_cbranch_execz .LBB150_131
; %bb.130:
	v_mov_b32_e32 v0, 0
	global_store_dword v0, v2, s[2:3]
                                        ; implicit-def: $vgpr8_vgpr9
.LBB150_131:
	s_andn2_saveexec_b64 s[6:7], s[6:7]
	s_cbranch_execz .LBB150_133
; %bb.132:
	v_mov_b32_e32 v0, 0
	global_store_dword v0, v9, s[2:3]
.LBB150_133:
	s_or_b64 exec, exec, s[6:7]
                                        ; implicit-def: $vgpr8_vgpr9
.LBB150_134:
	s_andn2_saveexec_b64 s[4:5], s[4:5]
	s_cbranch_execz .LBB150_136
; %bb.135:
	v_mov_b32_e32 v0, 0
	global_store_dword v0, v8, s[2:3]
.LBB150_136:
	s_or_b64 exec, exec, s[4:5]
                                        ; implicit-def: $vgpr0_vgpr1
                                        ; implicit-def: $vgpr4_vgpr5
                                        ; implicit-def: $vgpr6_vgpr7
.LBB150_137:
	s_andn2_saveexec_b64 s[0:1], s[0:1]
	s_cbranch_execz .LBB150_149
; %bb.138:
	v_cmp_lt_i64_e32 vcc, 1, v[0:1]
	s_and_saveexec_b64 s[0:1], vcc
	s_xor_b64 s[0:1], exec, s[0:1]
	s_cbranch_execz .LBB150_144
; %bb.139:
	v_cmp_lt_i64_e32 vcc, 2, v[0:1]
	s_and_saveexec_b64 s[4:5], vcc
	s_xor_b64 s[4:5], exec, s[4:5]
	s_cbranch_execz .LBB150_141
; %bb.140:
	v_mov_b32_e32 v0, 0
	global_store_dword v0, v7, s[2:3]
                                        ; implicit-def: $vgpr6_vgpr7
.LBB150_141:
	s_andn2_saveexec_b64 s[4:5], s[4:5]
	s_cbranch_execz .LBB150_143
; %bb.142:
	v_mov_b32_e32 v0, 0
	global_store_dword v0, v6, s[2:3]
.LBB150_143:
	s_or_b64 exec, exec, s[4:5]
                                        ; implicit-def: $vgpr4_vgpr5
                                        ; implicit-def: $vgpr0_vgpr1
.LBB150_144:
	s_andn2_saveexec_b64 s[0:1], s[0:1]
	s_cbranch_execz .LBB150_149
; %bb.145:
	v_cmp_ne_u64_e32 vcc, 1, v[0:1]
	s_and_saveexec_b64 s[0:1], vcc
	s_xor_b64 s[0:1], exec, s[0:1]
	s_cbranch_execz .LBB150_147
; %bb.146:
	v_mov_b32_e32 v0, 0
	global_store_dword v0, v4, s[2:3]
                                        ; implicit-def: $vgpr4_vgpr5
.LBB150_147:
	s_andn2_saveexec_b64 s[0:1], s[0:1]
	s_cbranch_execz .LBB150_149
; %bb.148:
	v_mov_b32_e32 v0, 0
	global_store_dword v0, v5, s[2:3]
.LBB150_149:
	s_endpgm
	.section	.rodata,"a",@progbits
	.p2align	6, 0x0
	.amdhsa_kernel _ZN7rocprim6detail20lookback_scan_kernelILNS0_25lookback_scan_determinismE0ELb1ENS0_19wrapped_scan_configINS_14default_configEfEEN6hipcub22TransformInputIteratorIsNS6_6CastOpIsEEPslEEPfNS6_3MaxENS_12future_valueIfSC_EEfNS0_19lookback_scan_stateIfLb0ELb1EEEEEvT2_T3_mT5_T4_T7_jPT6_SO_bb
		.amdhsa_group_segment_fixed_size 7168
		.amdhsa_private_segment_fixed_size 0
		.amdhsa_kernarg_size 84
		.amdhsa_user_sgpr_count 6
		.amdhsa_user_sgpr_private_segment_buffer 1
		.amdhsa_user_sgpr_dispatch_ptr 0
		.amdhsa_user_sgpr_queue_ptr 0
		.amdhsa_user_sgpr_kernarg_segment_ptr 1
		.amdhsa_user_sgpr_dispatch_id 0
		.amdhsa_user_sgpr_flat_scratch_init 0
		.amdhsa_user_sgpr_kernarg_preload_length 0
		.amdhsa_user_sgpr_kernarg_preload_offset 0
		.amdhsa_user_sgpr_private_segment_size 0
		.amdhsa_uses_dynamic_stack 0
		.amdhsa_system_sgpr_private_segment_wavefront_offset 0
		.amdhsa_system_sgpr_workgroup_id_x 1
		.amdhsa_system_sgpr_workgroup_id_y 0
		.amdhsa_system_sgpr_workgroup_id_z 0
		.amdhsa_system_sgpr_workgroup_info 0
		.amdhsa_system_vgpr_workitem_id 0
		.amdhsa_next_free_vgpr 44
		.amdhsa_next_free_sgpr 36
		.amdhsa_accum_offset 44
		.amdhsa_reserve_vcc 1
		.amdhsa_reserve_flat_scratch 0
		.amdhsa_float_round_mode_32 0
		.amdhsa_float_round_mode_16_64 0
		.amdhsa_float_denorm_mode_32 3
		.amdhsa_float_denorm_mode_16_64 3
		.amdhsa_dx10_clamp 1
		.amdhsa_ieee_mode 1
		.amdhsa_fp16_overflow 0
		.amdhsa_tg_split 0
		.amdhsa_exception_fp_ieee_invalid_op 0
		.amdhsa_exception_fp_denorm_src 0
		.amdhsa_exception_fp_ieee_div_zero 0
		.amdhsa_exception_fp_ieee_overflow 0
		.amdhsa_exception_fp_ieee_underflow 0
		.amdhsa_exception_fp_ieee_inexact 0
		.amdhsa_exception_int_div_zero 0
	.end_amdhsa_kernel
	.section	.text._ZN7rocprim6detail20lookback_scan_kernelILNS0_25lookback_scan_determinismE0ELb1ENS0_19wrapped_scan_configINS_14default_configEfEEN6hipcub22TransformInputIteratorIsNS6_6CastOpIsEEPslEEPfNS6_3MaxENS_12future_valueIfSC_EEfNS0_19lookback_scan_stateIfLb0ELb1EEEEEvT2_T3_mT5_T4_T7_jPT6_SO_bb,"axG",@progbits,_ZN7rocprim6detail20lookback_scan_kernelILNS0_25lookback_scan_determinismE0ELb1ENS0_19wrapped_scan_configINS_14default_configEfEEN6hipcub22TransformInputIteratorIsNS6_6CastOpIsEEPslEEPfNS6_3MaxENS_12future_valueIfSC_EEfNS0_19lookback_scan_stateIfLb0ELb1EEEEEvT2_T3_mT5_T4_T7_jPT6_SO_bb,comdat
.Lfunc_end150:
	.size	_ZN7rocprim6detail20lookback_scan_kernelILNS0_25lookback_scan_determinismE0ELb1ENS0_19wrapped_scan_configINS_14default_configEfEEN6hipcub22TransformInputIteratorIsNS6_6CastOpIsEEPslEEPfNS6_3MaxENS_12future_valueIfSC_EEfNS0_19lookback_scan_stateIfLb0ELb1EEEEEvT2_T3_mT5_T4_T7_jPT6_SO_bb, .Lfunc_end150-_ZN7rocprim6detail20lookback_scan_kernelILNS0_25lookback_scan_determinismE0ELb1ENS0_19wrapped_scan_configINS_14default_configEfEEN6hipcub22TransformInputIteratorIsNS6_6CastOpIsEEPslEEPfNS6_3MaxENS_12future_valueIfSC_EEfNS0_19lookback_scan_stateIfLb0ELb1EEEEEvT2_T3_mT5_T4_T7_jPT6_SO_bb
                                        ; -- End function
	.section	.AMDGPU.csdata,"",@progbits
; Kernel info:
; codeLenInByte = 6228
; NumSgprs: 40
; NumVgprs: 44
; NumAgprs: 0
; TotalNumVgprs: 44
; ScratchSize: 0
; MemoryBound: 0
; FloatMode: 240
; IeeeMode: 1
; LDSByteSize: 7168 bytes/workgroup (compile time only)
; SGPRBlocks: 4
; VGPRBlocks: 5
; NumSGPRsForWavesPerEU: 40
; NumVGPRsForWavesPerEU: 44
; AccumOffset: 44
; Occupancy: 5
; WaveLimiterHint : 1
; COMPUTE_PGM_RSRC2:SCRATCH_EN: 0
; COMPUTE_PGM_RSRC2:USER_SGPR: 6
; COMPUTE_PGM_RSRC2:TRAP_HANDLER: 0
; COMPUTE_PGM_RSRC2:TGID_X_EN: 1
; COMPUTE_PGM_RSRC2:TGID_Y_EN: 0
; COMPUTE_PGM_RSRC2:TGID_Z_EN: 0
; COMPUTE_PGM_RSRC2:TIDIG_COMP_CNT: 0
; COMPUTE_PGM_RSRC3_GFX90A:ACCUM_OFFSET: 10
; COMPUTE_PGM_RSRC3_GFX90A:TG_SPLIT: 0
	.section	.text._ZN7rocprim6detail16transform_kernelINS0_24wrapped_transform_configINS_14default_configEfEEfPfS5_NS_8identityIfEEEEvT1_mT2_T3_,"axG",@progbits,_ZN7rocprim6detail16transform_kernelINS0_24wrapped_transform_configINS_14default_configEfEEfPfS5_NS_8identityIfEEEEvT1_mT2_T3_,comdat
	.protected	_ZN7rocprim6detail16transform_kernelINS0_24wrapped_transform_configINS_14default_configEfEEfPfS5_NS_8identityIfEEEEvT1_mT2_T3_ ; -- Begin function _ZN7rocprim6detail16transform_kernelINS0_24wrapped_transform_configINS_14default_configEfEEfPfS5_NS_8identityIfEEEEvT1_mT2_T3_
	.globl	_ZN7rocprim6detail16transform_kernelINS0_24wrapped_transform_configINS_14default_configEfEEfPfS5_NS_8identityIfEEEEvT1_mT2_T3_
	.p2align	8
	.type	_ZN7rocprim6detail16transform_kernelINS0_24wrapped_transform_configINS_14default_configEfEEfPfS5_NS_8identityIfEEEEvT1_mT2_T3_,@function
_ZN7rocprim6detail16transform_kernelINS0_24wrapped_transform_configINS_14default_configEfEEfPfS5_NS_8identityIfEEEEvT1_mT2_T3_: ; @_ZN7rocprim6detail16transform_kernelINS0_24wrapped_transform_configINS_14default_configEfEEfPfS5_NS_8identityIfEEEEvT1_mT2_T3_
; %bb.0:
	s_load_dword s7, s[4:5], 0x20
	s_load_dwordx4 s[0:3], s[4:5], 0x0
	s_load_dwordx2 s[8:9], s[4:5], 0x10
	s_lshl_b32 s10, s6, 11
	s_mov_b32 s11, 0
	s_waitcnt lgkmcnt(0)
	s_add_i32 s7, s7, -1
	s_lshl_b64 s[4:5], s[10:11], 2
	s_add_u32 s0, s0, s4
	s_addc_u32 s1, s1, s5
	v_lshlrev_b32_e32 v1, 2, v0
	v_mov_b32_e32 v2, s1
	v_add_co_u32_e32 v4, vcc, s0, v1
	s_cmp_lg_u32 s6, s7
	v_addc_co_u32_e32 v5, vcc, 0, v2, vcc
	s_cbranch_scc0 .LBB151_2
; %bb.1:
	v_add_co_u32_e32 v2, vcc, 0x1000, v4
	global_load_dword v6, v[4:5], off
	v_addc_co_u32_e32 v3, vcc, 0, v5, vcc
	global_load_dword v3, v[2:3], off
	s_add_u32 s0, s8, s4
	s_addc_u32 s1, s9, s5
	s_mov_b64 s[6:7], -1
	s_waitcnt vmcnt(1)
	global_store_dword v1, v6, s[0:1]
	s_cbranch_execz .LBB151_3
	s_branch .LBB151_10
.LBB151_2:
	s_mov_b64 s[6:7], 0
                                        ; implicit-def: $vgpr3
.LBB151_3:
	s_sub_i32 s10, s2, s10
	v_cmp_gt_u32_e64 s[0:1], s10, v0
                                        ; implicit-def: $vgpr2_vgpr3
	s_and_saveexec_b64 s[2:3], s[0:1]
	s_cbranch_execz .LBB151_5
; %bb.4:
	global_load_dword v2, v[4:5], off
.LBB151_5:
	s_or_b64 exec, exec, s[2:3]
	v_or_b32_e32 v0, 0x400, v0
	v_cmp_gt_u32_e64 s[2:3], s10, v0
	s_and_saveexec_b64 s[10:11], s[2:3]
	s_cbranch_execnz .LBB151_13
; %bb.6:
	s_or_b64 exec, exec, s[10:11]
	s_and_saveexec_b64 s[10:11], s[0:1]
	s_cbranch_execnz .LBB151_14
.LBB151_7:
	s_or_b64 exec, exec, s[10:11]
	s_and_saveexec_b64 s[0:1], s[2:3]
.LBB151_8:
	s_or_b64 s[6:7], s[6:7], exec
.LBB151_9:
	s_or_b64 exec, exec, s[0:1]
.LBB151_10:
	s_and_saveexec_b64 s[0:1], s[6:7]
	s_cbranch_execnz .LBB151_12
; %bb.11:
	s_endpgm
.LBB151_12:
	s_add_u32 s0, s8, s4
	s_addc_u32 s1, s9, s5
	v_mov_b32_e32 v0, s1
	v_add_co_u32_e32 v1, vcc, s0, v1
	s_waitcnt vmcnt(0)
	v_addc_co_u32_e32 v2, vcc, 0, v0, vcc
	v_add_co_u32_e32 v0, vcc, 0x1000, v1
	v_addc_co_u32_e32 v1, vcc, 0, v2, vcc
	global_store_dword v[0:1], v3, off
	s_endpgm
.LBB151_13:
	v_add_co_u32_e32 v4, vcc, 0x1000, v4
	v_addc_co_u32_e32 v5, vcc, 0, v5, vcc
	global_load_dword v3, v[4:5], off
	s_or_b64 exec, exec, s[10:11]
	s_and_saveexec_b64 s[10:11], s[0:1]
	s_cbranch_execz .LBB151_7
.LBB151_14:
	s_add_u32 s0, s8, s4
	s_addc_u32 s1, s9, s5
	s_waitcnt vmcnt(0)
	global_store_dword v1, v2, s[0:1]
	s_or_b64 exec, exec, s[10:11]
	s_and_saveexec_b64 s[0:1], s[2:3]
	s_cbranch_execnz .LBB151_8
	s_branch .LBB151_9
	.section	.rodata,"a",@progbits
	.p2align	6, 0x0
	.amdhsa_kernel _ZN7rocprim6detail16transform_kernelINS0_24wrapped_transform_configINS_14default_configEfEEfPfS5_NS_8identityIfEEEEvT1_mT2_T3_
		.amdhsa_group_segment_fixed_size 0
		.amdhsa_private_segment_fixed_size 0
		.amdhsa_kernarg_size 288
		.amdhsa_user_sgpr_count 6
		.amdhsa_user_sgpr_private_segment_buffer 1
		.amdhsa_user_sgpr_dispatch_ptr 0
		.amdhsa_user_sgpr_queue_ptr 0
		.amdhsa_user_sgpr_kernarg_segment_ptr 1
		.amdhsa_user_sgpr_dispatch_id 0
		.amdhsa_user_sgpr_flat_scratch_init 0
		.amdhsa_user_sgpr_kernarg_preload_length 0
		.amdhsa_user_sgpr_kernarg_preload_offset 0
		.amdhsa_user_sgpr_private_segment_size 0
		.amdhsa_uses_dynamic_stack 0
		.amdhsa_system_sgpr_private_segment_wavefront_offset 0
		.amdhsa_system_sgpr_workgroup_id_x 1
		.amdhsa_system_sgpr_workgroup_id_y 0
		.amdhsa_system_sgpr_workgroup_id_z 0
		.amdhsa_system_sgpr_workgroup_info 0
		.amdhsa_system_vgpr_workitem_id 0
		.amdhsa_next_free_vgpr 7
		.amdhsa_next_free_sgpr 12
		.amdhsa_accum_offset 8
		.amdhsa_reserve_vcc 1
		.amdhsa_reserve_flat_scratch 0
		.amdhsa_float_round_mode_32 0
		.amdhsa_float_round_mode_16_64 0
		.amdhsa_float_denorm_mode_32 3
		.amdhsa_float_denorm_mode_16_64 3
		.amdhsa_dx10_clamp 1
		.amdhsa_ieee_mode 1
		.amdhsa_fp16_overflow 0
		.amdhsa_tg_split 0
		.amdhsa_exception_fp_ieee_invalid_op 0
		.amdhsa_exception_fp_denorm_src 0
		.amdhsa_exception_fp_ieee_div_zero 0
		.amdhsa_exception_fp_ieee_overflow 0
		.amdhsa_exception_fp_ieee_underflow 0
		.amdhsa_exception_fp_ieee_inexact 0
		.amdhsa_exception_int_div_zero 0
	.end_amdhsa_kernel
	.section	.text._ZN7rocprim6detail16transform_kernelINS0_24wrapped_transform_configINS_14default_configEfEEfPfS5_NS_8identityIfEEEEvT1_mT2_T3_,"axG",@progbits,_ZN7rocprim6detail16transform_kernelINS0_24wrapped_transform_configINS_14default_configEfEEfPfS5_NS_8identityIfEEEEvT1_mT2_T3_,comdat
.Lfunc_end151:
	.size	_ZN7rocprim6detail16transform_kernelINS0_24wrapped_transform_configINS_14default_configEfEEfPfS5_NS_8identityIfEEEEvT1_mT2_T3_, .Lfunc_end151-_ZN7rocprim6detail16transform_kernelINS0_24wrapped_transform_configINS_14default_configEfEEfPfS5_NS_8identityIfEEEEvT1_mT2_T3_
                                        ; -- End function
	.section	.AMDGPU.csdata,"",@progbits
; Kernel info:
; codeLenInByte = 352
; NumSgprs: 16
; NumVgprs: 7
; NumAgprs: 0
; TotalNumVgprs: 7
; ScratchSize: 0
; MemoryBound: 0
; FloatMode: 240
; IeeeMode: 1
; LDSByteSize: 0 bytes/workgroup (compile time only)
; SGPRBlocks: 1
; VGPRBlocks: 0
; NumSGPRsForWavesPerEU: 16
; NumVGPRsForWavesPerEU: 7
; AccumOffset: 8
; Occupancy: 8
; WaveLimiterHint : 1
; COMPUTE_PGM_RSRC2:SCRATCH_EN: 0
; COMPUTE_PGM_RSRC2:USER_SGPR: 6
; COMPUTE_PGM_RSRC2:TRAP_HANDLER: 0
; COMPUTE_PGM_RSRC2:TGID_X_EN: 1
; COMPUTE_PGM_RSRC2:TGID_Y_EN: 0
; COMPUTE_PGM_RSRC2:TGID_Z_EN: 0
; COMPUTE_PGM_RSRC2:TIDIG_COMP_CNT: 0
; COMPUTE_PGM_RSRC3_GFX90A:ACCUM_OFFSET: 1
; COMPUTE_PGM_RSRC3_GFX90A:TG_SPLIT: 0
	.section	.text._ZN7rocprim6detail18single_scan_kernelILb1ENS0_19wrapped_scan_configINS_14default_configEfEEN6hipcub22TransformInputIteratorIsNS5_6CastOpIsEEPslEEPfNS5_3MaxENS_12future_valueIfSB_EEfEEvT1_mT4_T2_T3_,"axG",@progbits,_ZN7rocprim6detail18single_scan_kernelILb1ENS0_19wrapped_scan_configINS_14default_configEfEEN6hipcub22TransformInputIteratorIsNS5_6CastOpIsEEPslEEPfNS5_3MaxENS_12future_valueIfSB_EEfEEvT1_mT4_T2_T3_,comdat
	.protected	_ZN7rocprim6detail18single_scan_kernelILb1ENS0_19wrapped_scan_configINS_14default_configEfEEN6hipcub22TransformInputIteratorIsNS5_6CastOpIsEEPslEEPfNS5_3MaxENS_12future_valueIfSB_EEfEEvT1_mT4_T2_T3_ ; -- Begin function _ZN7rocprim6detail18single_scan_kernelILb1ENS0_19wrapped_scan_configINS_14default_configEfEEN6hipcub22TransformInputIteratorIsNS5_6CastOpIsEEPslEEPfNS5_3MaxENS_12future_valueIfSB_EEfEEvT1_mT4_T2_T3_
	.globl	_ZN7rocprim6detail18single_scan_kernelILb1ENS0_19wrapped_scan_configINS_14default_configEfEEN6hipcub22TransformInputIteratorIsNS5_6CastOpIsEEPslEEPfNS5_3MaxENS_12future_valueIfSB_EEfEEvT1_mT4_T2_T3_
	.p2align	8
	.type	_ZN7rocprim6detail18single_scan_kernelILb1ENS0_19wrapped_scan_configINS_14default_configEfEEN6hipcub22TransformInputIteratorIsNS5_6CastOpIsEEPslEEPfNS5_3MaxENS_12future_valueIfSB_EEfEEvT1_mT4_T2_T3_,@function
_ZN7rocprim6detail18single_scan_kernelILb1ENS0_19wrapped_scan_configINS_14default_configEfEEN6hipcub22TransformInputIteratorIsNS5_6CastOpIsEEPslEEPfNS5_3MaxENS_12future_valueIfSB_EEfEEvT1_mT4_T2_T3_: ; @_ZN7rocprim6detail18single_scan_kernelILb1ENS0_19wrapped_scan_configINS_14default_configEfEEN6hipcub22TransformInputIteratorIsNS5_6CastOpIsEEPslEEPfNS5_3MaxENS_12future_valueIfSB_EEfEEvT1_mT4_T2_T3_
; %bb.0:
	s_load_dwordx2 s[0:1], s[4:5], 0x0
	s_load_dwordx4 s[28:31], s[4:5], 0x10
	v_mov_b32_e32 v1, 0
	v_lshlrev_b32_e32 v20, 1, v0
	s_waitcnt lgkmcnt(0)
	global_load_sshort v1, v1, s[0:1]
	v_mov_b32_e32 v2, s1
	v_add_co_u32_e32 v18, vcc, s0, v20
	v_addc_co_u32_e32 v19, vcc, 0, v2, vcc
	v_cmp_gt_u32_e32 vcc, s28, v0
	s_waitcnt vmcnt(0)
	v_cvt_f32_i32_e32 v1, v1
	v_mov_b32_e32 v2, v1
	v_mov_b32_e32 v3, v1
	;; [unrolled: 1-line block ×12, first 2 shown]
	v_pk_mov_b32 v[16:17], v[14:15], v[14:15] op_sel:[0,1]
	v_pk_mov_b32 v[14:15], v[12:13], v[12:13] op_sel:[0,1]
	;; [unrolled: 1-line block ×8, first 2 shown]
	s_and_saveexec_b64 s[0:1], vcc
	s_cbranch_execz .LBB152_2
; %bb.1:
	global_load_sshort v11, v[18:19], off
	v_mov_b32_e32 v2, v1
	v_mov_b32_e32 v3, v1
	;; [unrolled: 1-line block ×11, first 2 shown]
	s_waitcnt vmcnt(0)
	v_cvt_f32_i32_e32 v21, v11
	v_mov_b32_e32 v11, v1
	v_pk_mov_b32 v[16:17], v[14:15], v[14:15] op_sel:[0,1]
	v_pk_mov_b32 v[14:15], v[12:13], v[12:13] op_sel:[0,1]
	;; [unrolled: 1-line block ×8, first 2 shown]
	v_mov_b32_e32 v1, v21
.LBB152_2:
	s_or_b64 exec, exec, s[0:1]
	v_or_b32_e32 v2, 0x80, v0
	v_cmp_gt_u32_e64 s[0:1], s28, v2
	s_and_saveexec_b64 s[2:3], s[0:1]
	s_cbranch_execz .LBB152_4
; %bb.3:
	global_load_sshort v2, v[18:19], off offset:256
	s_waitcnt vmcnt(0)
	v_cvt_f32_i32_e32 v3, v2
.LBB152_4:
	s_or_b64 exec, exec, s[2:3]
	v_or_b32_e32 v2, 0x100, v0
	v_cmp_gt_u32_e64 s[2:3], s28, v2
	s_and_saveexec_b64 s[6:7], s[2:3]
	s_cbranch_execz .LBB152_6
; %bb.5:
	global_load_sshort v2, v[18:19], off offset:512
	s_waitcnt vmcnt(0)
	v_cvt_f32_i32_e32 v4, v2
.LBB152_6:
	;; [unrolled: 10-line block ×12, first 2 shown]
	s_or_b64 exec, exec, s[26:27]
	s_load_dwordx2 s[34:35], s[4:5], 0x20
	s_load_dword s33, s[30:31], 0x0
	v_or_b32_e32 v2, 0x680, v0
	v_cmp_gt_u32_e64 s[4:5], s28, v2
	s_and_saveexec_b64 s[26:27], s[4:5]
	s_cbranch_execz .LBB152_28
; %bb.27:
	global_load_sshort v2, v[18:19], off offset:3328
	s_waitcnt vmcnt(0)
	v_cvt_f32_i32_e32 v15, v2
.LBB152_28:
	s_or_b64 exec, exec, s[26:27]
	v_lshlrev_b32_e32 v18, 2, v0
	ds_write2st64_b32 v18, v1, v3 offset1:2
	ds_write2st64_b32 v18, v4, v5 offset0:4 offset1:6
	ds_write2st64_b32 v18, v6, v7 offset0:8 offset1:10
	;; [unrolled: 1-line block ×6, first 2 shown]
	v_mad_u32_u24 v1, v0, 52, v18
	s_waitcnt lgkmcnt(0)
	s_barrier
	ds_read2_b64 v[10:13], v1 offset1:1
	ds_read2_b64 v[6:9], v1 offset0:2 offset1:3
	ds_read2_b64 v[2:5], v1 offset0:4 offset1:5
	ds_read_b64 v[14:15], v1 offset:48
	s_waitcnt lgkmcnt(0)
	v_cmp_lt_f32_e64 s[26:27], v10, v11
	v_cndmask_b32_e64 v16, v10, v11, s[26:27]
	v_cmp_lt_f32_e64 s[26:27], v16, v12
	v_cndmask_b32_e64 v16, v16, v12, s[26:27]
	v_cmp_lt_f32_e64 s[26:27], v16, v13
	v_cndmask_b32_e64 v16, v16, v13, s[26:27]
	v_cmp_lt_f32_e64 s[26:27], v16, v6
	v_cndmask_b32_e64 v16, v16, v6, s[26:27]
	v_cmp_lt_f32_e64 s[26:27], v16, v7
	v_cndmask_b32_e64 v16, v16, v7, s[26:27]
	v_cmp_lt_f32_e64 s[26:27], v16, v8
	v_cndmask_b32_e64 v16, v16, v8, s[26:27]
	v_cmp_lt_f32_e64 s[26:27], v16, v9
	v_cndmask_b32_e64 v16, v16, v9, s[26:27]
	v_cmp_lt_f32_e64 s[26:27], v16, v2
	v_cndmask_b32_e64 v16, v16, v2, s[26:27]
	v_cmp_lt_f32_e64 s[26:27], v16, v3
	v_cndmask_b32_e64 v16, v16, v3, s[26:27]
	v_cmp_lt_f32_e64 s[26:27], v16, v4
	v_cndmask_b32_e64 v16, v16, v4, s[26:27]
	v_cmp_lt_f32_e64 s[26:27], v16, v5
	v_cndmask_b32_e64 v16, v16, v5, s[26:27]
	v_cmp_lt_f32_e64 s[26:27], v16, v14
	v_cndmask_b32_e64 v16, v16, v14, s[26:27]
	v_cmp_lt_f32_e64 s[26:27], v16, v15
	v_cndmask_b32_e64 v15, v16, v15, s[26:27]
	v_lshrrev_b32_e32 v16, 3, v0
	v_and_b32_e32 v16, 12, v16
	v_add_u32_e32 v16, v18, v16
	v_cmp_gt_u32_e64 s[26:27], 64, v0
	s_barrier
	ds_write_b32 v16, v15
	s_waitcnt lgkmcnt(0)
	s_barrier
	s_and_saveexec_b64 s[30:31], s[26:27]
	s_cbranch_execz .LBB152_30
; %bb.29:
	v_lshrrev_b32_e32 v16, 4, v0
	v_add_lshl_u32 v19, v16, v20, 2
	ds_read2_b32 v[16:17], v19 offset1:1
	v_mbcnt_lo_u32_b32 v20, -1, 0
	v_mbcnt_hi_u32_b32 v20, -1, v20
	v_and_b32_e32 v21, 15, v20
	s_waitcnt lgkmcnt(0)
	v_cmp_lt_f32_e64 s[26:27], v16, v17
	v_cndmask_b32_e64 v22, v16, v17, s[26:27]
	v_cmp_eq_u32_e64 s[26:27], 0, v21
	s_nop 0
	v_mov_b32_dpp v23, v22 row_shr:1 row_mask:0xf bank_mask:0xf
	v_cmp_gt_f32_e64 s[28:29], v22, v23
	s_or_b64 s[26:27], s[26:27], s[28:29]
	v_cndmask_b32_e64 v22, v23, v22, s[26:27]
	s_nop 1
	v_mov_b32_dpp v23, v22 row_shr:2 row_mask:0xf bank_mask:0xf
	v_cmp_gt_f32_e64 s[26:27], v22, v23
	v_cndmask_b32_e64 v23, v23, v22, s[26:27]
	v_cmp_lt_u32_e64 s[26:27], 1, v21
	v_cndmask_b32_e64 v22, v22, v23, s[26:27]
	s_nop 1
	v_mov_b32_dpp v23, v22 row_shr:4 row_mask:0xf bank_mask:0xf
	v_cmp_gt_f32_e64 s[26:27], v22, v23
	v_cndmask_b32_e64 v23, v23, v22, s[26:27]
	v_cmp_lt_u32_e64 s[26:27], 3, v21
	;; [unrolled: 6-line block ×3, first 2 shown]
	v_cndmask_b32_e64 v21, v22, v23, s[26:27]
	v_and_b32_e32 v23, 16, v20
	v_cmp_eq_u32_e64 s[26:27], 0, v23
	v_mov_b32_dpp v22, v21 row_bcast:15 row_mask:0xf bank_mask:0xf
	v_cmp_gt_f32_e64 s[28:29], v21, v22
	s_or_b64 s[26:27], s[26:27], s[28:29]
	v_cndmask_b32_e64 v21, v22, v21, s[26:27]
	v_and_b32_e32 v23, 64, v20
	s_nop 0
	v_mov_b32_dpp v22, v21 row_bcast:31 row_mask:0xf bank_mask:0xf
	v_cmp_gt_f32_e64 s[26:27], v21, v22
	v_cndmask_b32_e64 v22, v22, v21, s[26:27]
	v_cmp_lt_u32_e64 s[26:27], 31, v20
	v_cndmask_b32_e64 v21, v21, v22, s[26:27]
	v_add_u32_e32 v22, -1, v20
	v_cmp_lt_i32_e64 s[26:27], v22, v23
	v_cndmask_b32_e64 v20, v22, v20, s[26:27]
	v_lshlrev_b32_e32 v20, 2, v20
	ds_bpermute_b32 v20, v20, v21
	s_waitcnt lgkmcnt(0)
	v_cmp_gt_f32_e64 s[26:27], v16, v20
	v_cndmask_b32_e64 v16, v20, v16, s[26:27]
	v_cmp_eq_u32_e64 s[26:27], 0, v0
	v_cndmask_b32_e64 v15, v16, v15, s[26:27]
	v_cmp_lt_f32_e64 s[26:27], v15, v17
	v_cndmask_b32_e64 v16, v15, v17, s[26:27]
	ds_write2_b32 v19, v15, v16 offset1:1
.LBB152_30:
	s_or_b64 exec, exec, s[30:31]
	v_cmp_ne_u32_e64 s[26:27], 0, v0
	v_mov_b32_e32 v16, s33
	s_waitcnt lgkmcnt(0)
	s_barrier
	s_and_saveexec_b64 s[28:29], s[26:27]
	s_cbranch_execz .LBB152_32
; %bb.31:
	v_add_u32_e32 v15, -1, v0
	v_lshrrev_b32_e32 v16, 5, v15
	v_add_lshl_u32 v15, v16, v15, 2
	ds_read_b32 v15, v15
	v_mov_b32_e32 v16, s33
	s_waitcnt lgkmcnt(0)
	v_cmp_lt_f32_e64 s[26:27], s33, v15
	v_cndmask_b32_e64 v16, v16, v15, s[26:27]
.LBB152_32:
	s_or_b64 exec, exec, s[28:29]
	v_cmp_lt_f32_e64 s[26:27], v16, v10
	v_cndmask_b32_e64 v17, v16, v10, s[26:27]
	v_cmp_lt_f32_e64 s[26:27], v17, v11
	v_cndmask_b32_e64 v10, v17, v11, s[26:27]
	;; [unrolled: 2-line block ×13, first 2 shown]
	s_movk_i32 s26, 0xffcc
	v_mad_i32_i24 v0, v0, s26, v1
	s_barrier
	ds_write2_b64 v1, v[16:17], v[10:11] offset1:1
	ds_write2_b64 v1, v[12:13], v[6:7] offset0:2 offset1:3
	ds_write2_b64 v1, v[8:9], v[2:3] offset0:4 offset1:5
	ds_write_b64 v1, v[4:5] offset:48
	s_waitcnt lgkmcnt(0)
	s_barrier
	ds_read2st64_b32 v[12:13], v0 offset0:2 offset1:4
	ds_read2st64_b32 v[10:11], v0 offset0:6 offset1:8
	;; [unrolled: 1-line block ×4, first 2 shown]
	ds_read_b32 v14, v18 offset:4096
	ds_read2st64_b32 v[4:5], v0 offset0:20 offset1:22
	ds_read2st64_b32 v[0:1], v0 offset0:24 offset1:26
	v_mov_b32_e32 v3, s35
	v_add_co_u32_e64 v2, s[26:27], s34, v18
	v_addc_co_u32_e64 v3, s[26:27], 0, v3, s[26:27]
	s_and_saveexec_b64 s[26:27], vcc
	s_cbranch_execnz .LBB152_47
; %bb.33:
	s_or_b64 exec, exec, s[26:27]
	s_and_saveexec_b64 s[26:27], s[0:1]
	s_cbranch_execnz .LBB152_48
.LBB152_34:
	s_or_b64 exec, exec, s[26:27]
	s_and_saveexec_b64 s[0:1], s[2:3]
	s_cbranch_execnz .LBB152_49
.LBB152_35:
	s_or_b64 exec, exec, s[0:1]
	s_and_saveexec_b64 s[0:1], s[20:21]
	s_cbranch_execnz .LBB152_50
.LBB152_36:
	s_or_b64 exec, exec, s[0:1]
	s_and_saveexec_b64 s[0:1], s[6:7]
	s_cbranch_execnz .LBB152_51
.LBB152_37:
	s_or_b64 exec, exec, s[0:1]
	s_and_saveexec_b64 s[0:1], s[8:9]
	s_cbranch_execnz .LBB152_52
.LBB152_38:
	s_or_b64 exec, exec, s[0:1]
	s_and_saveexec_b64 s[0:1], s[10:11]
	s_cbranch_execnz .LBB152_53
.LBB152_39:
	s_or_b64 exec, exec, s[0:1]
	s_and_saveexec_b64 s[0:1], s[12:13]
	s_cbranch_execnz .LBB152_54
.LBB152_40:
	s_or_b64 exec, exec, s[0:1]
	s_and_saveexec_b64 s[0:1], s[14:15]
	s_cbranch_execnz .LBB152_55
.LBB152_41:
	s_or_b64 exec, exec, s[0:1]
	s_and_saveexec_b64 s[0:1], s[16:17]
	s_cbranch_execnz .LBB152_56
.LBB152_42:
	s_or_b64 exec, exec, s[0:1]
	s_and_saveexec_b64 s[0:1], s[18:19]
	s_cbranch_execnz .LBB152_57
.LBB152_43:
	s_or_b64 exec, exec, s[0:1]
	s_and_saveexec_b64 s[0:1], s[22:23]
	s_cbranch_execnz .LBB152_58
.LBB152_44:
	s_or_b64 exec, exec, s[0:1]
	s_and_saveexec_b64 s[0:1], s[24:25]
	s_cbranch_execnz .LBB152_59
.LBB152_45:
	s_or_b64 exec, exec, s[0:1]
	s_and_saveexec_b64 s[0:1], s[4:5]
	s_cbranch_execnz .LBB152_60
.LBB152_46:
	s_endpgm
.LBB152_47:
	ds_read_b32 v15, v18
	s_waitcnt lgkmcnt(0)
	global_store_dword v[2:3], v15, off
	s_or_b64 exec, exec, s[26:27]
	s_and_saveexec_b64 s[26:27], s[0:1]
	s_cbranch_execz .LBB152_34
.LBB152_48:
	s_waitcnt lgkmcnt(6)
	global_store_dword v[2:3], v12, off offset:512
	s_or_b64 exec, exec, s[26:27]
	s_and_saveexec_b64 s[0:1], s[2:3]
	s_cbranch_execz .LBB152_35
.LBB152_49:
	s_waitcnt lgkmcnt(6)
	global_store_dword v[2:3], v13, off offset:1024
	s_or_b64 exec, exec, s[0:1]
	s_and_saveexec_b64 s[0:1], s[20:21]
	s_cbranch_execz .LBB152_36
.LBB152_50:
	s_waitcnt lgkmcnt(5)
	global_store_dword v[2:3], v10, off offset:1536
	s_or_b64 exec, exec, s[0:1]
	s_and_saveexec_b64 s[0:1], s[6:7]
	s_cbranch_execz .LBB152_37
.LBB152_51:
	s_waitcnt lgkmcnt(5)
	global_store_dword v[2:3], v11, off offset:2048
	s_or_b64 exec, exec, s[0:1]
	s_and_saveexec_b64 s[0:1], s[8:9]
	s_cbranch_execz .LBB152_38
.LBB152_52:
	s_waitcnt lgkmcnt(4)
	global_store_dword v[2:3], v8, off offset:2560
	s_or_b64 exec, exec, s[0:1]
	s_and_saveexec_b64 s[0:1], s[10:11]
	s_cbranch_execz .LBB152_39
.LBB152_53:
	s_waitcnt lgkmcnt(4)
	global_store_dword v[2:3], v9, off offset:3072
	s_or_b64 exec, exec, s[0:1]
	s_and_saveexec_b64 s[0:1], s[12:13]
	s_cbranch_execz .LBB152_40
.LBB152_54:
	s_waitcnt lgkmcnt(3)
	global_store_dword v[2:3], v6, off offset:3584
	s_or_b64 exec, exec, s[0:1]
	s_and_saveexec_b64 s[0:1], s[14:15]
	s_cbranch_execz .LBB152_41
.LBB152_55:
	s_waitcnt lgkmcnt(4)
	v_add_co_u32_e32 v8, vcc, 0x1000, v2
	v_addc_co_u32_e32 v9, vcc, 0, v3, vcc
	s_waitcnt lgkmcnt(2)
	global_store_dword v[8:9], v14, off
	s_or_b64 exec, exec, s[0:1]
	s_and_saveexec_b64 s[0:1], s[16:17]
	s_cbranch_execz .LBB152_42
.LBB152_56:
	s_waitcnt lgkmcnt(4)
	v_add_co_u32_e32 v8, vcc, 0x1000, v2
	v_addc_co_u32_e32 v9, vcc, 0, v3, vcc
	s_waitcnt lgkmcnt(3)
	global_store_dword v[8:9], v7, off offset:512
	s_or_b64 exec, exec, s[0:1]
	s_and_saveexec_b64 s[0:1], s[18:19]
	s_cbranch_execz .LBB152_43
.LBB152_57:
	s_waitcnt lgkmcnt(3)
	v_add_co_u32_e32 v6, vcc, 0x1000, v2
	v_addc_co_u32_e32 v7, vcc, 0, v3, vcc
	s_waitcnt lgkmcnt(1)
	global_store_dword v[6:7], v4, off offset:1024
	s_or_b64 exec, exec, s[0:1]
	s_and_saveexec_b64 s[0:1], s[22:23]
	s_cbranch_execz .LBB152_44
.LBB152_58:
	s_waitcnt lgkmcnt(3)
	v_add_co_u32_e32 v6, vcc, 0x1000, v2
	v_addc_co_u32_e32 v7, vcc, 0, v3, vcc
	s_waitcnt lgkmcnt(1)
	global_store_dword v[6:7], v5, off offset:1536
	s_or_b64 exec, exec, s[0:1]
	s_and_saveexec_b64 s[0:1], s[24:25]
	s_cbranch_execz .LBB152_45
.LBB152_59:
	s_waitcnt lgkmcnt(1)
	v_add_co_u32_e32 v4, vcc, 0x1000, v2
	v_addc_co_u32_e32 v5, vcc, 0, v3, vcc
	s_waitcnt lgkmcnt(0)
	global_store_dword v[4:5], v0, off offset:2048
	s_or_b64 exec, exec, s[0:1]
	s_and_saveexec_b64 s[0:1], s[4:5]
	s_cbranch_execz .LBB152_46
.LBB152_60:
	v_add_co_u32_e32 v2, vcc, 0x1000, v2
	v_addc_co_u32_e32 v3, vcc, 0, v3, vcc
	s_waitcnt lgkmcnt(0)
	global_store_dword v[2:3], v1, off offset:2560
	s_endpgm
	.section	.rodata,"a",@progbits
	.p2align	6, 0x0
	.amdhsa_kernel _ZN7rocprim6detail18single_scan_kernelILb1ENS0_19wrapped_scan_configINS_14default_configEfEEN6hipcub22TransformInputIteratorIsNS5_6CastOpIsEEPslEEPfNS5_3MaxENS_12future_valueIfSB_EEfEEvT1_mT4_T2_T3_
		.amdhsa_group_segment_fixed_size 7168
		.amdhsa_private_segment_fixed_size 0
		.amdhsa_kernarg_size 44
		.amdhsa_user_sgpr_count 6
		.amdhsa_user_sgpr_private_segment_buffer 1
		.amdhsa_user_sgpr_dispatch_ptr 0
		.amdhsa_user_sgpr_queue_ptr 0
		.amdhsa_user_sgpr_kernarg_segment_ptr 1
		.amdhsa_user_sgpr_dispatch_id 0
		.amdhsa_user_sgpr_flat_scratch_init 0
		.amdhsa_user_sgpr_kernarg_preload_length 0
		.amdhsa_user_sgpr_kernarg_preload_offset 0
		.amdhsa_user_sgpr_private_segment_size 0
		.amdhsa_uses_dynamic_stack 0
		.amdhsa_system_sgpr_private_segment_wavefront_offset 0
		.amdhsa_system_sgpr_workgroup_id_x 1
		.amdhsa_system_sgpr_workgroup_id_y 0
		.amdhsa_system_sgpr_workgroup_id_z 0
		.amdhsa_system_sgpr_workgroup_info 0
		.amdhsa_system_vgpr_workitem_id 0
		.amdhsa_next_free_vgpr 24
		.amdhsa_next_free_sgpr 36
		.amdhsa_accum_offset 24
		.amdhsa_reserve_vcc 1
		.amdhsa_reserve_flat_scratch 0
		.amdhsa_float_round_mode_32 0
		.amdhsa_float_round_mode_16_64 0
		.amdhsa_float_denorm_mode_32 3
		.amdhsa_float_denorm_mode_16_64 3
		.amdhsa_dx10_clamp 1
		.amdhsa_ieee_mode 1
		.amdhsa_fp16_overflow 0
		.amdhsa_tg_split 0
		.amdhsa_exception_fp_ieee_invalid_op 0
		.amdhsa_exception_fp_denorm_src 0
		.amdhsa_exception_fp_ieee_div_zero 0
		.amdhsa_exception_fp_ieee_overflow 0
		.amdhsa_exception_fp_ieee_underflow 0
		.amdhsa_exception_fp_ieee_inexact 0
		.amdhsa_exception_int_div_zero 0
	.end_amdhsa_kernel
	.section	.text._ZN7rocprim6detail18single_scan_kernelILb1ENS0_19wrapped_scan_configINS_14default_configEfEEN6hipcub22TransformInputIteratorIsNS5_6CastOpIsEEPslEEPfNS5_3MaxENS_12future_valueIfSB_EEfEEvT1_mT4_T2_T3_,"axG",@progbits,_ZN7rocprim6detail18single_scan_kernelILb1ENS0_19wrapped_scan_configINS_14default_configEfEEN6hipcub22TransformInputIteratorIsNS5_6CastOpIsEEPslEEPfNS5_3MaxENS_12future_valueIfSB_EEfEEvT1_mT4_T2_T3_,comdat
.Lfunc_end152:
	.size	_ZN7rocprim6detail18single_scan_kernelILb1ENS0_19wrapped_scan_configINS_14default_configEfEEN6hipcub22TransformInputIteratorIsNS5_6CastOpIsEEPslEEPfNS5_3MaxENS_12future_valueIfSB_EEfEEvT1_mT4_T2_T3_, .Lfunc_end152-_ZN7rocprim6detail18single_scan_kernelILb1ENS0_19wrapped_scan_configINS_14default_configEfEEN6hipcub22TransformInputIteratorIsNS5_6CastOpIsEEPslEEPfNS5_3MaxENS_12future_valueIfSB_EEfEEvT1_mT4_T2_T3_
                                        ; -- End function
	.section	.AMDGPU.csdata,"",@progbits
; Kernel info:
; codeLenInByte = 2704
; NumSgprs: 40
; NumVgprs: 24
; NumAgprs: 0
; TotalNumVgprs: 24
; ScratchSize: 0
; MemoryBound: 0
; FloatMode: 240
; IeeeMode: 1
; LDSByteSize: 7168 bytes/workgroup (compile time only)
; SGPRBlocks: 4
; VGPRBlocks: 2
; NumSGPRsForWavesPerEU: 40
; NumVGPRsForWavesPerEU: 24
; AccumOffset: 24
; Occupancy: 5
; WaveLimiterHint : 0
; COMPUTE_PGM_RSRC2:SCRATCH_EN: 0
; COMPUTE_PGM_RSRC2:USER_SGPR: 6
; COMPUTE_PGM_RSRC2:TRAP_HANDLER: 0
; COMPUTE_PGM_RSRC2:TGID_X_EN: 1
; COMPUTE_PGM_RSRC2:TGID_Y_EN: 0
; COMPUTE_PGM_RSRC2:TGID_Z_EN: 0
; COMPUTE_PGM_RSRC2:TIDIG_COMP_CNT: 0
; COMPUTE_PGM_RSRC3_GFX90A:ACCUM_OFFSET: 5
; COMPUTE_PGM_RSRC3_GFX90A:TG_SPLIT: 0
	.section	.text._ZL18fill_initial_valueIfEvPT_S0_,"axG",@progbits,_ZL18fill_initial_valueIfEvPT_S0_,comdat
	.globl	_ZL18fill_initial_valueIfEvPT_S0_ ; -- Begin function _ZL18fill_initial_valueIfEvPT_S0_
	.p2align	8
	.type	_ZL18fill_initial_valueIfEvPT_S0_,@function
_ZL18fill_initial_valueIfEvPT_S0_:      ; @_ZL18fill_initial_valueIfEvPT_S0_
; %bb.0:
	s_load_dword s2, s[4:5], 0x8
	s_load_dwordx2 s[0:1], s[4:5], 0x0
	v_mov_b32_e32 v0, 0
	s_waitcnt lgkmcnt(0)
	v_mov_b32_e32 v1, s2
	global_store_dword v0, v1, s[0:1]
	s_endpgm
	.section	.rodata,"a",@progbits
	.p2align	6, 0x0
	.amdhsa_kernel _ZL18fill_initial_valueIfEvPT_S0_
		.amdhsa_group_segment_fixed_size 0
		.amdhsa_private_segment_fixed_size 0
		.amdhsa_kernarg_size 12
		.amdhsa_user_sgpr_count 6
		.amdhsa_user_sgpr_private_segment_buffer 1
		.amdhsa_user_sgpr_dispatch_ptr 0
		.amdhsa_user_sgpr_queue_ptr 0
		.amdhsa_user_sgpr_kernarg_segment_ptr 1
		.amdhsa_user_sgpr_dispatch_id 0
		.amdhsa_user_sgpr_flat_scratch_init 0
		.amdhsa_user_sgpr_kernarg_preload_length 0
		.amdhsa_user_sgpr_kernarg_preload_offset 0
		.amdhsa_user_sgpr_private_segment_size 0
		.amdhsa_uses_dynamic_stack 0
		.amdhsa_system_sgpr_private_segment_wavefront_offset 0
		.amdhsa_system_sgpr_workgroup_id_x 1
		.amdhsa_system_sgpr_workgroup_id_y 0
		.amdhsa_system_sgpr_workgroup_id_z 0
		.amdhsa_system_sgpr_workgroup_info 0
		.amdhsa_system_vgpr_workitem_id 0
		.amdhsa_next_free_vgpr 2
		.amdhsa_next_free_sgpr 6
		.amdhsa_accum_offset 4
		.amdhsa_reserve_vcc 0
		.amdhsa_reserve_flat_scratch 0
		.amdhsa_float_round_mode_32 0
		.amdhsa_float_round_mode_16_64 0
		.amdhsa_float_denorm_mode_32 3
		.amdhsa_float_denorm_mode_16_64 3
		.amdhsa_dx10_clamp 1
		.amdhsa_ieee_mode 1
		.amdhsa_fp16_overflow 0
		.amdhsa_tg_split 0
		.amdhsa_exception_fp_ieee_invalid_op 0
		.amdhsa_exception_fp_denorm_src 0
		.amdhsa_exception_fp_ieee_div_zero 0
		.amdhsa_exception_fp_ieee_overflow 0
		.amdhsa_exception_fp_ieee_underflow 0
		.amdhsa_exception_fp_ieee_inexact 0
		.amdhsa_exception_int_div_zero 0
	.end_amdhsa_kernel
	.section	.text._ZL18fill_initial_valueIfEvPT_S0_,"axG",@progbits,_ZL18fill_initial_valueIfEvPT_S0_,comdat
.Lfunc_end153:
	.size	_ZL18fill_initial_valueIfEvPT_S0_, .Lfunc_end153-_ZL18fill_initial_valueIfEvPT_S0_
                                        ; -- End function
	.section	.AMDGPU.csdata,"",@progbits
; Kernel info:
; codeLenInByte = 40
; NumSgprs: 10
; NumVgprs: 2
; NumAgprs: 0
; TotalNumVgprs: 2
; ScratchSize: 0
; MemoryBound: 0
; FloatMode: 240
; IeeeMode: 1
; LDSByteSize: 0 bytes/workgroup (compile time only)
; SGPRBlocks: 1
; VGPRBlocks: 0
; NumSGPRsForWavesPerEU: 10
; NumVGPRsForWavesPerEU: 2
; AccumOffset: 4
; Occupancy: 8
; WaveLimiterHint : 0
; COMPUTE_PGM_RSRC2:SCRATCH_EN: 0
; COMPUTE_PGM_RSRC2:USER_SGPR: 6
; COMPUTE_PGM_RSRC2:TRAP_HANDLER: 0
; COMPUTE_PGM_RSRC2:TGID_X_EN: 1
; COMPUTE_PGM_RSRC2:TGID_Y_EN: 0
; COMPUTE_PGM_RSRC2:TGID_Z_EN: 0
; COMPUTE_PGM_RSRC2:TIDIG_COMP_CNT: 0
; COMPUTE_PGM_RSRC3_GFX90A:ACCUM_OFFSET: 0
; COMPUTE_PGM_RSRC3_GFX90A:TG_SPLIT: 0
	.section	.text._ZN7rocprim6detail20lookback_scan_kernelILNS0_25lookback_scan_determinismE0ELb1ENS0_19wrapped_scan_configINS_14default_configEmEEN6hipcub22TransformInputIteratorImNS6_6CastOpImEEPmlEESA_NS6_3SumENS_12future_valueImSA_EEmNS0_19lookback_scan_stateImLb1ELb1EEEEEvT2_T3_mT5_T4_T7_jPT6_SN_bb,"axG",@progbits,_ZN7rocprim6detail20lookback_scan_kernelILNS0_25lookback_scan_determinismE0ELb1ENS0_19wrapped_scan_configINS_14default_configEmEEN6hipcub22TransformInputIteratorImNS6_6CastOpImEEPmlEESA_NS6_3SumENS_12future_valueImSA_EEmNS0_19lookback_scan_stateImLb1ELb1EEEEEvT2_T3_mT5_T4_T7_jPT6_SN_bb,comdat
	.protected	_ZN7rocprim6detail20lookback_scan_kernelILNS0_25lookback_scan_determinismE0ELb1ENS0_19wrapped_scan_configINS_14default_configEmEEN6hipcub22TransformInputIteratorImNS6_6CastOpImEEPmlEESA_NS6_3SumENS_12future_valueImSA_EEmNS0_19lookback_scan_stateImLb1ELb1EEEEEvT2_T3_mT5_T4_T7_jPT6_SN_bb ; -- Begin function _ZN7rocprim6detail20lookback_scan_kernelILNS0_25lookback_scan_determinismE0ELb1ENS0_19wrapped_scan_configINS_14default_configEmEEN6hipcub22TransformInputIteratorImNS6_6CastOpImEEPmlEESA_NS6_3SumENS_12future_valueImSA_EEmNS0_19lookback_scan_stateImLb1ELb1EEEEEvT2_T3_mT5_T4_T7_jPT6_SN_bb
	.globl	_ZN7rocprim6detail20lookback_scan_kernelILNS0_25lookback_scan_determinismE0ELb1ENS0_19wrapped_scan_configINS_14default_configEmEEN6hipcub22TransformInputIteratorImNS6_6CastOpImEEPmlEESA_NS6_3SumENS_12future_valueImSA_EEmNS0_19lookback_scan_stateImLb1ELb1EEEEEvT2_T3_mT5_T4_T7_jPT6_SN_bb
	.p2align	8
	.type	_ZN7rocprim6detail20lookback_scan_kernelILNS0_25lookback_scan_determinismE0ELb1ENS0_19wrapped_scan_configINS_14default_configEmEEN6hipcub22TransformInputIteratorImNS6_6CastOpImEEPmlEESA_NS6_3SumENS_12future_valueImSA_EEmNS0_19lookback_scan_stateImLb1ELb1EEEEEvT2_T3_mT5_T4_T7_jPT6_SN_bb,@function
_ZN7rocprim6detail20lookback_scan_kernelILNS0_25lookback_scan_determinismE0ELb1ENS0_19wrapped_scan_configINS_14default_configEmEEN6hipcub22TransformInputIteratorImNS6_6CastOpImEEPmlEESA_NS6_3SumENS_12future_valueImSA_EEmNS0_19lookback_scan_stateImLb1ELb1EEEEEvT2_T3_mT5_T4_T7_jPT6_SN_bb: ; @_ZN7rocprim6detail20lookback_scan_kernelILNS0_25lookback_scan_determinismE0ELb1ENS0_19wrapped_scan_configINS_14default_configEmEEN6hipcub22TransformInputIteratorImNS6_6CastOpImEEPmlEESA_NS6_3SumENS_12future_valueImSA_EEmNS0_19lookback_scan_stateImLb1ELb1EEEEEvT2_T3_mT5_T4_T7_jPT6_SN_bb
; %bb.0:
	s_endpgm
	.section	.rodata,"a",@progbits
	.p2align	6, 0x0
	.amdhsa_kernel _ZN7rocprim6detail20lookback_scan_kernelILNS0_25lookback_scan_determinismE0ELb1ENS0_19wrapped_scan_configINS_14default_configEmEEN6hipcub22TransformInputIteratorImNS6_6CastOpImEEPmlEESA_NS6_3SumENS_12future_valueImSA_EEmNS0_19lookback_scan_stateImLb1ELb1EEEEEvT2_T3_mT5_T4_T7_jPT6_SN_bb
		.amdhsa_group_segment_fixed_size 0
		.amdhsa_private_segment_fixed_size 0
		.amdhsa_kernarg_size 84
		.amdhsa_user_sgpr_count 6
		.amdhsa_user_sgpr_private_segment_buffer 1
		.amdhsa_user_sgpr_dispatch_ptr 0
		.amdhsa_user_sgpr_queue_ptr 0
		.amdhsa_user_sgpr_kernarg_segment_ptr 1
		.amdhsa_user_sgpr_dispatch_id 0
		.amdhsa_user_sgpr_flat_scratch_init 0
		.amdhsa_user_sgpr_kernarg_preload_length 0
		.amdhsa_user_sgpr_kernarg_preload_offset 0
		.amdhsa_user_sgpr_private_segment_size 0
		.amdhsa_uses_dynamic_stack 0
		.amdhsa_system_sgpr_private_segment_wavefront_offset 0
		.amdhsa_system_sgpr_workgroup_id_x 1
		.amdhsa_system_sgpr_workgroup_id_y 0
		.amdhsa_system_sgpr_workgroup_id_z 0
		.amdhsa_system_sgpr_workgroup_info 0
		.amdhsa_system_vgpr_workitem_id 0
		.amdhsa_next_free_vgpr 1
		.amdhsa_next_free_sgpr 0
		.amdhsa_accum_offset 4
		.amdhsa_reserve_vcc 0
		.amdhsa_reserve_flat_scratch 0
		.amdhsa_float_round_mode_32 0
		.amdhsa_float_round_mode_16_64 0
		.amdhsa_float_denorm_mode_32 3
		.amdhsa_float_denorm_mode_16_64 3
		.amdhsa_dx10_clamp 1
		.amdhsa_ieee_mode 1
		.amdhsa_fp16_overflow 0
		.amdhsa_tg_split 0
		.amdhsa_exception_fp_ieee_invalid_op 0
		.amdhsa_exception_fp_denorm_src 0
		.amdhsa_exception_fp_ieee_div_zero 0
		.amdhsa_exception_fp_ieee_overflow 0
		.amdhsa_exception_fp_ieee_underflow 0
		.amdhsa_exception_fp_ieee_inexact 0
		.amdhsa_exception_int_div_zero 0
	.end_amdhsa_kernel
	.section	.text._ZN7rocprim6detail20lookback_scan_kernelILNS0_25lookback_scan_determinismE0ELb1ENS0_19wrapped_scan_configINS_14default_configEmEEN6hipcub22TransformInputIteratorImNS6_6CastOpImEEPmlEESA_NS6_3SumENS_12future_valueImSA_EEmNS0_19lookback_scan_stateImLb1ELb1EEEEEvT2_T3_mT5_T4_T7_jPT6_SN_bb,"axG",@progbits,_ZN7rocprim6detail20lookback_scan_kernelILNS0_25lookback_scan_determinismE0ELb1ENS0_19wrapped_scan_configINS_14default_configEmEEN6hipcub22TransformInputIteratorImNS6_6CastOpImEEPmlEESA_NS6_3SumENS_12future_valueImSA_EEmNS0_19lookback_scan_stateImLb1ELb1EEEEEvT2_T3_mT5_T4_T7_jPT6_SN_bb,comdat
.Lfunc_end154:
	.size	_ZN7rocprim6detail20lookback_scan_kernelILNS0_25lookback_scan_determinismE0ELb1ENS0_19wrapped_scan_configINS_14default_configEmEEN6hipcub22TransformInputIteratorImNS6_6CastOpImEEPmlEESA_NS6_3SumENS_12future_valueImSA_EEmNS0_19lookback_scan_stateImLb1ELb1EEEEEvT2_T3_mT5_T4_T7_jPT6_SN_bb, .Lfunc_end154-_ZN7rocprim6detail20lookback_scan_kernelILNS0_25lookback_scan_determinismE0ELb1ENS0_19wrapped_scan_configINS_14default_configEmEEN6hipcub22TransformInputIteratorImNS6_6CastOpImEEPmlEESA_NS6_3SumENS_12future_valueImSA_EEmNS0_19lookback_scan_stateImLb1ELb1EEEEEvT2_T3_mT5_T4_T7_jPT6_SN_bb
                                        ; -- End function
	.section	.AMDGPU.csdata,"",@progbits
; Kernel info:
; codeLenInByte = 4
; NumSgprs: 4
; NumVgprs: 0
; NumAgprs: 0
; TotalNumVgprs: 0
; ScratchSize: 0
; MemoryBound: 0
; FloatMode: 240
; IeeeMode: 1
; LDSByteSize: 0 bytes/workgroup (compile time only)
; SGPRBlocks: 0
; VGPRBlocks: 0
; NumSGPRsForWavesPerEU: 4
; NumVGPRsForWavesPerEU: 1
; AccumOffset: 4
; Occupancy: 8
; WaveLimiterHint : 0
; COMPUTE_PGM_RSRC2:SCRATCH_EN: 0
; COMPUTE_PGM_RSRC2:USER_SGPR: 6
; COMPUTE_PGM_RSRC2:TRAP_HANDLER: 0
; COMPUTE_PGM_RSRC2:TGID_X_EN: 1
; COMPUTE_PGM_RSRC2:TGID_Y_EN: 0
; COMPUTE_PGM_RSRC2:TGID_Z_EN: 0
; COMPUTE_PGM_RSRC2:TIDIG_COMP_CNT: 0
; COMPUTE_PGM_RSRC3_GFX90A:ACCUM_OFFSET: 0
; COMPUTE_PGM_RSRC3_GFX90A:TG_SPLIT: 0
	.section	.text._ZN7rocprim6detail20lookback_scan_kernelILNS0_25lookback_scan_determinismE0ELb1ENS0_19wrapped_scan_configINS_14default_configEmEEN6hipcub22TransformInputIteratorImNS6_6CastOpImEEPmlEESA_NS6_3SumENS_12future_valueImSA_EEmNS0_19lookback_scan_stateImLb0ELb1EEEEEvT2_T3_mT5_T4_T7_jPT6_SN_bb,"axG",@progbits,_ZN7rocprim6detail20lookback_scan_kernelILNS0_25lookback_scan_determinismE0ELb1ENS0_19wrapped_scan_configINS_14default_configEmEEN6hipcub22TransformInputIteratorImNS6_6CastOpImEEPmlEESA_NS6_3SumENS_12future_valueImSA_EEmNS0_19lookback_scan_stateImLb0ELb1EEEEEvT2_T3_mT5_T4_T7_jPT6_SN_bb,comdat
	.protected	_ZN7rocprim6detail20lookback_scan_kernelILNS0_25lookback_scan_determinismE0ELb1ENS0_19wrapped_scan_configINS_14default_configEmEEN6hipcub22TransformInputIteratorImNS6_6CastOpImEEPmlEESA_NS6_3SumENS_12future_valueImSA_EEmNS0_19lookback_scan_stateImLb0ELb1EEEEEvT2_T3_mT5_T4_T7_jPT6_SN_bb ; -- Begin function _ZN7rocprim6detail20lookback_scan_kernelILNS0_25lookback_scan_determinismE0ELb1ENS0_19wrapped_scan_configINS_14default_configEmEEN6hipcub22TransformInputIteratorImNS6_6CastOpImEEPmlEESA_NS6_3SumENS_12future_valueImSA_EEmNS0_19lookback_scan_stateImLb0ELb1EEEEEvT2_T3_mT5_T4_T7_jPT6_SN_bb
	.globl	_ZN7rocprim6detail20lookback_scan_kernelILNS0_25lookback_scan_determinismE0ELb1ENS0_19wrapped_scan_configINS_14default_configEmEEN6hipcub22TransformInputIteratorImNS6_6CastOpImEEPmlEESA_NS6_3SumENS_12future_valueImSA_EEmNS0_19lookback_scan_stateImLb0ELb1EEEEEvT2_T3_mT5_T4_T7_jPT6_SN_bb
	.p2align	8
	.type	_ZN7rocprim6detail20lookback_scan_kernelILNS0_25lookback_scan_determinismE0ELb1ENS0_19wrapped_scan_configINS_14default_configEmEEN6hipcub22TransformInputIteratorImNS6_6CastOpImEEPmlEESA_NS6_3SumENS_12future_valueImSA_EEmNS0_19lookback_scan_stateImLb0ELb1EEEEEvT2_T3_mT5_T4_T7_jPT6_SN_bb,@function
_ZN7rocprim6detail20lookback_scan_kernelILNS0_25lookback_scan_determinismE0ELb1ENS0_19wrapped_scan_configINS_14default_configEmEEN6hipcub22TransformInputIteratorImNS6_6CastOpImEEPmlEESA_NS6_3SumENS_12future_valueImSA_EEmNS0_19lookback_scan_stateImLb0ELb1EEEEEvT2_T3_mT5_T4_T7_jPT6_SN_bb: ; @_ZN7rocprim6detail20lookback_scan_kernelILNS0_25lookback_scan_determinismE0ELb1ENS0_19wrapped_scan_configINS_14default_configEmEEN6hipcub22TransformInputIteratorImNS6_6CastOpImEEPmlEESA_NS6_3SumENS_12future_valueImSA_EEmNS0_19lookback_scan_stateImLb0ELb1EEEEEvT2_T3_mT5_T4_T7_jPT6_SN_bb
; %bb.0:
	s_load_dwordx2 s[0:1], s[4:5], 0x20
	s_load_dword s2, s[4:5], 0x38
	s_load_dwordx2 s[18:19], s[4:5], 0x0
	s_load_dwordx4 s[12:15], s[4:5], 0x10
	v_lshlrev_b32_e32 v58, 3, v0
	s_waitcnt lgkmcnt(0)
	s_load_dwordx2 s[20:21], s[0:1], 0x0
	s_add_i32 s2, s2, -1
	s_mul_i32 s3, s2, 0x540
	s_sub_u32 s24, s14, s3
	s_subb_u32 s25, s15, 0
	s_mul_i32 s0, s6, 0x540
	s_mov_b32 s1, 0
	s_cmp_lg_u32 s6, s2
	s_cselect_b64 s[14:15], -1, 0
	s_lshl_b64 s[16:17], s[0:1], 3
	s_add_u32 s8, s18, s16
	s_addc_u32 s9, s19, s17
	s_mov_b64 s[0:1], -1
	s_and_b64 vcc, exec, s[14:15]
	s_cbranch_vccz .LBB155_2
; %bb.1:
	v_mov_b32_e32 v1, s9
	v_add_co_u32_e32 v36, vcc, s8, v58
	v_addc_co_u32_e32 v1, vcc, 0, v1, vcc
	v_add_co_u32_e32 v18, vcc, 0x1000, v36
	v_addc_co_u32_e32 v19, vcc, 0, v1, vcc
	global_load_dwordx2 v[2:3], v58, s[8:9]
	global_load_dwordx2 v[4:5], v58, s[8:9] offset:512
	global_load_dwordx2 v[6:7], v58, s[8:9] offset:1024
	;; [unrolled: 1-line block ×7, first 2 shown]
	global_load_dwordx2 v[20:21], v[18:19], off
	global_load_dwordx2 v[22:23], v[18:19], off offset:512
	global_load_dwordx2 v[24:25], v[18:19], off offset:1024
	global_load_dwordx2 v[26:27], v[18:19], off offset:1536
	global_load_dwordx2 v[28:29], v[18:19], off offset:2048
	global_load_dwordx2 v[30:31], v[18:19], off offset:2560
	global_load_dwordx2 v[32:33], v[18:19], off offset:3072
	global_load_dwordx2 v[34:35], v[18:19], off offset:3584
	v_add_co_u32_e32 v18, vcc, 0x2000, v36
	v_addc_co_u32_e32 v19, vcc, 0, v1, vcc
	global_load_dwordx2 v[36:37], v[18:19], off
	global_load_dwordx2 v[38:39], v[18:19], off offset:512
	global_load_dwordx2 v[40:41], v[18:19], off offset:1024
	;; [unrolled: 1-line block ×4, first 2 shown]
	s_mov_b64 s[0:1], 0
	s_waitcnt vmcnt(19)
	ds_write2st64_b64 v58, v[2:3], v[4:5] offset1:1
	s_waitcnt vmcnt(17)
	ds_write2st64_b64 v58, v[6:7], v[8:9] offset0:2 offset1:3
	s_waitcnt vmcnt(15)
	ds_write2st64_b64 v58, v[10:11], v[12:13] offset0:4 offset1:5
	;; [unrolled: 2-line block ×9, first 2 shown]
	s_waitcnt vmcnt(0)
	ds_write_b64 v58, v[44:45] offset:10240
	s_waitcnt lgkmcnt(0)
	; wave barrier
.LBB155_2:
	s_andn2_b64 vcc, exec, s[0:1]
	v_cmp_gt_u32_e64 s[0:1], s24, v0
	s_cbranch_vccnz .LBB155_46
; %bb.3:
	s_load_dwordx2 s[2:3], s[8:9], 0x0
	v_mov_b32_e32 v1, s9
	v_add_co_u32_e32 v4, vcc, s8, v58
	v_addc_co_u32_e32 v5, vcc, 0, v1, vcc
	s_waitcnt lgkmcnt(0)
	v_pk_mov_b32 v[2:3], s[2:3], s[2:3] op_sel:[0,1]
	s_and_saveexec_b64 s[8:9], s[0:1]
	s_cbranch_execz .LBB155_5
; %bb.4:
	global_load_dwordx2 v[2:3], v[4:5], off
.LBB155_5:
	s_or_b64 exec, exec, s[8:9]
	v_or_b32_e32 v1, 64, v0
	v_cmp_gt_u32_e32 vcc, s24, v1
	v_pk_mov_b32 v[6:7], s[2:3], s[2:3] op_sel:[0,1]
	s_and_saveexec_b64 s[0:1], vcc
	s_cbranch_execz .LBB155_7
; %bb.6:
	global_load_dwordx2 v[6:7], v[4:5], off offset:512
.LBB155_7:
	s_or_b64 exec, exec, s[0:1]
	v_or_b32_e32 v1, 0x80, v0
	v_cmp_gt_u32_e32 vcc, s24, v1
	v_pk_mov_b32 v[8:9], s[2:3], s[2:3] op_sel:[0,1]
	s_and_saveexec_b64 s[0:1], vcc
	s_cbranch_execz .LBB155_9
; %bb.8:
	global_load_dwordx2 v[8:9], v[4:5], off offset:1024
.LBB155_9:
	;; [unrolled: 9-line block ×7, first 2 shown]
	s_or_b64 exec, exec, s[0:1]
	v_or_b32_e32 v1, 0x200, v0
	v_cmp_gt_u32_e32 vcc, s24, v1
	v_pk_mov_b32 v[20:21], s[2:3], s[2:3] op_sel:[0,1]
	s_and_saveexec_b64 s[0:1], vcc
	s_cbranch_execz .LBB155_21
; %bb.20:
	v_add_co_u32_e32 v20, vcc, 0x1000, v4
	v_addc_co_u32_e32 v21, vcc, 0, v5, vcc
	global_load_dwordx2 v[20:21], v[20:21], off
.LBB155_21:
	s_or_b64 exec, exec, s[0:1]
	v_or_b32_e32 v1, 0x240, v0
	v_cmp_gt_u32_e32 vcc, s24, v1
	v_pk_mov_b32 v[22:23], s[2:3], s[2:3] op_sel:[0,1]
	s_and_saveexec_b64 s[0:1], vcc
	s_cbranch_execz .LBB155_23
; %bb.22:
	v_add_co_u32_e32 v22, vcc, 0x1000, v4
	v_addc_co_u32_e32 v23, vcc, 0, v5, vcc
	global_load_dwordx2 v[22:23], v[22:23], off offset:512
.LBB155_23:
	s_or_b64 exec, exec, s[0:1]
	v_or_b32_e32 v1, 0x280, v0
	v_cmp_gt_u32_e32 vcc, s24, v1
	v_pk_mov_b32 v[24:25], s[2:3], s[2:3] op_sel:[0,1]
	s_and_saveexec_b64 s[0:1], vcc
	s_cbranch_execz .LBB155_25
; %bb.24:
	v_add_co_u32_e32 v24, vcc, 0x1000, v4
	v_addc_co_u32_e32 v25, vcc, 0, v5, vcc
	global_load_dwordx2 v[24:25], v[24:25], off offset:1024
.LBB155_25:
	;; [unrolled: 11-line block ×7, first 2 shown]
	s_or_b64 exec, exec, s[0:1]
	v_or_b32_e32 v1, 0x400, v0
	v_cmp_gt_u32_e32 vcc, s24, v1
	v_pk_mov_b32 v[36:37], s[2:3], s[2:3] op_sel:[0,1]
	s_and_saveexec_b64 s[0:1], vcc
	s_cbranch_execz .LBB155_37
; %bb.36:
	v_add_co_u32_e32 v36, vcc, 0x2000, v4
	v_addc_co_u32_e32 v37, vcc, 0, v5, vcc
	global_load_dwordx2 v[36:37], v[36:37], off
.LBB155_37:
	s_or_b64 exec, exec, s[0:1]
	v_or_b32_e32 v1, 0x440, v0
	v_cmp_gt_u32_e32 vcc, s24, v1
	v_pk_mov_b32 v[38:39], s[2:3], s[2:3] op_sel:[0,1]
	s_and_saveexec_b64 s[0:1], vcc
	s_cbranch_execz .LBB155_39
; %bb.38:
	v_add_co_u32_e32 v38, vcc, 0x2000, v4
	v_addc_co_u32_e32 v39, vcc, 0, v5, vcc
	global_load_dwordx2 v[38:39], v[38:39], off offset:512
.LBB155_39:
	s_or_b64 exec, exec, s[0:1]
	v_or_b32_e32 v1, 0x480, v0
	v_cmp_gt_u32_e32 vcc, s24, v1
	v_pk_mov_b32 v[40:41], s[2:3], s[2:3] op_sel:[0,1]
	s_and_saveexec_b64 s[0:1], vcc
	s_cbranch_execz .LBB155_41
; %bb.40:
	v_add_co_u32_e32 v40, vcc, 0x2000, v4
	v_addc_co_u32_e32 v41, vcc, 0, v5, vcc
	global_load_dwordx2 v[40:41], v[40:41], off offset:1024
.LBB155_41:
	;; [unrolled: 11-line block ×4, first 2 shown]
	s_or_b64 exec, exec, s[0:1]
	s_waitcnt vmcnt(0)
	ds_write2st64_b64 v58, v[2:3], v[6:7] offset1:1
	ds_write2st64_b64 v58, v[8:9], v[10:11] offset0:2 offset1:3
	ds_write2st64_b64 v58, v[12:13], v[14:15] offset0:4 offset1:5
	;; [unrolled: 1-line block ×9, first 2 shown]
	ds_write_b64 v58, v[44:45] offset:10240
	s_waitcnt lgkmcnt(0)
	; wave barrier
.LBB155_46:
	v_mul_u32_u24_e32 v59, 21, v0
	v_lshlrev_b32_e32 v1, 3, v59
	s_waitcnt lgkmcnt(0)
	ds_read2_b64 v[38:41], v1 offset1:1
	ds_read2_b64 v[34:37], v1 offset0:2 offset1:3
	ds_read2_b64 v[30:33], v1 offset0:4 offset1:5
	;; [unrolled: 1-line block ×9, first 2 shown]
	ds_read_b64 v[50:51], v1 offset:160
	s_load_dwordx2 s[22:23], s[4:5], 0x30
	s_cmp_lg_u32 s6, 0
	v_mbcnt_lo_u32_b32 v60, -1, 0
	s_waitcnt lgkmcnt(0)
	; wave barrier
	s_waitcnt lgkmcnt(0)
	s_cbranch_scc0 .LBB155_71
; %bb.47:
	v_add_co_u32_e32 v1, vcc, v40, v38
	v_addc_co_u32_e32 v42, vcc, v41, v39, vcc
	v_add_co_u32_e32 v1, vcc, v1, v34
	v_addc_co_u32_e32 v42, vcc, v42, v35, vcc
	v_add_co_u32_e32 v1, vcc, v1, v36
	v_addc_co_u32_e32 v42, vcc, v42, v37, vcc
	v_add_co_u32_e32 v1, vcc, v1, v30
	v_addc_co_u32_e32 v42, vcc, v42, v31, vcc
	v_add_co_u32_e32 v1, vcc, v1, v32
	v_addc_co_u32_e32 v42, vcc, v42, v33, vcc
	v_add_co_u32_e32 v1, vcc, v1, v26
	v_addc_co_u32_e32 v42, vcc, v42, v27, vcc
	v_add_co_u32_e32 v1, vcc, v1, v28
	v_addc_co_u32_e32 v42, vcc, v42, v29, vcc
	v_add_co_u32_e32 v1, vcc, v1, v22
	v_addc_co_u32_e32 v42, vcc, v42, v23, vcc
	v_add_co_u32_e32 v1, vcc, v1, v24
	v_addc_co_u32_e32 v42, vcc, v42, v25, vcc
	v_add_co_u32_e32 v1, vcc, v1, v18
	v_addc_co_u32_e32 v42, vcc, v42, v19, vcc
	v_add_co_u32_e32 v1, vcc, v1, v20
	v_addc_co_u32_e32 v42, vcc, v42, v21, vcc
	v_add_co_u32_e32 v1, vcc, v1, v14
	v_addc_co_u32_e32 v42, vcc, v42, v15, vcc
	v_add_co_u32_e32 v1, vcc, v1, v16
	v_addc_co_u32_e32 v42, vcc, v42, v17, vcc
	v_add_co_u32_e32 v1, vcc, v1, v10
	v_addc_co_u32_e32 v42, vcc, v42, v11, vcc
	v_add_co_u32_e32 v1, vcc, v1, v12
	v_addc_co_u32_e32 v42, vcc, v42, v13, vcc
	v_add_co_u32_e32 v1, vcc, v1, v6
	v_addc_co_u32_e32 v42, vcc, v42, v7, vcc
	v_add_co_u32_e32 v1, vcc, v1, v8
	v_addc_co_u32_e32 v42, vcc, v42, v9, vcc
	v_add_co_u32_e32 v1, vcc, v1, v2
	v_addc_co_u32_e32 v42, vcc, v42, v3, vcc
	v_add_co_u32_e32 v1, vcc, v1, v4
	v_addc_co_u32_e32 v43, vcc, v42, v5, vcc
	v_add_co_u32_e32 v42, vcc, v1, v50
	v_addc_co_u32_e32 v43, vcc, v43, v51, vcc
	s_nop 0
	v_mov_b32_dpp v44, v42 row_shr:1 row_mask:0xf bank_mask:0xf
	v_add_co_u32_e32 v44, vcc, v42, v44
	v_addc_co_u32_e32 v46, vcc, 0, v43, vcc
	v_mbcnt_hi_u32_b32 v56, -1, v60
	v_mov_b32_dpp v45, v43 row_shr:1 row_mask:0xf bank_mask:0xf
	v_add_co_u32_e32 v47, vcc, 0, v44
	v_and_b32_e32 v1, 15, v56
	v_addc_co_u32_e32 v45, vcc, v45, v46, vcc
	v_cmp_eq_u32_e32 vcc, 0, v1
	v_cndmask_b32_e32 v44, v44, v42, vcc
	v_cndmask_b32_e32 v45, v45, v43, vcc
	v_cndmask_b32_e32 v46, v47, v42, vcc
	v_mov_b32_dpp v47, v44 row_shr:2 row_mask:0xf bank_mask:0xf
	v_mov_b32_dpp v48, v45 row_shr:2 row_mask:0xf bank_mask:0xf
	v_add_co_u32_e32 v47, vcc, v47, v46
	v_addc_co_u32_e32 v48, vcc, v48, v45, vcc
	v_cmp_lt_u32_e32 vcc, 1, v1
	v_cndmask_b32_e32 v44, v44, v47, vcc
	v_cndmask_b32_e32 v45, v45, v48, vcc
	v_cndmask_b32_e32 v46, v46, v47, vcc
	v_mov_b32_dpp v47, v44 row_shr:4 row_mask:0xf bank_mask:0xf
	v_mov_b32_dpp v48, v45 row_shr:4 row_mask:0xf bank_mask:0xf
	v_add_co_u32_e32 v47, vcc, v47, v46
	v_addc_co_u32_e32 v48, vcc, v48, v45, vcc
	v_cmp_lt_u32_e32 vcc, 3, v1
	;; [unrolled: 8-line block ×3, first 2 shown]
	v_cndmask_b32_e32 v49, v44, v47, vcc
	v_cndmask_b32_e32 v1, v45, v48, vcc
	;; [unrolled: 1-line block ×3, first 2 shown]
	v_mov_b32_dpp v45, v49 row_bcast:15 row_mask:0xf bank_mask:0xf
	v_mov_b32_dpp v46, v1 row_bcast:15 row_mask:0xf bank_mask:0xf
	v_add_co_u32_e32 v45, vcc, v45, v44
	v_and_b32_e32 v48, 16, v56
	v_addc_co_u32_e32 v47, vcc, v46, v1, vcc
	v_cmp_eq_u32_e32 vcc, 0, v48
	v_cndmask_b32_e32 v48, v47, v1, vcc
	v_cndmask_b32_e32 v46, v45, v49, vcc
	v_cmp_eq_u32_e64 s[0:1], 0, v56
	v_mov_b32_dpp v48, v48 row_bcast:31 row_mask:0xf bank_mask:0xf
	v_mov_b32_dpp v46, v46 row_bcast:31 row_mask:0xf bank_mask:0xf
	v_cmp_ne_u32_e64 s[2:3], 0, v56
	s_and_saveexec_b64 s[8:9], s[2:3]
; %bb.48:
	v_cndmask_b32_e32 v1, v47, v1, vcc
	v_cndmask_b32_e32 v42, v45, v44, vcc
	v_cmp_lt_u32_e32 vcc, 31, v56
	v_cndmask_b32_e32 v44, 0, v46, vcc
	v_cndmask_b32_e32 v43, 0, v48, vcc
	v_add_co_u32_e32 v42, vcc, v44, v42
	v_addc_co_u32_e32 v43, vcc, v43, v1, vcc
; %bb.49:
	s_or_b64 exec, exec, s[8:9]
	v_cmp_eq_u32_e32 vcc, 63, v0
	s_and_saveexec_b64 s[2:3], vcc
	s_cbranch_execz .LBB155_51
; %bb.50:
	v_mov_b32_e32 v1, 0
	ds_write_b64 v1, v[42:43]
.LBB155_51:
	s_or_b64 exec, exec, s[2:3]
	v_add_u32_e32 v1, -1, v56
	v_and_b32_e32 v44, 64, v56
	v_cmp_lt_i32_e32 vcc, v1, v44
	v_cndmask_b32_e32 v1, v1, v56, vcc
	v_lshlrev_b32_e32 v44, 2, v1
	ds_bpermute_b32 v1, v44, v42
	ds_bpermute_b32 v61, v44, v43
	v_cmp_gt_u32_e32 vcc, 64, v0
	s_waitcnt lgkmcnt(0)
	; wave barrier
	s_waitcnt lgkmcnt(0)
	s_and_saveexec_b64 s[10:11], vcc
	s_cbranch_execz .LBB155_70
; %bb.52:
	v_mov_b32_e32 v45, 0
	ds_read_b64 v[42:43], v45
	s_and_saveexec_b64 s[2:3], s[0:1]
	s_cbranch_execz .LBB155_54
; %bb.53:
	s_add_i32 s8, s6, 64
	s_mov_b32 s9, 0
	s_lshl_b64 s[8:9], s[8:9], 4
	s_add_u32 s8, s22, s8
	s_addc_u32 s9, s23, s9
	v_mov_b32_e32 v44, 1
	v_pk_mov_b32 v[46:47], s[8:9], s[8:9] op_sel:[0,1]
	s_waitcnt lgkmcnt(0)
	;;#ASMSTART
	global_store_dwordx4 v[46:47], v[42:45] off	
s_waitcnt vmcnt(0)
	;;#ASMEND
.LBB155_54:
	s_or_b64 exec, exec, s[2:3]
	v_xad_u32 v52, v56, -1, s6
	v_add_u32_e32 v44, 64, v52
	v_lshlrev_b64 v[46:47], 4, v[44:45]
	v_mov_b32_e32 v44, s23
	v_add_co_u32_e32 v54, vcc, s22, v46
	v_addc_co_u32_e32 v55, vcc, v44, v47, vcc
	;;#ASMSTART
	global_load_dwordx4 v[46:49], v[54:55] off glc	
s_waitcnt vmcnt(0)
	;;#ASMEND
	v_cmp_eq_u16_sdwa s[8:9], v48, v45 src0_sel:BYTE_0 src1_sel:DWORD
	s_and_saveexec_b64 s[2:3], s[8:9]
	s_cbranch_execz .LBB155_58
; %bb.55:
	s_mov_b64 s[8:9], 0
	v_mov_b32_e32 v44, 0
.LBB155_56:                             ; =>This Inner Loop Header: Depth=1
	;;#ASMSTART
	global_load_dwordx4 v[46:49], v[54:55] off glc	
s_waitcnt vmcnt(0)
	;;#ASMEND
	v_cmp_ne_u16_sdwa s[26:27], v48, v44 src0_sel:BYTE_0 src1_sel:DWORD
	s_or_b64 s[8:9], s[26:27], s[8:9]
	s_andn2_b64 exec, exec, s[8:9]
	s_cbranch_execnz .LBB155_56
; %bb.57:
	s_or_b64 exec, exec, s[8:9]
.LBB155_58:
	s_or_b64 exec, exec, s[2:3]
	v_mov_b32_e32 v62, 2
	v_cmp_eq_u16_sdwa s[2:3], v48, v62 src0_sel:BYTE_0 src1_sel:DWORD
	v_lshlrev_b64 v[44:45], v56, -1
	v_and_b32_e32 v49, s3, v45
	v_or_b32_e32 v49, 0x80000000, v49
	v_and_b32_e32 v53, s2, v44
	v_ffbl_b32_e32 v49, v49
	v_and_b32_e32 v54, 63, v56
	v_add_u32_e32 v49, 32, v49
	v_ffbl_b32_e32 v53, v53
	v_cmp_ne_u32_e32 vcc, 63, v54
	v_min_u32_e32 v49, v53, v49
	v_addc_co_u32_e32 v53, vcc, 0, v56, vcc
	v_lshlrev_b32_e32 v63, 2, v53
	ds_bpermute_b32 v55, v63, v46
	ds_bpermute_b32 v57, v63, v47
	v_cmp_gt_u32_e64 s[2:3], 62, v54
	v_add_u32_e32 v64, 1, v56
	v_cmp_gt_u32_e64 s[8:9], 60, v54
	s_waitcnt lgkmcnt(1)
	v_add_co_u32_e32 v55, vcc, v46, v55
	v_addc_co_u32_e32 v65, vcc, 0, v47, vcc
	v_add_co_u32_e32 v66, vcc, 0, v55
	s_waitcnt lgkmcnt(0)
	v_addc_co_u32_e32 v57, vcc, v57, v65, vcc
	v_cndmask_b32_e64 v65, 0, 1, s[2:3]
	v_cmp_le_u32_e32 vcc, v64, v49
	v_lshlrev_b32_e32 v65, 1, v65
	v_cndmask_b32_e32 v55, v46, v55, vcc
	v_add_lshl_u32 v65, v65, v56, 2
	v_cndmask_b32_e32 v57, v47, v57, vcc
	ds_bpermute_b32 v67, v65, v55
	ds_bpermute_b32 v69, v65, v57
	v_cndmask_b32_e32 v68, v46, v66, vcc
	v_add_u32_e32 v66, 2, v56
	v_mov_b32_e32 v53, 0
	s_waitcnt lgkmcnt(1)
	v_add_co_u32_e64 v67, s[2:3], v67, v68
	s_waitcnt lgkmcnt(0)
	v_addc_co_u32_e64 v69, s[2:3], v69, v57, s[2:3]
	v_cmp_le_u32_e64 s[2:3], v66, v49
	v_cndmask_b32_e64 v55, v55, v67, s[2:3]
	v_cndmask_b32_e64 v57, v57, v69, s[2:3]
	;; [unrolled: 1-line block ×4, first 2 shown]
	v_lshlrev_b32_e32 v67, 2, v67
	v_add_lshl_u32 v67, v67, v56, 2
	ds_bpermute_b32 v70, v67, v55
	ds_bpermute_b32 v71, v67, v57
	s_or_b64 s[8:9], vcc, s[2:3]
	v_add_u32_e32 v68, 4, v56
	v_cmp_gt_u32_e64 s[2:3], 56, v54
	s_waitcnt lgkmcnt(1)
	v_add_co_u32_e32 v70, vcc, v70, v69
	s_waitcnt lgkmcnt(0)
	v_addc_co_u32_e32 v71, vcc, v71, v57, vcc
	v_cmp_le_u32_e32 vcc, v68, v49
	v_cndmask_b32_e32 v57, v57, v71, vcc
	v_cndmask_b32_e32 v71, v69, v70, vcc
	v_cndmask_b32_e64 v69, 0, 1, s[2:3]
	v_lshlrev_b32_e32 v69, 3, v69
	v_cndmask_b32_e32 v55, v55, v70, vcc
	v_add_lshl_u32 v69, v69, v56, 2
	ds_bpermute_b32 v72, v69, v55
	ds_bpermute_b32 v73, v69, v57
	s_or_b64 s[8:9], vcc, s[8:9]
	v_add_u32_e32 v70, 8, v56
	v_cmp_gt_u32_e64 s[2:3], 48, v54
	s_waitcnt lgkmcnt(1)
	v_add_co_u32_e32 v72, vcc, v72, v71
	s_waitcnt lgkmcnt(0)
	v_addc_co_u32_e32 v73, vcc, v73, v57, vcc
	v_cmp_le_u32_e32 vcc, v70, v49
	v_cndmask_b32_e32 v75, v71, v72, vcc
	v_cndmask_b32_e64 v71, 0, 1, s[2:3]
	v_lshlrev_b32_e32 v71, 4, v71
	v_cndmask_b32_e32 v55, v55, v72, vcc
	v_add_lshl_u32 v71, v71, v56, 2
	v_cndmask_b32_e32 v57, v57, v73, vcc
	ds_bpermute_b32 v73, v71, v55
	ds_bpermute_b32 v74, v71, v57
	s_or_b64 s[2:3], vcc, s[8:9]
	v_add_u32_e32 v72, 16, v56
	s_waitcnt lgkmcnt(1)
	v_add_co_u32_e32 v76, vcc, v73, v75
	s_waitcnt lgkmcnt(0)
	v_addc_co_u32_e32 v74, vcc, v74, v57, vcc
	v_cmp_le_u32_e32 vcc, v72, v49
	s_or_b64 s[8:9], vcc, s[2:3]
	v_cmp_gt_u32_e64 s[2:3], 32, v54
	v_cndmask_b32_e64 v54, 0, 1, s[2:3]
	v_lshlrev_b32_e32 v54, 5, v54
	v_cndmask_b32_e32 v55, v55, v76, vcc
	v_add_lshl_u32 v73, v54, v56, 2
	v_cndmask_b32_e32 v54, v57, v74, vcc
	ds_bpermute_b32 v55, v73, v55
	ds_bpermute_b32 v57, v73, v54
	v_add_u32_e32 v74, 32, v56
	v_cndmask_b32_e32 v56, v75, v76, vcc
	v_cmp_le_u32_e32 vcc, v74, v49
	s_waitcnt lgkmcnt(1)
	v_cndmask_b32_e32 v55, 0, v55, vcc
	s_waitcnt lgkmcnt(0)
	v_cndmask_b32_e32 v49, 0, v57, vcc
	v_add_co_u32_e64 v55, s[2:3], v55, v56
	v_addc_co_u32_e64 v49, s[2:3], v49, v54, s[2:3]
	s_or_b64 vcc, vcc, s[8:9]
	v_cndmask_b32_e32 v47, v47, v49, vcc
	v_cndmask_b32_e32 v46, v46, v55, vcc
	s_branch .LBB155_60
.LBB155_59:                             ;   in Loop: Header=BB155_60 Depth=1
	s_or_b64 exec, exec, s[2:3]
	v_cmp_eq_u16_sdwa s[2:3], v48, v62 src0_sel:BYTE_0 src1_sel:DWORD
	v_and_b32_e32 v49, s3, v45
	v_or_b32_e32 v49, 0x80000000, v49
	ds_bpermute_b32 v57, v63, v46
	v_and_b32_e32 v56, s2, v44
	v_ffbl_b32_e32 v49, v49
	v_add_u32_e32 v49, 32, v49
	v_ffbl_b32_e32 v56, v56
	v_min_u32_e32 v49, v56, v49
	ds_bpermute_b32 v56, v63, v47
	s_waitcnt lgkmcnt(1)
	v_add_co_u32_e32 v57, vcc, v46, v57
	v_addc_co_u32_e32 v75, vcc, 0, v47, vcc
	v_add_co_u32_e32 v76, vcc, 0, v57
	s_waitcnt lgkmcnt(0)
	v_addc_co_u32_e32 v56, vcc, v56, v75, vcc
	v_cmp_le_u32_e32 vcc, v64, v49
	v_cndmask_b32_e32 v57, v46, v57, vcc
	ds_bpermute_b32 v75, v65, v57
	v_cndmask_b32_e32 v56, v47, v56, vcc
	ds_bpermute_b32 v77, v65, v56
	v_cndmask_b32_e32 v76, v46, v76, vcc
	v_subrev_u32_e32 v52, 64, v52
	s_waitcnt lgkmcnt(1)
	v_add_co_u32_e64 v75, s[2:3], v75, v76
	s_waitcnt lgkmcnt(0)
	v_addc_co_u32_e64 v77, s[2:3], v77, v56, s[2:3]
	v_cmp_le_u32_e64 s[2:3], v66, v49
	v_cndmask_b32_e64 v57, v57, v75, s[2:3]
	v_cndmask_b32_e64 v56, v56, v77, s[2:3]
	ds_bpermute_b32 v77, v67, v57
	v_cndmask_b32_e64 v75, v76, v75, s[2:3]
	ds_bpermute_b32 v76, v67, v56
	s_or_b64 s[2:3], vcc, s[2:3]
	s_waitcnt lgkmcnt(1)
	v_add_co_u32_e32 v77, vcc, v77, v75
	s_waitcnt lgkmcnt(0)
	v_addc_co_u32_e32 v76, vcc, v76, v56, vcc
	v_cmp_le_u32_e32 vcc, v68, v49
	v_cndmask_b32_e32 v57, v57, v77, vcc
	v_cndmask_b32_e32 v56, v56, v76, vcc
	ds_bpermute_b32 v76, v69, v57
	v_cndmask_b32_e32 v75, v75, v77, vcc
	ds_bpermute_b32 v77, v69, v56
	s_or_b64 s[2:3], vcc, s[2:3]
	s_waitcnt lgkmcnt(1)
	v_add_co_u32_e32 v76, vcc, v76, v75
	s_waitcnt lgkmcnt(0)
	v_addc_co_u32_e32 v77, vcc, v77, v56, vcc
	v_cmp_le_u32_e32 vcc, v70, v49
	v_cndmask_b32_e32 v57, v57, v76, vcc
	v_cndmask_b32_e32 v56, v56, v77, vcc
	ds_bpermute_b32 v77, v71, v57
	v_cndmask_b32_e32 v75, v75, v76, vcc
	ds_bpermute_b32 v76, v71, v56
	s_or_b64 s[2:3], vcc, s[2:3]
	s_waitcnt lgkmcnt(1)
	v_add_co_u32_e32 v77, vcc, v77, v75
	s_waitcnt lgkmcnt(0)
	v_addc_co_u32_e32 v76, vcc, v76, v56, vcc
	v_cmp_le_u32_e32 vcc, v72, v49
	v_cndmask_b32_e32 v57, v57, v77, vcc
	v_cndmask_b32_e32 v56, v56, v76, vcc
	ds_bpermute_b32 v57, v73, v57
	ds_bpermute_b32 v76, v73, v56
	s_or_b64 s[8:9], vcc, s[2:3]
	v_cndmask_b32_e32 v75, v75, v77, vcc
	v_cmp_le_u32_e32 vcc, v74, v49
	s_waitcnt lgkmcnt(1)
	v_cndmask_b32_e32 v57, 0, v57, vcc
	s_waitcnt lgkmcnt(0)
	v_cndmask_b32_e32 v49, 0, v76, vcc
	v_add_co_u32_e64 v57, s[2:3], v57, v75
	s_or_b64 vcc, vcc, s[8:9]
	v_addc_co_u32_e64 v49, s[2:3], v49, v56, s[2:3]
	v_cndmask_b32_e32 v46, v46, v57, vcc
	v_cndmask_b32_e32 v47, v47, v49, vcc
	v_add_co_u32_e32 v46, vcc, v46, v54
	v_addc_co_u32_e32 v47, vcc, v47, v55, vcc
.LBB155_60:                             ; =>This Loop Header: Depth=1
                                        ;     Child Loop BB155_63 Depth 2
	v_cmp_ne_u16_sdwa s[2:3], v48, v62 src0_sel:BYTE_0 src1_sel:DWORD
	v_cndmask_b32_e64 v48, 0, 1, s[2:3]
	;;#ASMSTART
	;;#ASMEND
	v_cmp_ne_u32_e32 vcc, 0, v48
	s_cmp_lg_u64 vcc, exec
	v_pk_mov_b32 v[54:55], v[46:47], v[46:47] op_sel:[0,1]
	s_cbranch_scc1 .LBB155_65
; %bb.61:                               ;   in Loop: Header=BB155_60 Depth=1
	v_lshlrev_b64 v[46:47], 4, v[52:53]
	v_mov_b32_e32 v48, s23
	v_add_co_u32_e32 v56, vcc, s22, v46
	v_addc_co_u32_e32 v57, vcc, v48, v47, vcc
	;;#ASMSTART
	global_load_dwordx4 v[46:49], v[56:57] off glc	
s_waitcnt vmcnt(0)
	;;#ASMEND
	v_cmp_eq_u16_sdwa s[8:9], v48, v53 src0_sel:BYTE_0 src1_sel:DWORD
	s_and_saveexec_b64 s[2:3], s[8:9]
	s_cbranch_execz .LBB155_59
; %bb.62:                               ;   in Loop: Header=BB155_60 Depth=1
	s_mov_b64 s[8:9], 0
.LBB155_63:                             ;   Parent Loop BB155_60 Depth=1
                                        ; =>  This Inner Loop Header: Depth=2
	;;#ASMSTART
	global_load_dwordx4 v[46:49], v[56:57] off glc	
s_waitcnt vmcnt(0)
	;;#ASMEND
	v_cmp_ne_u16_sdwa s[26:27], v48, v53 src0_sel:BYTE_0 src1_sel:DWORD
	s_or_b64 s[8:9], s[26:27], s[8:9]
	s_andn2_b64 exec, exec, s[8:9]
	s_cbranch_execnz .LBB155_63
; %bb.64:                               ;   in Loop: Header=BB155_60 Depth=1
	s_or_b64 exec, exec, s[8:9]
	s_branch .LBB155_59
.LBB155_65:                             ;   in Loop: Header=BB155_60 Depth=1
                                        ; implicit-def: $vgpr46_vgpr47
                                        ; implicit-def: $vgpr48
	s_cbranch_execz .LBB155_60
; %bb.66:
	s_and_saveexec_b64 s[2:3], s[0:1]
	s_cbranch_execz .LBB155_68
; %bb.67:
	s_add_i32 s0, s6, 64
	s_mov_b32 s1, 0
	s_lshl_b64 s[0:1], s[0:1], 4
	s_add_u32 s0, s22, s0
	v_add_co_u32_e32 v42, vcc, v54, v42
	s_addc_u32 s1, s23, s1
	v_addc_co_u32_e32 v43, vcc, v55, v43, vcc
	v_mov_b32_e32 v44, 2
	v_mov_b32_e32 v45, 0
	v_pk_mov_b32 v[46:47], s[0:1], s[0:1] op_sel:[0,1]
	;;#ASMSTART
	global_store_dwordx4 v[46:47], v[42:45] off	
s_waitcnt vmcnt(0)
	;;#ASMEND
.LBB155_68:
	s_or_b64 exec, exec, s[2:3]
	v_cmp_eq_u32_e32 vcc, 0, v0
	s_and_b64 exec, exec, vcc
	s_cbranch_execz .LBB155_70
; %bb.69:
	v_mov_b32_e32 v42, 0
	ds_write_b64 v42, v[54:55]
.LBB155_70:
	s_or_b64 exec, exec, s[10:11]
	v_mov_b32_e32 v42, 0
	s_waitcnt lgkmcnt(0)
	; wave barrier
	s_waitcnt lgkmcnt(0)
	ds_read_b64 v[42:43], v42
	v_cmp_ne_u32_e32 vcc, 0, v0
	v_cndmask_b32_e32 v1, 0, v1, vcc
	v_cndmask_b32_e32 v44, 0, v61, vcc
	s_waitcnt lgkmcnt(0)
	v_add_co_u32_e32 v42, vcc, v42, v1
	v_addc_co_u32_e32 v43, vcc, v43, v44, vcc
	s_load_dwordx4 s[8:11], s[4:5], 0x40
	s_branch .LBB155_81
.LBB155_71:
                                        ; implicit-def: $vgpr42_vgpr43
	s_load_dwordx4 s[8:11], s[4:5], 0x40
	s_cbranch_execz .LBB155_81
; %bb.72:
	s_load_dword s0, s[4:5], 0x50
	v_pk_mov_b32 v[44:45], s[20:21], s[20:21] op_sel:[0,1]
	s_waitcnt lgkmcnt(0)
	s_bitcmp0_b32 s0, 0
	s_cbranch_scc1 .LBB155_74
; %bb.73:
	v_mov_b32_e32 v1, 0
	global_load_dwordx2 v[42:43], v1, s[18:19] offset:-8
	s_load_dwordx2 s[0:1], s[8:9], 0x0
	s_waitcnt lgkmcnt(0)
	v_mov_b32_e32 v1, s1
	s_waitcnt vmcnt(0)
	v_add_co_u32_e32 v44, vcc, s0, v42
	v_addc_co_u32_e32 v45, vcc, v1, v43, vcc
.LBB155_74:
	v_add_co_u32_e32 v1, vcc, v40, v38
	v_addc_co_u32_e32 v42, vcc, v41, v39, vcc
	v_add_co_u32_e32 v1, vcc, v1, v34
	v_addc_co_u32_e32 v42, vcc, v42, v35, vcc
	;; [unrolled: 2-line block ×20, first 2 shown]
	s_nop 0
	v_mov_b32_dpp v46, v42 row_shr:1 row_mask:0xf bank_mask:0xf
	v_add_co_u32_e32 v46, vcc, v42, v46
	v_addc_co_u32_e32 v49, vcc, 0, v43, vcc
	v_mbcnt_hi_u32_b32 v47, -1, v60
	v_mov_b32_dpp v48, v43 row_shr:1 row_mask:0xf bank_mask:0xf
	v_add_co_u32_e32 v50, vcc, 0, v46
	v_and_b32_e32 v1, 15, v47
	v_addc_co_u32_e32 v48, vcc, v48, v49, vcc
	v_cmp_eq_u32_e32 vcc, 0, v1
	v_cndmask_b32_e32 v46, v46, v42, vcc
	v_cndmask_b32_e32 v48, v48, v43, vcc
	v_cndmask_b32_e32 v49, v50, v42, vcc
	v_mov_b32_dpp v50, v46 row_shr:2 row_mask:0xf bank_mask:0xf
	v_mov_b32_dpp v51, v48 row_shr:2 row_mask:0xf bank_mask:0xf
	v_add_co_u32_e32 v50, vcc, v50, v49
	v_addc_co_u32_e32 v51, vcc, v51, v48, vcc
	v_cmp_lt_u32_e32 vcc, 1, v1
	v_cndmask_b32_e32 v46, v46, v50, vcc
	v_cndmask_b32_e32 v48, v48, v51, vcc
	v_cndmask_b32_e32 v49, v49, v50, vcc
	v_mov_b32_dpp v50, v46 row_shr:4 row_mask:0xf bank_mask:0xf
	v_mov_b32_dpp v51, v48 row_shr:4 row_mask:0xf bank_mask:0xf
	v_add_co_u32_e32 v50, vcc, v50, v49
	v_addc_co_u32_e32 v51, vcc, v51, v48, vcc
	v_cmp_lt_u32_e32 vcc, 3, v1
	;; [unrolled: 8-line block ×3, first 2 shown]
	v_cndmask_b32_e32 v52, v46, v50, vcc
	v_cndmask_b32_e32 v1, v48, v51, vcc
	;; [unrolled: 1-line block ×3, first 2 shown]
	v_mov_b32_dpp v48, v52 row_bcast:15 row_mask:0xf bank_mask:0xf
	v_mov_b32_dpp v49, v1 row_bcast:15 row_mask:0xf bank_mask:0xf
	v_and_b32_e32 v51, 16, v47
	v_add_co_u32_e32 v48, vcc, v48, v46
	v_addc_co_u32_e32 v50, vcc, v49, v1, vcc
	v_cmp_eq_u32_e64 s[0:1], 0, v51
	v_cndmask_b32_e64 v51, v50, v1, s[0:1]
	v_cndmask_b32_e64 v49, v48, v52, s[0:1]
	v_cmp_eq_u32_e32 vcc, 0, v47
	v_mov_b32_dpp v51, v51 row_bcast:31 row_mask:0xf bank_mask:0xf
	v_mov_b32_dpp v49, v49 row_bcast:31 row_mask:0xf bank_mask:0xf
	v_cmp_ne_u32_e64 s[2:3], 0, v47
	s_and_saveexec_b64 s[6:7], s[2:3]
; %bb.75:
	v_cndmask_b32_e64 v1, v50, v1, s[0:1]
	v_cndmask_b32_e64 v42, v48, v46, s[0:1]
	v_cmp_lt_u32_e64 s[0:1], 31, v47
	v_cndmask_b32_e64 v46, 0, v49, s[0:1]
	v_cndmask_b32_e64 v43, 0, v51, s[0:1]
	v_add_co_u32_e64 v42, s[0:1], v46, v42
	v_addc_co_u32_e64 v43, s[0:1], v43, v1, s[0:1]
; %bb.76:
	s_or_b64 exec, exec, s[6:7]
	v_cmp_eq_u32_e64 s[0:1], 63, v0
	s_and_saveexec_b64 s[2:3], s[0:1]
	s_cbranch_execz .LBB155_78
; %bb.77:
	v_mov_b32_e32 v1, 0
	ds_write_b64 v1, v[42:43]
.LBB155_78:
	s_or_b64 exec, exec, s[2:3]
	v_add_co_u32_e64 v1, s[0:1], v42, v44
	v_addc_co_u32_e64 v42, s[0:1], v43, v45, s[0:1]
	v_add_u32_e32 v43, -1, v47
	v_and_b32_e32 v46, 64, v47
	v_cmp_lt_i32_e64 s[0:1], v43, v46
	v_cndmask_b32_e64 v43, v43, v47, s[0:1]
	v_lshlrev_b32_e32 v43, 2, v43
	ds_bpermute_b32 v42, v43, v42
	ds_bpermute_b32 v1, v43, v1
	v_cmp_eq_u32_e64 s[0:1], 0, v0
	s_or_b64 vcc, s[0:1], vcc
	s_waitcnt lgkmcnt(0)
	v_cndmask_b32_e32 v43, v42, v45, vcc
	v_cndmask_b32_e32 v42, v1, v44, vcc
	; wave barrier
	s_and_saveexec_b64 s[2:3], s[0:1]
	s_cbranch_execz .LBB155_80
; %bb.79:
	v_mov_b32_e32 v49, 0
	ds_read_b64 v[42:43], v49
	s_add_u32 s0, s22, 0x400
	s_addc_u32 s1, s23, 0
	v_mov_b32_e32 v48, 2
	s_waitcnt lgkmcnt(0)
	v_add_co_u32_e32 v46, vcc, v42, v44
	v_addc_co_u32_e32 v47, vcc, v43, v45, vcc
	v_pk_mov_b32 v[42:43], s[0:1], s[0:1] op_sel:[0,1]
	;;#ASMSTART
	global_store_dwordx4 v[42:43], v[46:49] off	
s_waitcnt vmcnt(0)
	;;#ASMEND
	v_pk_mov_b32 v[42:43], v[44:45], v[44:45] op_sel:[0,1]
.LBB155_80:
	s_or_b64 exec, exec, s[2:3]
.LBB155_81:
	v_add_co_u32_e32 v44, vcc, v42, v38
	v_addc_co_u32_e32 v45, vcc, v43, v39, vcc
	v_add_co_u32_e32 v38, vcc, v44, v40
	v_addc_co_u32_e32 v39, vcc, v45, v41, vcc
	;; [unrolled: 2-line block ×20, first 2 shown]
	s_add_u32 s0, s12, s16
	s_addc_u32 s1, s13, s17
	s_mov_b64 s[2:3], -1
	s_and_b64 vcc, exec, s[14:15]
	s_waitcnt lgkmcnt(0)
	; wave barrier
	s_waitcnt lgkmcnt(0)
	s_cbranch_vccz .LBB155_83
; %bb.82:
	v_mul_u32_u24_e32 v1, 0xa8, v0
	s_movk_i32 s2, 0xa8
	ds_write2_b64 v1, v[42:43], v[44:45] offset1:1
	ds_write2_b64 v1, v[38:39], v[40:41] offset0:2 offset1:3
	ds_write2_b64 v1, v[34:35], v[36:37] offset0:4 offset1:5
	;; [unrolled: 1-line block ×9, first 2 shown]
	ds_write_b64 v1, v[4:5] offset:160
	v_mul_i32_i24_e32 v1, 0xffffff60, v0
	v_mad_u32_u24 v1, v0, s2, v1
	s_waitcnt lgkmcnt(0)
	; wave barrier
	s_waitcnt lgkmcnt(0)
	ds_read2st64_b64 v[46:49], v1 offset1:1
	ds_read2st64_b64 v[50:53], v1 offset0:2 offset1:3
	ds_read2st64_b64 v[54:57], v1 offset0:4 offset1:5
	;; [unrolled: 1-line block ×9, first 2 shown]
	ds_read_b64 v[8:9], v1 offset:10240
	v_mov_b32_e32 v1, s1
	v_add_co_u32_e32 v88, vcc, s0, v58
	v_addc_co_u32_e32 v1, vcc, 0, v1, vcc
	s_movk_i32 s2, 0x1000
	s_waitcnt lgkmcnt(10)
	global_store_dwordx2 v58, v[46:47], s[0:1]
	global_store_dwordx2 v58, v[48:49], s[0:1] offset:512
	s_waitcnt lgkmcnt(9)
	global_store_dwordx2 v58, v[50:51], s[0:1] offset:1024
	global_store_dwordx2 v58, v[52:53], s[0:1] offset:1536
	s_waitcnt lgkmcnt(8)
	global_store_dwordx2 v58, v[54:55], s[0:1] offset:2048
	;; [unrolled: 3-line block ×3, first 2 shown]
	global_store_dwordx2 v58, v[62:63], s[0:1] offset:3584
	v_add_co_u32_e32 v46, vcc, s2, v88
	v_addc_co_u32_e32 v47, vcc, 0, v1, vcc
	s_waitcnt lgkmcnt(6)
	global_store_dwordx2 v[46:47], v[64:65], off
	global_store_dwordx2 v[46:47], v[66:67], off offset:512
	s_waitcnt lgkmcnt(5)
	global_store_dwordx2 v[46:47], v[68:69], off offset:1024
	global_store_dwordx2 v[46:47], v[70:71], off offset:1536
	s_waitcnt lgkmcnt(4)
	global_store_dwordx2 v[46:47], v[72:73], off offset:2048
	;; [unrolled: 3-line block ×3, first 2 shown]
	global_store_dwordx2 v[46:47], v[78:79], off offset:3584
	v_add_co_u32_e32 v46, vcc, 0x2000, v88
	v_addc_co_u32_e32 v47, vcc, 0, v1, vcc
	s_waitcnt lgkmcnt(2)
	global_store_dwordx2 v[46:47], v[80:81], off
	global_store_dwordx2 v[46:47], v[82:83], off offset:512
	s_waitcnt lgkmcnt(1)
	global_store_dwordx2 v[46:47], v[84:85], off offset:1024
	global_store_dwordx2 v[46:47], v[86:87], off offset:1536
	s_waitcnt lgkmcnt(0)
	global_store_dwordx2 v[46:47], v[8:9], off offset:2048
	s_mov_b64 s[2:3], 0
.LBB155_83:
	s_andn2_b64 vcc, exec, s[2:3]
	s_cbranch_vccnz .LBB155_204
; %bb.84:
	v_mul_u32_u24_e32 v1, 0xa8, v0
	s_movk_i32 s2, 0xa8
	ds_write2_b64 v1, v[42:43], v[44:45] offset1:1
	ds_write2_b64 v1, v[38:39], v[40:41] offset0:2 offset1:3
	ds_write2_b64 v1, v[34:35], v[36:37] offset0:4 offset1:5
	;; [unrolled: 1-line block ×9, first 2 shown]
	ds_write_b64 v1, v[4:5] offset:160
	v_mul_i32_i24_e32 v2, 0xffffff60, v0
	v_mad_u32_u24 v42, v0, s2, v2
	s_waitcnt lgkmcnt(0)
	; wave barrier
	s_waitcnt lgkmcnt(0)
	ds_read2st64_b64 v[6:9], v42 offset1:1
	ds_read2st64_b64 v[10:13], v42 offset0:2 offset1:3
	ds_read2st64_b64 v[14:17], v42 offset0:4 offset1:5
	;; [unrolled: 1-line block ×9, first 2 shown]
	ds_read_b64 v[42:43], v42 offset:10240
	v_mov_b32_e32 v45, s1
	v_add_co_u32_e32 v44, vcc, s0, v58
	v_addc_co_u32_e32 v45, vcc, 0, v45, vcc
	v_mov_b32_e32 v1, 0
	v_cmp_gt_u32_e32 vcc, s24, v0
	s_and_saveexec_b64 s[0:1], vcc
	s_cbranch_execz .LBB155_86
; %bb.85:
	s_waitcnt lgkmcnt(10)
	global_store_dwordx2 v[44:45], v[6:7], off
.LBB155_86:
	s_or_b64 exec, exec, s[0:1]
	v_or_b32_e32 v46, 64, v0
	v_cmp_gt_u32_e32 vcc, s24, v46
	s_and_saveexec_b64 s[0:1], vcc
	s_cbranch_execz .LBB155_88
; %bb.87:
	s_waitcnt lgkmcnt(10)
	global_store_dwordx2 v[44:45], v[8:9], off offset:512
.LBB155_88:
	s_or_b64 exec, exec, s[0:1]
	v_or_b32_e32 v46, 0x80, v0
	v_cmp_gt_u32_e32 vcc, s24, v46
	s_and_saveexec_b64 s[0:1], vcc
	s_cbranch_execz .LBB155_90
; %bb.89:
	s_waitcnt lgkmcnt(9)
	global_store_dwordx2 v[44:45], v[10:11], off offset:1024
.LBB155_90:
	;; [unrolled: 9-line block ×7, first 2 shown]
	s_or_b64 exec, exec, s[0:1]
	v_or_b32_e32 v46, 0x200, v0
	v_cmp_gt_u32_e32 vcc, s24, v46
	s_and_saveexec_b64 s[0:1], vcc
	s_cbranch_execz .LBB155_102
; %bb.101:
	v_add_co_u32_e32 v46, vcc, 0x1000, v44
	v_addc_co_u32_e32 v47, vcc, 0, v45, vcc
	s_waitcnt lgkmcnt(6)
	global_store_dwordx2 v[46:47], v[18:19], off
.LBB155_102:
	s_or_b64 exec, exec, s[0:1]
	v_or_b32_e32 v46, 0x240, v0
	v_cmp_gt_u32_e32 vcc, s24, v46
	s_and_saveexec_b64 s[0:1], vcc
	s_cbranch_execz .LBB155_104
; %bb.103:
	v_add_co_u32_e32 v46, vcc, 0x1000, v44
	v_addc_co_u32_e32 v47, vcc, 0, v45, vcc
	s_waitcnt lgkmcnt(6)
	global_store_dwordx2 v[46:47], v[20:21], off offset:512
.LBB155_104:
	s_or_b64 exec, exec, s[0:1]
	v_or_b32_e32 v46, 0x280, v0
	v_cmp_gt_u32_e32 vcc, s24, v46
	s_and_saveexec_b64 s[0:1], vcc
	s_cbranch_execz .LBB155_106
; %bb.105:
	v_add_co_u32_e32 v46, vcc, 0x1000, v44
	v_addc_co_u32_e32 v47, vcc, 0, v45, vcc
	s_waitcnt lgkmcnt(5)
	global_store_dwordx2 v[46:47], v[2:3], off offset:1024
.LBB155_106:
	;; [unrolled: 11-line block ×7, first 2 shown]
	s_or_b64 exec, exec, s[0:1]
	v_or_b32_e32 v46, 0x400, v0
	v_cmp_gt_u32_e32 vcc, s24, v46
	s_and_saveexec_b64 s[0:1], vcc
	s_cbranch_execz .LBB155_118
; %bb.117:
	v_add_co_u32_e32 v46, vcc, 0x2000, v44
	v_addc_co_u32_e32 v47, vcc, 0, v45, vcc
	s_waitcnt lgkmcnt(2)
	global_store_dwordx2 v[46:47], v[38:39], off
.LBB155_118:
	s_or_b64 exec, exec, s[0:1]
	v_or_b32_e32 v46, 0x440, v0
	v_cmp_gt_u32_e32 vcc, s24, v46
	s_and_saveexec_b64 s[0:1], vcc
	s_cbranch_execz .LBB155_120
; %bb.119:
	v_add_co_u32_e32 v46, vcc, 0x2000, v44
	v_addc_co_u32_e32 v47, vcc, 0, v45, vcc
	s_waitcnt lgkmcnt(2)
	global_store_dwordx2 v[46:47], v[40:41], off offset:512
.LBB155_120:
	s_or_b64 exec, exec, s[0:1]
	v_or_b32_e32 v46, 0x480, v0
	v_cmp_gt_u32_e32 vcc, s24, v46
	s_and_saveexec_b64 s[0:1], vcc
	s_cbranch_execz .LBB155_122
; %bb.121:
	v_add_co_u32_e32 v46, vcc, 0x2000, v44
	v_addc_co_u32_e32 v47, vcc, 0, v45, vcc
	s_waitcnt lgkmcnt(1)
	global_store_dwordx2 v[46:47], v[34:35], off offset:1024
.LBB155_122:
	;; [unrolled: 11-line block ×4, first 2 shown]
	s_or_b64 exec, exec, s[0:1]
	s_load_dword s0, s[4:5], 0x50
	s_waitcnt lgkmcnt(0)
	s_bfe_u32 s0, s0, 0x10008
	s_cmp_eq_u32 s0, 0
	s_cbranch_scc1 .LBB155_204
; %bb.127:
	s_add_u32 s0, s24, -1
	s_addc_u32 s1, s25, -1
	s_add_u32 s2, 0, 0x30c26c00
	s_addc_u32 s3, 0, 44
	s_add_i32 s3, s3, 0xc30c2e0
	s_mul_hi_u32 s7, s2, 0xffffffeb
	s_sub_i32 s7, s7, s2
	s_mul_i32 s8, s3, 0xffffffeb
	s_mul_i32 s4, s2, 0xffffffeb
	s_add_i32 s7, s7, s8
	s_mul_hi_u32 s5, s3, s4
	s_mul_i32 s6, s3, s4
	s_mul_i32 s9, s2, s7
	s_mul_hi_u32 s4, s2, s4
	s_mul_hi_u32 s8, s2, s7
	s_add_u32 s4, s4, s9
	s_addc_u32 s8, 0, s8
	s_add_u32 s4, s4, s6
	s_mul_hi_u32 s9, s3, s7
	s_addc_u32 s4, s8, s5
	s_addc_u32 s5, s9, 0
	s_mul_i32 s6, s3, s7
	s_add_u32 s4, s4, s6
	v_mov_b32_e32 v44, s4
	s_addc_u32 s5, 0, s5
	v_add_co_u32_e32 v44, vcc, s2, v44
	s_cmp_lg_u64 vcc, 0
	s_addc_u32 s2, s3, s5
	v_readfirstlane_b32 s5, v44
	s_mul_i32 s4, s0, s2
	s_mul_hi_u32 s6, s0, s5
	s_mul_hi_u32 s3, s0, s2
	s_add_u32 s4, s6, s4
	s_addc_u32 s3, 0, s3
	s_mul_hi_u32 s7, s1, s5
	s_mul_i32 s5, s1, s5
	s_add_u32 s4, s4, s5
	s_mul_hi_u32 s6, s1, s2
	s_addc_u32 s3, s3, s7
	s_addc_u32 s4, s6, 0
	s_mul_i32 s2, s1, s2
	s_add_u32 s2, s3, s2
	s_addc_u32 s3, 0, s4
	s_add_u32 s4, s2, 1
	s_addc_u32 s5, s3, 0
	s_add_u32 s6, s2, 2
	s_mul_i32 s8, s3, 21
	s_mul_hi_u32 s9, s2, 21
	s_addc_u32 s7, s3, 0
	s_add_i32 s9, s9, s8
	s_mul_i32 s8, s2, 21
	v_mov_b32_e32 v44, s8
	v_sub_co_u32_e32 v44, vcc, s0, v44
	s_cmp_lg_u64 vcc, 0
	s_subb_u32 s8, s1, s9
	v_subrev_co_u32_e32 v45, vcc, 21, v44
	s_cmp_lg_u64 vcc, 0
	s_subb_u32 s9, s8, 0
	v_readfirstlane_b32 s12, v45
	s_cmp_gt_u32 s12, 20
	s_cselect_b32 s12, -1, 0
	s_cmp_eq_u32 s9, 0
	s_cselect_b32 s9, s12, -1
	s_cmp_lg_u32 s9, 0
	s_cselect_b32 s4, s6, s4
	v_readfirstlane_b32 s6, v44
	s_cselect_b32 s5, s7, s5
	s_cmp_gt_u32 s6, 20
	s_cselect_b32 s6, -1, 0
	s_cmp_eq_u32 s8, 0
	s_cselect_b32 s6, s6, -1
	s_cmp_lg_u32 s6, 0
	s_cselect_b32 s3, s5, s3
	s_cselect_b32 s2, s4, s2
	v_cmp_eq_u64_e32 vcc, s[2:3], v[0:1]
	s_and_saveexec_b64 s[2:3], vcc
	s_cbranch_execz .LBB155_204
; %bb.128:
	v_mul_hi_u32_u24_e32 v1, 21, v0
	v_mov_b32_e32 v44, s1
	v_sub_co_u32_e32 v0, vcc, s0, v59
	v_subb_co_u32_e32 v1, vcc, v44, v1, vcc
	v_cmp_lt_i64_e32 vcc, 10, v[0:1]
	s_and_saveexec_b64 s[0:1], vcc
	s_xor_b64 s[0:1], exec, s[0:1]
	s_cbranch_execz .LBB155_166
; %bb.129:
	v_cmp_lt_i64_e32 vcc, 15, v[0:1]
	s_and_saveexec_b64 s[2:3], vcc
	s_xor_b64 s[2:3], exec, s[2:3]
	s_cbranch_execz .LBB155_147
; %bb.130:
	;; [unrolled: 5-line block ×5, first 2 shown]
	v_mov_b32_e32 v0, 0
	global_store_dwordx2 v0, v[42:43], s[10:11]
                                        ; implicit-def: $vgpr34_vgpr35_vgpr36_vgpr37
.LBB155_134:
	s_andn2_saveexec_b64 s[8:9], s[8:9]
	s_cbranch_execz .LBB155_136
; %bb.135:
	v_mov_b32_e32 v0, 0
	global_store_dwordx2 v0, v[36:37], s[10:11]
.LBB155_136:
	s_or_b64 exec, exec, s[8:9]
                                        ; implicit-def: $vgpr34_vgpr35_vgpr36_vgpr37
.LBB155_137:
	s_andn2_saveexec_b64 s[6:7], s[6:7]
	s_cbranch_execz .LBB155_139
; %bb.138:
	v_mov_b32_e32 v0, 0
	global_store_dwordx2 v0, v[34:35], s[10:11]
.LBB155_139:
	s_or_b64 exec, exec, s[6:7]
                                        ; implicit-def: $vgpr38_vgpr39_vgpr40_vgpr41
                                        ; implicit-def: $vgpr0_vgpr1
.LBB155_140:
	s_andn2_saveexec_b64 s[4:5], s[4:5]
	s_cbranch_execz .LBB155_146
; %bb.141:
	v_cmp_lt_i64_e32 vcc, 16, v[0:1]
	s_and_saveexec_b64 s[6:7], vcc
	s_xor_b64 s[6:7], exec, s[6:7]
	s_cbranch_execz .LBB155_143
; %bb.142:
	v_mov_b32_e32 v0, 0
	global_store_dwordx2 v0, v[40:41], s[10:11]
                                        ; implicit-def: $vgpr38_vgpr39_vgpr40_vgpr41
.LBB155_143:
	s_andn2_saveexec_b64 s[6:7], s[6:7]
	s_cbranch_execz .LBB155_145
; %bb.144:
	v_mov_b32_e32 v0, 0
	global_store_dwordx2 v0, v[38:39], s[10:11]
.LBB155_145:
	s_or_b64 exec, exec, s[6:7]
.LBB155_146:
	s_or_b64 exec, exec, s[4:5]
                                        ; implicit-def: $vgpr0_vgpr1
                                        ; implicit-def: $vgpr2_vgpr3_vgpr4_vgpr5
                                        ; implicit-def: $vgpr22_vgpr23_vgpr24_vgpr25
                                        ; implicit-def: $vgpr30_vgpr31_vgpr32_vgpr33
.LBB155_147:
	s_andn2_saveexec_b64 s[2:3], s[2:3]
	s_cbranch_execz .LBB155_165
; %bb.148:
	v_cmp_lt_i64_e32 vcc, 12, v[0:1]
	s_and_saveexec_b64 s[4:5], vcc
	s_xor_b64 s[4:5], exec, s[4:5]
	s_cbranch_execz .LBB155_158
; %bb.149:
	v_cmp_lt_i64_e32 vcc, 13, v[0:1]
	s_and_saveexec_b64 s[6:7], vcc
	s_xor_b64 s[6:7], exec, s[6:7]
	;; [unrolled: 5-line block ×3, first 2 shown]
	s_cbranch_execz .LBB155_152
; %bb.151:
	v_mov_b32_e32 v0, 0
	global_store_dwordx2 v0, v[32:33], s[10:11]
                                        ; implicit-def: $vgpr30_vgpr31_vgpr32_vgpr33
.LBB155_152:
	s_andn2_saveexec_b64 s[8:9], s[8:9]
	s_cbranch_execz .LBB155_154
; %bb.153:
	v_mov_b32_e32 v0, 0
	global_store_dwordx2 v0, v[30:31], s[10:11]
.LBB155_154:
	s_or_b64 exec, exec, s[8:9]
                                        ; implicit-def: $vgpr22_vgpr23_vgpr24_vgpr25
.LBB155_155:
	s_andn2_saveexec_b64 s[6:7], s[6:7]
	s_cbranch_execz .LBB155_157
; %bb.156:
	v_mov_b32_e32 v0, 0
	global_store_dwordx2 v0, v[24:25], s[10:11]
.LBB155_157:
	s_or_b64 exec, exec, s[6:7]
                                        ; implicit-def: $vgpr2_vgpr3_vgpr4_vgpr5
                                        ; implicit-def: $vgpr0_vgpr1
                                        ; implicit-def: $vgpr22_vgpr23_vgpr24_vgpr25
.LBB155_158:
	s_andn2_saveexec_b64 s[4:5], s[4:5]
	s_cbranch_execz .LBB155_164
; %bb.159:
	v_cmp_lt_i64_e32 vcc, 11, v[0:1]
	s_and_saveexec_b64 s[6:7], vcc
	s_xor_b64 s[6:7], exec, s[6:7]
	s_cbranch_execz .LBB155_161
; %bb.160:
	v_mov_b32_e32 v0, 0
	global_store_dwordx2 v0, v[22:23], s[10:11]
                                        ; implicit-def: $vgpr2_vgpr3_vgpr4_vgpr5
.LBB155_161:
	s_andn2_saveexec_b64 s[6:7], s[6:7]
	s_cbranch_execz .LBB155_163
; %bb.162:
	v_mov_b32_e32 v0, 0
	global_store_dwordx2 v0, v[4:5], s[10:11]
.LBB155_163:
	s_or_b64 exec, exec, s[6:7]
.LBB155_164:
	s_or_b64 exec, exec, s[4:5]
.LBB155_165:
	s_or_b64 exec, exec, s[2:3]
                                        ; implicit-def: $vgpr0_vgpr1
                                        ; implicit-def: $vgpr26_vgpr27_vgpr28_vgpr29
                                        ; implicit-def: $vgpr10_vgpr11_vgpr12_vgpr13
                                        ; implicit-def: $vgpr6_vgpr7_vgpr8_vgpr9
                                        ; implicit-def: $vgpr18_vgpr19_vgpr20_vgpr21
                                        ; implicit-def: $vgpr14_vgpr15_vgpr16_vgpr17
                                        ; implicit-def: $vgpr2_vgpr3_vgpr4_vgpr5
.LBB155_166:
	s_andn2_saveexec_b64 s[0:1], s[0:1]
	s_cbranch_execz .LBB155_204
; %bb.167:
	v_cmp_lt_i64_e32 vcc, 5, v[0:1]
	s_and_saveexec_b64 s[0:1], vcc
	s_xor_b64 s[0:1], exec, s[0:1]
	s_cbranch_execz .LBB155_185
; %bb.168:
	v_cmp_lt_i64_e32 vcc, 7, v[0:1]
	s_and_saveexec_b64 s[2:3], vcc
	s_xor_b64 s[2:3], exec, s[2:3]
	;; [unrolled: 5-line block ×4, first 2 shown]
	s_cbranch_execz .LBB155_172
; %bb.171:
	v_mov_b32_e32 v0, 0
	global_store_dwordx2 v0, v[2:3], s[10:11]
                                        ; implicit-def: $vgpr18_vgpr19_vgpr20_vgpr21
.LBB155_172:
	s_andn2_saveexec_b64 s[6:7], s[6:7]
	s_cbranch_execz .LBB155_174
; %bb.173:
	v_mov_b32_e32 v0, 0
	global_store_dwordx2 v0, v[20:21], s[10:11]
.LBB155_174:
	s_or_b64 exec, exec, s[6:7]
                                        ; implicit-def: $vgpr18_vgpr19_vgpr20_vgpr21
.LBB155_175:
	s_andn2_saveexec_b64 s[4:5], s[4:5]
	s_cbranch_execz .LBB155_177
; %bb.176:
	v_mov_b32_e32 v0, 0
	global_store_dwordx2 v0, v[18:19], s[10:11]
.LBB155_177:
	s_or_b64 exec, exec, s[4:5]
                                        ; implicit-def: $vgpr26_vgpr27_vgpr28_vgpr29
                                        ; implicit-def: $vgpr0_vgpr1
.LBB155_178:
	s_andn2_saveexec_b64 s[2:3], s[2:3]
	s_cbranch_execz .LBB155_184
; %bb.179:
	v_cmp_lt_i64_e32 vcc, 6, v[0:1]
	s_and_saveexec_b64 s[4:5], vcc
	s_xor_b64 s[4:5], exec, s[4:5]
	s_cbranch_execz .LBB155_181
; %bb.180:
	v_mov_b32_e32 v0, 0
	global_store_dwordx2 v0, v[28:29], s[10:11]
                                        ; implicit-def: $vgpr26_vgpr27_vgpr28_vgpr29
.LBB155_181:
	s_andn2_saveexec_b64 s[4:5], s[4:5]
	s_cbranch_execz .LBB155_183
; %bb.182:
	v_mov_b32_e32 v0, 0
	global_store_dwordx2 v0, v[26:27], s[10:11]
.LBB155_183:
	s_or_b64 exec, exec, s[4:5]
.LBB155_184:
	s_or_b64 exec, exec, s[2:3]
                                        ; implicit-def: $vgpr0_vgpr1
                                        ; implicit-def: $vgpr10_vgpr11_vgpr12_vgpr13
                                        ; implicit-def: $vgpr6_vgpr7_vgpr8_vgpr9
                                        ; implicit-def: $vgpr14_vgpr15_vgpr16_vgpr17
.LBB155_185:
	s_andn2_saveexec_b64 s[0:1], s[0:1]
	s_cbranch_execz .LBB155_204
; %bb.186:
	v_cmp_lt_i64_e32 vcc, 2, v[0:1]
	s_and_saveexec_b64 s[0:1], vcc
	s_xor_b64 s[0:1], exec, s[0:1]
	s_cbranch_execz .LBB155_196
; %bb.187:
	v_cmp_lt_i64_e32 vcc, 3, v[0:1]
	s_and_saveexec_b64 s[2:3], vcc
	s_xor_b64 s[2:3], exec, s[2:3]
	;; [unrolled: 5-line block ×3, first 2 shown]
	s_cbranch_execz .LBB155_190
; %bb.189:
	v_mov_b32_e32 v0, 0
	global_store_dwordx2 v0, v[16:17], s[10:11]
                                        ; implicit-def: $vgpr14_vgpr15_vgpr16_vgpr17
.LBB155_190:
	s_andn2_saveexec_b64 s[4:5], s[4:5]
	s_cbranch_execz .LBB155_192
; %bb.191:
	v_mov_b32_e32 v0, 0
	global_store_dwordx2 v0, v[14:15], s[10:11]
.LBB155_192:
	s_or_b64 exec, exec, s[4:5]
                                        ; implicit-def: $vgpr10_vgpr11_vgpr12_vgpr13
.LBB155_193:
	s_andn2_saveexec_b64 s[2:3], s[2:3]
	s_cbranch_execz .LBB155_195
; %bb.194:
	v_mov_b32_e32 v0, 0
	global_store_dwordx2 v0, v[12:13], s[10:11]
.LBB155_195:
	s_or_b64 exec, exec, s[2:3]
                                        ; implicit-def: $vgpr0_vgpr1
                                        ; implicit-def: $vgpr10_vgpr11_vgpr12_vgpr13
                                        ; implicit-def: $vgpr6_vgpr7_vgpr8_vgpr9
.LBB155_196:
	s_andn2_saveexec_b64 s[0:1], s[0:1]
	s_cbranch_execz .LBB155_204
; %bb.197:
	v_cmp_lt_i64_e32 vcc, 1, v[0:1]
	s_and_saveexec_b64 s[0:1], vcc
	s_xor_b64 s[0:1], exec, s[0:1]
	s_cbranch_execz .LBB155_199
; %bb.198:
	v_mov_b32_e32 v0, 0
	global_store_dwordx2 v0, v[10:11], s[10:11]
                                        ; implicit-def: $vgpr6_vgpr7_vgpr8_vgpr9
                                        ; implicit-def: $vgpr0_vgpr1
.LBB155_199:
	s_andn2_saveexec_b64 s[0:1], s[0:1]
	s_cbranch_execz .LBB155_204
; %bb.200:
	v_cmp_ne_u64_e32 vcc, 1, v[0:1]
	s_and_saveexec_b64 s[0:1], vcc
	s_xor_b64 s[0:1], exec, s[0:1]
	s_cbranch_execz .LBB155_202
; %bb.201:
	v_mov_b32_e32 v0, 0
	global_store_dwordx2 v0, v[6:7], s[10:11]
                                        ; implicit-def: $vgpr6_vgpr7_vgpr8_vgpr9
.LBB155_202:
	s_andn2_saveexec_b64 s[0:1], s[0:1]
	s_cbranch_execz .LBB155_204
; %bb.203:
	v_mov_b32_e32 v0, 0
	global_store_dwordx2 v0, v[8:9], s[10:11]
.LBB155_204:
	s_endpgm
	.section	.rodata,"a",@progbits
	.p2align	6, 0x0
	.amdhsa_kernel _ZN7rocprim6detail20lookback_scan_kernelILNS0_25lookback_scan_determinismE0ELb1ENS0_19wrapped_scan_configINS_14default_configEmEEN6hipcub22TransformInputIteratorImNS6_6CastOpImEEPmlEESA_NS6_3SumENS_12future_valueImSA_EEmNS0_19lookback_scan_stateImLb0ELb1EEEEEvT2_T3_mT5_T4_T7_jPT6_SN_bb
		.amdhsa_group_segment_fixed_size 10752
		.amdhsa_private_segment_fixed_size 0
		.amdhsa_kernarg_size 84
		.amdhsa_user_sgpr_count 6
		.amdhsa_user_sgpr_private_segment_buffer 1
		.amdhsa_user_sgpr_dispatch_ptr 0
		.amdhsa_user_sgpr_queue_ptr 0
		.amdhsa_user_sgpr_kernarg_segment_ptr 1
		.amdhsa_user_sgpr_dispatch_id 0
		.amdhsa_user_sgpr_flat_scratch_init 0
		.amdhsa_user_sgpr_kernarg_preload_length 0
		.amdhsa_user_sgpr_kernarg_preload_offset 0
		.amdhsa_user_sgpr_private_segment_size 0
		.amdhsa_uses_dynamic_stack 0
		.amdhsa_system_sgpr_private_segment_wavefront_offset 0
		.amdhsa_system_sgpr_workgroup_id_x 1
		.amdhsa_system_sgpr_workgroup_id_y 0
		.amdhsa_system_sgpr_workgroup_id_z 0
		.amdhsa_system_sgpr_workgroup_info 0
		.amdhsa_system_vgpr_workitem_id 0
		.amdhsa_next_free_vgpr 89
		.amdhsa_next_free_sgpr 28
		.amdhsa_accum_offset 92
		.amdhsa_reserve_vcc 1
		.amdhsa_reserve_flat_scratch 0
		.amdhsa_float_round_mode_32 0
		.amdhsa_float_round_mode_16_64 0
		.amdhsa_float_denorm_mode_32 3
		.amdhsa_float_denorm_mode_16_64 3
		.amdhsa_dx10_clamp 1
		.amdhsa_ieee_mode 1
		.amdhsa_fp16_overflow 0
		.amdhsa_tg_split 0
		.amdhsa_exception_fp_ieee_invalid_op 0
		.amdhsa_exception_fp_denorm_src 0
		.amdhsa_exception_fp_ieee_div_zero 0
		.amdhsa_exception_fp_ieee_overflow 0
		.amdhsa_exception_fp_ieee_underflow 0
		.amdhsa_exception_fp_ieee_inexact 0
		.amdhsa_exception_int_div_zero 0
	.end_amdhsa_kernel
	.section	.text._ZN7rocprim6detail20lookback_scan_kernelILNS0_25lookback_scan_determinismE0ELb1ENS0_19wrapped_scan_configINS_14default_configEmEEN6hipcub22TransformInputIteratorImNS6_6CastOpImEEPmlEESA_NS6_3SumENS_12future_valueImSA_EEmNS0_19lookback_scan_stateImLb0ELb1EEEEEvT2_T3_mT5_T4_T7_jPT6_SN_bb,"axG",@progbits,_ZN7rocprim6detail20lookback_scan_kernelILNS0_25lookback_scan_determinismE0ELb1ENS0_19wrapped_scan_configINS_14default_configEmEEN6hipcub22TransformInputIteratorImNS6_6CastOpImEEPmlEESA_NS6_3SumENS_12future_valueImSA_EEmNS0_19lookback_scan_stateImLb0ELb1EEEEEvT2_T3_mT5_T4_T7_jPT6_SN_bb,comdat
.Lfunc_end155:
	.size	_ZN7rocprim6detail20lookback_scan_kernelILNS0_25lookback_scan_determinismE0ELb1ENS0_19wrapped_scan_configINS_14default_configEmEEN6hipcub22TransformInputIteratorImNS6_6CastOpImEEPmlEESA_NS6_3SumENS_12future_valueImSA_EEmNS0_19lookback_scan_stateImLb0ELb1EEEEEvT2_T3_mT5_T4_T7_jPT6_SN_bb, .Lfunc_end155-_ZN7rocprim6detail20lookback_scan_kernelILNS0_25lookback_scan_determinismE0ELb1ENS0_19wrapped_scan_configINS_14default_configEmEEN6hipcub22TransformInputIteratorImNS6_6CastOpImEEPmlEESA_NS6_3SumENS_12future_valueImSA_EEmNS0_19lookback_scan_stateImLb0ELb1EEEEEvT2_T3_mT5_T4_T7_jPT6_SN_bb
                                        ; -- End function
	.section	.AMDGPU.csdata,"",@progbits
; Kernel info:
; codeLenInByte = 7452
; NumSgprs: 32
; NumVgprs: 89
; NumAgprs: 0
; TotalNumVgprs: 89
; ScratchSize: 0
; MemoryBound: 0
; FloatMode: 240
; IeeeMode: 1
; LDSByteSize: 10752 bytes/workgroup (compile time only)
; SGPRBlocks: 3
; VGPRBlocks: 11
; NumSGPRsForWavesPerEU: 32
; NumVGPRsForWavesPerEU: 89
; AccumOffset: 92
; Occupancy: 2
; WaveLimiterHint : 1
; COMPUTE_PGM_RSRC2:SCRATCH_EN: 0
; COMPUTE_PGM_RSRC2:USER_SGPR: 6
; COMPUTE_PGM_RSRC2:TRAP_HANDLER: 0
; COMPUTE_PGM_RSRC2:TGID_X_EN: 1
; COMPUTE_PGM_RSRC2:TGID_Y_EN: 0
; COMPUTE_PGM_RSRC2:TGID_Z_EN: 0
; COMPUTE_PGM_RSRC2:TIDIG_COMP_CNT: 0
; COMPUTE_PGM_RSRC3_GFX90A:ACCUM_OFFSET: 22
; COMPUTE_PGM_RSRC3_GFX90A:TG_SPLIT: 0
	.section	.text._ZN7rocprim6detail18single_scan_kernelILb1ENS0_19wrapped_scan_configINS_14default_configEmEEN6hipcub22TransformInputIteratorImNS5_6CastOpImEEPmlEES9_NS5_3SumENS_12future_valueImS9_EEmEEvT1_mT4_T2_T3_,"axG",@progbits,_ZN7rocprim6detail18single_scan_kernelILb1ENS0_19wrapped_scan_configINS_14default_configEmEEN6hipcub22TransformInputIteratorImNS5_6CastOpImEEPmlEES9_NS5_3SumENS_12future_valueImS9_EEmEEvT1_mT4_T2_T3_,comdat
	.protected	_ZN7rocprim6detail18single_scan_kernelILb1ENS0_19wrapped_scan_configINS_14default_configEmEEN6hipcub22TransformInputIteratorImNS5_6CastOpImEEPmlEES9_NS5_3SumENS_12future_valueImS9_EEmEEvT1_mT4_T2_T3_ ; -- Begin function _ZN7rocprim6detail18single_scan_kernelILb1ENS0_19wrapped_scan_configINS_14default_configEmEEN6hipcub22TransformInputIteratorImNS5_6CastOpImEEPmlEES9_NS5_3SumENS_12future_valueImS9_EEmEEvT1_mT4_T2_T3_
	.globl	_ZN7rocprim6detail18single_scan_kernelILb1ENS0_19wrapped_scan_configINS_14default_configEmEEN6hipcub22TransformInputIteratorImNS5_6CastOpImEEPmlEES9_NS5_3SumENS_12future_valueImS9_EEmEEvT1_mT4_T2_T3_
	.p2align	8
	.type	_ZN7rocprim6detail18single_scan_kernelILb1ENS0_19wrapped_scan_configINS_14default_configEmEEN6hipcub22TransformInputIteratorImNS5_6CastOpImEEPmlEES9_NS5_3SumENS_12future_valueImS9_EEmEEvT1_mT4_T2_T3_,@function
_ZN7rocprim6detail18single_scan_kernelILb1ENS0_19wrapped_scan_configINS_14default_configEmEEN6hipcub22TransformInputIteratorImNS5_6CastOpImEEPmlEES9_NS5_3SumENS_12future_valueImS9_EEmEEvT1_mT4_T2_T3_: ; @_ZN7rocprim6detail18single_scan_kernelILb1ENS0_19wrapped_scan_configINS_14default_configEmEEN6hipcub22TransformInputIteratorImNS5_6CastOpImEEPmlEES9_NS5_3SumENS_12future_valueImS9_EEmEEvT1_mT4_T2_T3_
; %bb.0:
	s_load_dwordx2 s[0:1], s[4:5], 0x0
	s_load_dwordx4 s[48:51], s[4:5], 0x10
	v_lshlrev_b32_e32 v46, 3, v0
	s_waitcnt lgkmcnt(0)
	s_load_dwordx2 s[46:47], s[0:1], 0x0
	v_mov_b32_e32 v1, s1
	v_add_co_u32_e32 v4, vcc, s0, v46
	v_addc_co_u32_e32 v5, vcc, 0, v1, vcc
	v_cmp_gt_u32_e64 s[0:1], s48, v0
	s_waitcnt lgkmcnt(0)
	v_pk_mov_b32 v[2:3], s[46:47], s[46:47] op_sel:[0,1]
	s_and_saveexec_b64 s[2:3], s[0:1]
	s_cbranch_execz .LBB156_2
; %bb.1:
	global_load_dwordx2 v[2:3], v[4:5], off
.LBB156_2:
	s_or_b64 exec, exec, s[2:3]
	v_or_b32_e32 v1, 64, v0
	v_cmp_gt_u32_e64 s[2:3], s48, v1
	v_pk_mov_b32 v[6:7], s[46:47], s[46:47] op_sel:[0,1]
	s_and_saveexec_b64 s[6:7], s[2:3]
	s_cbranch_execz .LBB156_4
; %bb.3:
	global_load_dwordx2 v[6:7], v[4:5], off offset:512
.LBB156_4:
	s_or_b64 exec, exec, s[6:7]
	v_or_b32_e32 v1, 0x80, v0
	v_cmp_gt_u32_e64 s[44:45], s48, v1
	v_pk_mov_b32 v[8:9], s[46:47], s[46:47] op_sel:[0,1]
	s_and_saveexec_b64 s[6:7], s[44:45]
	s_cbranch_execz .LBB156_6
; %bb.5:
	global_load_dwordx2 v[8:9], v[4:5], off offset:1024
.LBB156_6:
	;; [unrolled: 9-line block ×7, first 2 shown]
	s_or_b64 exec, exec, s[16:17]
	v_or_b32_e32 v1, 0x200, v0
	v_cmp_gt_u32_e64 s[16:17], s48, v1
	v_pk_mov_b32 v[20:21], s[46:47], s[46:47] op_sel:[0,1]
	s_and_saveexec_b64 s[18:19], s[16:17]
	s_cbranch_execz .LBB156_18
; %bb.17:
	v_add_co_u32_e32 v20, vcc, 0x1000, v4
	v_addc_co_u32_e32 v21, vcc, 0, v5, vcc
	global_load_dwordx2 v[20:21], v[20:21], off
.LBB156_18:
	s_or_b64 exec, exec, s[18:19]
	v_or_b32_e32 v1, 0x240, v0
	v_cmp_gt_u32_e64 s[18:19], s48, v1
	v_pk_mov_b32 v[22:23], s[46:47], s[46:47] op_sel:[0,1]
	s_and_saveexec_b64 s[20:21], s[18:19]
	s_cbranch_execz .LBB156_20
; %bb.19:
	v_add_co_u32_e32 v22, vcc, 0x1000, v4
	v_addc_co_u32_e32 v23, vcc, 0, v5, vcc
	global_load_dwordx2 v[22:23], v[22:23], off offset:512
.LBB156_20:
	s_or_b64 exec, exec, s[20:21]
	v_or_b32_e32 v1, 0x280, v0
	v_cmp_gt_u32_e64 s[20:21], s48, v1
	v_pk_mov_b32 v[24:25], s[46:47], s[46:47] op_sel:[0,1]
	s_and_saveexec_b64 s[22:23], s[20:21]
	s_cbranch_execz .LBB156_22
; %bb.21:
	v_add_co_u32_e32 v24, vcc, 0x1000, v4
	v_addc_co_u32_e32 v25, vcc, 0, v5, vcc
	global_load_dwordx2 v[24:25], v[24:25], off offset:1024
.LBB156_22:
	;; [unrolled: 11-line block ×7, first 2 shown]
	s_or_b64 exec, exec, s[34:35]
	v_or_b32_e32 v1, 0x400, v0
	v_cmp_gt_u32_e64 s[34:35], s48, v1
	v_pk_mov_b32 v[36:37], s[46:47], s[46:47] op_sel:[0,1]
	s_and_saveexec_b64 s[36:37], s[34:35]
	s_cbranch_execz .LBB156_34
; %bb.33:
	v_add_co_u32_e32 v36, vcc, 0x2000, v4
	v_addc_co_u32_e32 v37, vcc, 0, v5, vcc
	global_load_dwordx2 v[36:37], v[36:37], off
.LBB156_34:
	s_or_b64 exec, exec, s[36:37]
	v_or_b32_e32 v1, 0x440, v0
	v_cmp_gt_u32_e64 s[36:37], s48, v1
	v_pk_mov_b32 v[38:39], s[46:47], s[46:47] op_sel:[0,1]
	s_and_saveexec_b64 s[38:39], s[36:37]
	s_cbranch_execz .LBB156_36
; %bb.35:
	v_add_co_u32_e32 v38, vcc, 0x2000, v4
	v_addc_co_u32_e32 v39, vcc, 0, v5, vcc
	global_load_dwordx2 v[38:39], v[38:39], off offset:512
.LBB156_36:
	s_or_b64 exec, exec, s[38:39]
	v_or_b32_e32 v1, 0x480, v0
	v_cmp_gt_u32_e64 s[38:39], s48, v1
	v_pk_mov_b32 v[40:41], s[46:47], s[46:47] op_sel:[0,1]
	s_and_saveexec_b64 s[40:41], s[38:39]
	s_cbranch_execz .LBB156_38
; %bb.37:
	v_add_co_u32_e32 v40, vcc, 0x2000, v4
	v_addc_co_u32_e32 v41, vcc, 0, v5, vcc
	global_load_dwordx2 v[40:41], v[40:41], off offset:1024
.LBB156_38:
	;; [unrolled: 11-line block ×3, first 2 shown]
	s_or_b64 exec, exec, s[42:43]
	s_load_dwordx2 s[52:53], s[4:5], 0x20
	v_or_b32_e32 v1, 0x500, v0
	v_cmp_gt_u32_e64 s[42:43], s48, v1
	v_pk_mov_b32 v[44:45], s[46:47], s[46:47] op_sel:[0,1]
	s_and_saveexec_b64 s[4:5], s[42:43]
	s_cbranch_execz .LBB156_42
; %bb.41:
	v_add_co_u32_e32 v4, vcc, 0x2000, v4
	v_addc_co_u32_e32 v5, vcc, 0, v5, vcc
	global_load_dwordx2 v[44:45], v[4:5], off offset:2048
.LBB156_42:
	s_or_b64 exec, exec, s[4:5]
	s_movk_i32 s4, 0xa0
	v_mad_u32_u24 v1, v0, s4, v46
	s_load_dwordx2 s[48:49], s[50:51], 0x0
	s_waitcnt vmcnt(0)
	ds_write2st64_b64 v46, v[2:3], v[6:7] offset1:1
	ds_write2st64_b64 v46, v[8:9], v[10:11] offset0:2 offset1:3
	ds_write2st64_b64 v46, v[12:13], v[14:15] offset0:4 offset1:5
	;; [unrolled: 1-line block ×9, first 2 shown]
	ds_write_b64 v46, v[44:45] offset:10240
	s_waitcnt lgkmcnt(0)
	; wave barrier
	s_waitcnt lgkmcnt(0)
	ds_read2_b64 v[2:5], v1 offset1:1
	ds_read2_b64 v[6:9], v1 offset0:2 offset1:3
	ds_read2_b64 v[10:13], v1 offset0:4 offset1:5
	;; [unrolled: 1-line block ×9, first 2 shown]
	ds_read_b64 v[42:43], v1 offset:160
	s_waitcnt lgkmcnt(10)
	v_add_co_u32_e32 v1, vcc, v4, v2
	v_addc_co_u32_e32 v44, vcc, v5, v3, vcc
	s_waitcnt lgkmcnt(9)
	v_add_co_u32_e32 v1, vcc, v1, v6
	v_addc_co_u32_e32 v44, vcc, v44, v7, vcc
	v_add_co_u32_e32 v1, vcc, v1, v8
	v_addc_co_u32_e32 v44, vcc, v44, v9, vcc
	s_waitcnt lgkmcnt(8)
	v_add_co_u32_e32 v1, vcc, v1, v10
	v_addc_co_u32_e32 v44, vcc, v44, v11, vcc
	v_add_co_u32_e32 v1, vcc, v1, v12
	v_addc_co_u32_e32 v44, vcc, v44, v13, vcc
	s_waitcnt lgkmcnt(7)
	v_add_co_u32_e32 v1, vcc, v1, v14
	v_addc_co_u32_e32 v44, vcc, v44, v15, vcc
	v_add_co_u32_e32 v1, vcc, v1, v16
	v_addc_co_u32_e32 v44, vcc, v44, v17, vcc
	s_waitcnt lgkmcnt(6)
	v_add_co_u32_e32 v1, vcc, v1, v18
	v_addc_co_u32_e32 v44, vcc, v44, v19, vcc
	v_add_co_u32_e32 v1, vcc, v1, v20
	v_addc_co_u32_e32 v44, vcc, v44, v21, vcc
	s_waitcnt lgkmcnt(5)
	v_add_co_u32_e32 v1, vcc, v1, v22
	v_addc_co_u32_e32 v44, vcc, v44, v23, vcc
	v_add_co_u32_e32 v1, vcc, v1, v24
	v_addc_co_u32_e32 v44, vcc, v44, v25, vcc
	s_waitcnt lgkmcnt(4)
	v_add_co_u32_e32 v1, vcc, v1, v26
	v_addc_co_u32_e32 v44, vcc, v44, v27, vcc
	v_add_co_u32_e32 v1, vcc, v1, v28
	v_addc_co_u32_e32 v44, vcc, v44, v29, vcc
	s_waitcnt lgkmcnt(3)
	v_add_co_u32_e32 v1, vcc, v1, v30
	v_addc_co_u32_e32 v44, vcc, v44, v31, vcc
	v_add_co_u32_e32 v1, vcc, v1, v32
	v_addc_co_u32_e32 v44, vcc, v44, v33, vcc
	s_waitcnt lgkmcnt(2)
	v_add_co_u32_e32 v1, vcc, v1, v34
	v_addc_co_u32_e32 v44, vcc, v44, v35, vcc
	v_add_co_u32_e32 v1, vcc, v1, v36
	v_addc_co_u32_e32 v44, vcc, v44, v37, vcc
	s_waitcnt lgkmcnt(1)
	v_add_co_u32_e32 v1, vcc, v1, v38
	v_addc_co_u32_e32 v44, vcc, v44, v39, vcc
	v_add_co_u32_e32 v1, vcc, v1, v40
	v_addc_co_u32_e32 v44, vcc, v44, v41, vcc
	s_waitcnt lgkmcnt(0)
	v_add_co_u32_e32 v42, vcc, v1, v42
	v_addc_co_u32_e32 v43, vcc, v44, v43, vcc
	s_nop 0
	v_mov_b32_dpp v44, v42 row_shr:1 row_mask:0xf bank_mask:0xf
	v_add_co_u32_e32 v44, vcc, v42, v44
	v_mbcnt_lo_u32_b32 v1, -1, 0
	v_addc_co_u32_e32 v48, vcc, 0, v43, vcc
	v_mbcnt_hi_u32_b32 v45, -1, v1
	v_mov_b32_dpp v47, v43 row_shr:1 row_mask:0xf bank_mask:0xf
	v_add_co_u32_e32 v49, vcc, 0, v44
	v_and_b32_e32 v1, 15, v45
	v_addc_co_u32_e32 v47, vcc, v47, v48, vcc
	v_cmp_eq_u32_e32 vcc, 0, v1
	v_cndmask_b32_e32 v44, v44, v42, vcc
	v_cndmask_b32_e32 v47, v47, v43, vcc
	v_cndmask_b32_e32 v48, v49, v42, vcc
	v_mov_b32_dpp v49, v44 row_shr:2 row_mask:0xf bank_mask:0xf
	v_mov_b32_dpp v50, v47 row_shr:2 row_mask:0xf bank_mask:0xf
	v_add_co_u32_e32 v49, vcc, v49, v48
	v_addc_co_u32_e32 v50, vcc, v50, v47, vcc
	v_cmp_lt_u32_e32 vcc, 1, v1
	v_cndmask_b32_e32 v44, v44, v49, vcc
	v_cndmask_b32_e32 v47, v47, v50, vcc
	v_cndmask_b32_e32 v48, v48, v49, vcc
	v_mov_b32_dpp v49, v44 row_shr:4 row_mask:0xf bank_mask:0xf
	v_mov_b32_dpp v50, v47 row_shr:4 row_mask:0xf bank_mask:0xf
	v_add_co_u32_e32 v49, vcc, v49, v48
	v_addc_co_u32_e32 v50, vcc, v50, v47, vcc
	v_cmp_lt_u32_e32 vcc, 3, v1
	;; [unrolled: 8-line block ×3, first 2 shown]
	v_cndmask_b32_e32 v51, v44, v49, vcc
	v_cndmask_b32_e32 v1, v47, v50, vcc
	;; [unrolled: 1-line block ×3, first 2 shown]
	v_mov_b32_dpp v47, v51 row_bcast:15 row_mask:0xf bank_mask:0xf
	v_mov_b32_dpp v48, v1 row_bcast:15 row_mask:0xf bank_mask:0xf
	v_and_b32_e32 v50, 16, v45
	v_add_co_u32_e32 v47, vcc, v47, v44
	v_addc_co_u32_e32 v49, vcc, v48, v1, vcc
	v_cmp_eq_u32_e64 s[4:5], 0, v50
	v_cndmask_b32_e64 v50, v49, v1, s[4:5]
	v_cndmask_b32_e64 v48, v47, v51, s[4:5]
	v_cmp_eq_u32_e32 vcc, 0, v45
	v_mov_b32_dpp v50, v50 row_bcast:31 row_mask:0xf bank_mask:0xf
	v_mov_b32_dpp v48, v48 row_bcast:31 row_mask:0xf bank_mask:0xf
	v_cmp_ne_u32_e64 s[46:47], 0, v45
	s_waitcnt lgkmcnt(0)
	; wave barrier
	s_and_saveexec_b64 s[50:51], s[46:47]
; %bb.43:
	v_cndmask_b32_e64 v1, v49, v1, s[4:5]
	v_cndmask_b32_e64 v42, v47, v44, s[4:5]
	v_cmp_lt_u32_e64 s[4:5], 31, v45
	v_cndmask_b32_e64 v44, 0, v48, s[4:5]
	v_cndmask_b32_e64 v43, 0, v50, s[4:5]
	v_add_co_u32_e64 v42, s[4:5], v44, v42
	v_addc_co_u32_e64 v43, s[4:5], v43, v1, s[4:5]
; %bb.44:
	s_or_b64 exec, exec, s[50:51]
	v_mul_u32_u24_e32 v1, 0xa0, v0
	v_cmp_eq_u32_e64 s[4:5], 63, v0
	s_and_saveexec_b64 s[46:47], s[4:5]
	s_cbranch_execz .LBB156_46
; %bb.45:
	v_mov_b32_e32 v44, 0
	ds_write_b64 v44, v[42:43]
.LBB156_46:
	s_or_b64 exec, exec, s[46:47]
	v_mov_b32_e32 v44, s49
	v_add_co_u32_e64 v42, s[4:5], s48, v42
	v_addc_co_u32_e64 v43, s[4:5], v43, v44, s[4:5]
	v_add_u32_e32 v44, -1, v45
	v_and_b32_e32 v47, 64, v45
	v_cmp_lt_i32_e64 s[4:5], v44, v47
	v_cndmask_b32_e64 v44, v44, v45, s[4:5]
	v_lshlrev_b32_e32 v44, 2, v44
	ds_bpermute_b32 v43, v44, v43
	ds_bpermute_b32 v42, v44, v42
	v_cmp_eq_u32_e64 s[4:5], 0, v0
	v_mov_b32_e32 v0, s49
	s_or_b64 vcc, s[4:5], vcc
	s_waitcnt lgkmcnt(1)
	v_cndmask_b32_e32 v43, v43, v0, vcc
	v_mov_b32_e32 v0, s48
	s_waitcnt lgkmcnt(0)
	v_cndmask_b32_e32 v42, v42, v0, vcc
	v_add_co_u32_e32 v2, vcc, v42, v2
	v_addc_co_u32_e32 v3, vcc, v43, v3, vcc
	v_add_co_u32_e32 v4, vcc, v2, v4
	v_addc_co_u32_e32 v5, vcc, v3, v5, vcc
	;; [unrolled: 2-line block ×19, first 2 shown]
	v_add_co_u32_e32 v40, vcc, v38, v40
	v_add_u32_e32 v0, v46, v1
	s_waitcnt lgkmcnt(0)
	; wave barrier
	v_addc_co_u32_e32 v41, vcc, v39, v41, vcc
	s_waitcnt lgkmcnt(0)
	; wave barrier
	ds_write2_b64 v0, v[42:43], v[2:3] offset1:1
	ds_write2_b64 v0, v[4:5], v[6:7] offset0:2 offset1:3
	ds_write2_b64 v0, v[8:9], v[10:11] offset0:4 offset1:5
	;; [unrolled: 1-line block ×9, first 2 shown]
	ds_write_b64 v0, v[40:41] offset:160
	s_waitcnt lgkmcnt(0)
	; wave barrier
	s_waitcnt lgkmcnt(0)
	ds_read2st64_b64 v[36:39], v46 offset0:1 offset1:2
	ds_read2st64_b64 v[32:35], v46 offset0:3 offset1:4
	;; [unrolled: 1-line block ×10, first 2 shown]
	v_mov_b32_e32 v41, s53
	v_add_co_u32_e32 v40, vcc, s52, v46
	v_addc_co_u32_e32 v41, vcc, 0, v41, vcc
	s_and_saveexec_b64 s[4:5], s[0:1]
	s_cbranch_execnz .LBB156_68
; %bb.47:
	s_or_b64 exec, exec, s[4:5]
	s_and_saveexec_b64 s[0:1], s[2:3]
	s_cbranch_execnz .LBB156_69
.LBB156_48:
	s_or_b64 exec, exec, s[0:1]
	s_and_saveexec_b64 s[0:1], s[44:45]
	s_cbranch_execnz .LBB156_70
.LBB156_49:
	s_or_b64 exec, exec, s[0:1]
	s_and_saveexec_b64 s[0:1], s[6:7]
	s_cbranch_execnz .LBB156_71
.LBB156_50:
	s_or_b64 exec, exec, s[0:1]
	s_and_saveexec_b64 s[0:1], s[8:9]
	s_cbranch_execnz .LBB156_72
.LBB156_51:
	s_or_b64 exec, exec, s[0:1]
	s_and_saveexec_b64 s[0:1], s[10:11]
	s_cbranch_execnz .LBB156_73
.LBB156_52:
	s_or_b64 exec, exec, s[0:1]
	s_and_saveexec_b64 s[0:1], s[12:13]
	s_cbranch_execnz .LBB156_74
.LBB156_53:
	s_or_b64 exec, exec, s[0:1]
	s_and_saveexec_b64 s[0:1], s[14:15]
	s_cbranch_execnz .LBB156_75
.LBB156_54:
	s_or_b64 exec, exec, s[0:1]
	s_and_saveexec_b64 s[0:1], s[16:17]
	s_cbranch_execnz .LBB156_76
.LBB156_55:
	s_or_b64 exec, exec, s[0:1]
	s_and_saveexec_b64 s[0:1], s[18:19]
	s_cbranch_execnz .LBB156_77
.LBB156_56:
	s_or_b64 exec, exec, s[0:1]
	s_and_saveexec_b64 s[0:1], s[20:21]
	s_cbranch_execnz .LBB156_78
.LBB156_57:
	s_or_b64 exec, exec, s[0:1]
	s_and_saveexec_b64 s[0:1], s[22:23]
	s_cbranch_execnz .LBB156_79
.LBB156_58:
	s_or_b64 exec, exec, s[0:1]
	s_and_saveexec_b64 s[0:1], s[24:25]
	s_cbranch_execnz .LBB156_80
.LBB156_59:
	s_or_b64 exec, exec, s[0:1]
	s_and_saveexec_b64 s[0:1], s[26:27]
	s_cbranch_execnz .LBB156_81
.LBB156_60:
	s_or_b64 exec, exec, s[0:1]
	s_and_saveexec_b64 s[0:1], s[28:29]
	s_cbranch_execnz .LBB156_82
.LBB156_61:
	s_or_b64 exec, exec, s[0:1]
	s_and_saveexec_b64 s[0:1], s[30:31]
	s_cbranch_execnz .LBB156_83
.LBB156_62:
	s_or_b64 exec, exec, s[0:1]
	s_and_saveexec_b64 s[0:1], s[34:35]
	s_cbranch_execnz .LBB156_84
.LBB156_63:
	s_or_b64 exec, exec, s[0:1]
	s_and_saveexec_b64 s[0:1], s[36:37]
	s_cbranch_execnz .LBB156_85
.LBB156_64:
	s_or_b64 exec, exec, s[0:1]
	s_and_saveexec_b64 s[0:1], s[38:39]
	s_cbranch_execnz .LBB156_86
.LBB156_65:
	s_or_b64 exec, exec, s[0:1]
	s_and_saveexec_b64 s[0:1], s[40:41]
	s_cbranch_execnz .LBB156_87
.LBB156_66:
	s_or_b64 exec, exec, s[0:1]
	s_and_saveexec_b64 s[0:1], s[42:43]
	s_cbranch_execnz .LBB156_88
.LBB156_67:
	s_endpgm
.LBB156_68:
	ds_read_b64 v[42:43], v46
	s_waitcnt lgkmcnt(0)
	global_store_dwordx2 v[40:41], v[42:43], off
	s_or_b64 exec, exec, s[4:5]
	s_and_saveexec_b64 s[0:1], s[2:3]
	s_cbranch_execz .LBB156_48
.LBB156_69:
	s_waitcnt lgkmcnt(9)
	global_store_dwordx2 v[40:41], v[36:37], off offset:512
	s_or_b64 exec, exec, s[0:1]
	s_and_saveexec_b64 s[0:1], s[44:45]
	s_cbranch_execz .LBB156_49
.LBB156_70:
	s_waitcnt lgkmcnt(9)
	global_store_dwordx2 v[40:41], v[38:39], off offset:1024
	s_or_b64 exec, exec, s[0:1]
	s_and_saveexec_b64 s[0:1], s[6:7]
	s_cbranch_execz .LBB156_50
.LBB156_71:
	s_waitcnt lgkmcnt(8)
	global_store_dwordx2 v[40:41], v[32:33], off offset:1536
	s_or_b64 exec, exec, s[0:1]
	s_and_saveexec_b64 s[0:1], s[8:9]
	s_cbranch_execz .LBB156_51
.LBB156_72:
	s_waitcnt lgkmcnt(8)
	global_store_dwordx2 v[40:41], v[34:35], off offset:2048
	s_or_b64 exec, exec, s[0:1]
	s_and_saveexec_b64 s[0:1], s[10:11]
	s_cbranch_execz .LBB156_52
.LBB156_73:
	s_waitcnt lgkmcnt(7)
	global_store_dwordx2 v[40:41], v[28:29], off offset:2560
	s_or_b64 exec, exec, s[0:1]
	s_and_saveexec_b64 s[0:1], s[12:13]
	s_cbranch_execz .LBB156_53
.LBB156_74:
	s_waitcnt lgkmcnt(7)
	global_store_dwordx2 v[40:41], v[30:31], off offset:3072
	s_or_b64 exec, exec, s[0:1]
	s_and_saveexec_b64 s[0:1], s[14:15]
	s_cbranch_execz .LBB156_54
.LBB156_75:
	s_waitcnt lgkmcnt(6)
	global_store_dwordx2 v[40:41], v[24:25], off offset:3584
	s_or_b64 exec, exec, s[0:1]
	s_and_saveexec_b64 s[0:1], s[16:17]
	s_cbranch_execz .LBB156_55
.LBB156_76:
	s_waitcnt lgkmcnt(6)
	v_add_co_u32_e32 v24, vcc, 0x1000, v40
	v_addc_co_u32_e32 v25, vcc, 0, v41, vcc
	global_store_dwordx2 v[24:25], v[26:27], off
	s_or_b64 exec, exec, s[0:1]
	s_and_saveexec_b64 s[0:1], s[18:19]
	s_cbranch_execz .LBB156_56
.LBB156_77:
	s_waitcnt lgkmcnt(6)
	v_add_co_u32_e32 v24, vcc, 0x1000, v40
	v_addc_co_u32_e32 v25, vcc, 0, v41, vcc
	s_waitcnt lgkmcnt(5)
	global_store_dwordx2 v[24:25], v[20:21], off offset:512
	s_or_b64 exec, exec, s[0:1]
	s_and_saveexec_b64 s[0:1], s[20:21]
	s_cbranch_execz .LBB156_57
.LBB156_78:
	s_waitcnt lgkmcnt(5)
	v_add_co_u32_e32 v20, vcc, 0x1000, v40
	v_addc_co_u32_e32 v21, vcc, 0, v41, vcc
	global_store_dwordx2 v[20:21], v[22:23], off offset:1024
	s_or_b64 exec, exec, s[0:1]
	s_and_saveexec_b64 s[0:1], s[22:23]
	s_cbranch_execz .LBB156_58
.LBB156_79:
	s_waitcnt lgkmcnt(5)
	v_add_co_u32_e32 v20, vcc, 0x1000, v40
	v_addc_co_u32_e32 v21, vcc, 0, v41, vcc
	s_waitcnt lgkmcnt(4)
	global_store_dwordx2 v[20:21], v[16:17], off offset:1536
	s_or_b64 exec, exec, s[0:1]
	s_and_saveexec_b64 s[0:1], s[24:25]
	s_cbranch_execz .LBB156_59
.LBB156_80:
	s_waitcnt lgkmcnt(4)
	v_add_co_u32_e32 v16, vcc, 0x1000, v40
	v_addc_co_u32_e32 v17, vcc, 0, v41, vcc
	global_store_dwordx2 v[16:17], v[18:19], off offset:2048
	s_or_b64 exec, exec, s[0:1]
	s_and_saveexec_b64 s[0:1], s[26:27]
	s_cbranch_execz .LBB156_60
.LBB156_81:
	s_waitcnt lgkmcnt(4)
	v_add_co_u32_e32 v16, vcc, 0x1000, v40
	v_addc_co_u32_e32 v17, vcc, 0, v41, vcc
	s_waitcnt lgkmcnt(3)
	global_store_dwordx2 v[16:17], v[12:13], off offset:2560
	s_or_b64 exec, exec, s[0:1]
	s_and_saveexec_b64 s[0:1], s[28:29]
	s_cbranch_execz .LBB156_61
.LBB156_82:
	s_waitcnt lgkmcnt(3)
	v_add_co_u32_e32 v12, vcc, 0x1000, v40
	v_addc_co_u32_e32 v13, vcc, 0, v41, vcc
	global_store_dwordx2 v[12:13], v[14:15], off offset:3072
	s_or_b64 exec, exec, s[0:1]
	s_and_saveexec_b64 s[0:1], s[30:31]
	s_cbranch_execz .LBB156_62
.LBB156_83:
	s_waitcnt lgkmcnt(3)
	v_add_co_u32_e32 v12, vcc, 0x1000, v40
	v_addc_co_u32_e32 v13, vcc, 0, v41, vcc
	s_waitcnt lgkmcnt(2)
	global_store_dwordx2 v[12:13], v[8:9], off offset:3584
	s_or_b64 exec, exec, s[0:1]
	s_and_saveexec_b64 s[0:1], s[34:35]
	s_cbranch_execz .LBB156_63
.LBB156_84:
	s_waitcnt lgkmcnt(2)
	v_add_co_u32_e32 v8, vcc, 0x2000, v40
	v_addc_co_u32_e32 v9, vcc, 0, v41, vcc
	global_store_dwordx2 v[8:9], v[10:11], off
	s_or_b64 exec, exec, s[0:1]
	s_and_saveexec_b64 s[0:1], s[36:37]
	s_cbranch_execz .LBB156_64
.LBB156_85:
	s_waitcnt lgkmcnt(2)
	v_add_co_u32_e32 v8, vcc, 0x2000, v40
	v_addc_co_u32_e32 v9, vcc, 0, v41, vcc
	s_waitcnt lgkmcnt(1)
	global_store_dwordx2 v[8:9], v[4:5], off offset:512
	s_or_b64 exec, exec, s[0:1]
	s_and_saveexec_b64 s[0:1], s[38:39]
	s_cbranch_execz .LBB156_65
.LBB156_86:
	s_waitcnt lgkmcnt(1)
	v_add_co_u32_e32 v4, vcc, 0x2000, v40
	v_addc_co_u32_e32 v5, vcc, 0, v41, vcc
	global_store_dwordx2 v[4:5], v[6:7], off offset:1024
	s_or_b64 exec, exec, s[0:1]
	s_and_saveexec_b64 s[0:1], s[40:41]
	s_cbranch_execz .LBB156_66
.LBB156_87:
	s_waitcnt lgkmcnt(1)
	v_add_co_u32_e32 v4, vcc, 0x2000, v40
	v_addc_co_u32_e32 v5, vcc, 0, v41, vcc
	s_waitcnt lgkmcnt(0)
	global_store_dwordx2 v[4:5], v[0:1], off offset:1536
	s_or_b64 exec, exec, s[0:1]
	s_and_saveexec_b64 s[0:1], s[42:43]
	s_cbranch_execz .LBB156_67
.LBB156_88:
	s_waitcnt lgkmcnt(0)
	v_add_co_u32_e32 v0, vcc, 0x2000, v40
	v_addc_co_u32_e32 v1, vcc, 0, v41, vcc
	global_store_dwordx2 v[0:1], v[2:3], off offset:2048
	s_endpgm
	.section	.rodata,"a",@progbits
	.p2align	6, 0x0
	.amdhsa_kernel _ZN7rocprim6detail18single_scan_kernelILb1ENS0_19wrapped_scan_configINS_14default_configEmEEN6hipcub22TransformInputIteratorImNS5_6CastOpImEEPmlEES9_NS5_3SumENS_12future_valueImS9_EEmEEvT1_mT4_T2_T3_
		.amdhsa_group_segment_fixed_size 10752
		.amdhsa_private_segment_fixed_size 0
		.amdhsa_kernarg_size 44
		.amdhsa_user_sgpr_count 6
		.amdhsa_user_sgpr_private_segment_buffer 1
		.amdhsa_user_sgpr_dispatch_ptr 0
		.amdhsa_user_sgpr_queue_ptr 0
		.amdhsa_user_sgpr_kernarg_segment_ptr 1
		.amdhsa_user_sgpr_dispatch_id 0
		.amdhsa_user_sgpr_flat_scratch_init 0
		.amdhsa_user_sgpr_kernarg_preload_length 0
		.amdhsa_user_sgpr_kernarg_preload_offset 0
		.amdhsa_user_sgpr_private_segment_size 0
		.amdhsa_uses_dynamic_stack 0
		.amdhsa_system_sgpr_private_segment_wavefront_offset 0
		.amdhsa_system_sgpr_workgroup_id_x 1
		.amdhsa_system_sgpr_workgroup_id_y 0
		.amdhsa_system_sgpr_workgroup_id_z 0
		.amdhsa_system_sgpr_workgroup_info 0
		.amdhsa_system_vgpr_workitem_id 0
		.amdhsa_next_free_vgpr 52
		.amdhsa_next_free_sgpr 54
		.amdhsa_accum_offset 52
		.amdhsa_reserve_vcc 1
		.amdhsa_reserve_flat_scratch 0
		.amdhsa_float_round_mode_32 0
		.amdhsa_float_round_mode_16_64 0
		.amdhsa_float_denorm_mode_32 3
		.amdhsa_float_denorm_mode_16_64 3
		.amdhsa_dx10_clamp 1
		.amdhsa_ieee_mode 1
		.amdhsa_fp16_overflow 0
		.amdhsa_tg_split 0
		.amdhsa_exception_fp_ieee_invalid_op 0
		.amdhsa_exception_fp_denorm_src 0
		.amdhsa_exception_fp_ieee_div_zero 0
		.amdhsa_exception_fp_ieee_overflow 0
		.amdhsa_exception_fp_ieee_underflow 0
		.amdhsa_exception_fp_ieee_inexact 0
		.amdhsa_exception_int_div_zero 0
	.end_amdhsa_kernel
	.section	.text._ZN7rocprim6detail18single_scan_kernelILb1ENS0_19wrapped_scan_configINS_14default_configEmEEN6hipcub22TransformInputIteratorImNS5_6CastOpImEEPmlEES9_NS5_3SumENS_12future_valueImS9_EEmEEvT1_mT4_T2_T3_,"axG",@progbits,_ZN7rocprim6detail18single_scan_kernelILb1ENS0_19wrapped_scan_configINS_14default_configEmEEN6hipcub22TransformInputIteratorImNS5_6CastOpImEEPmlEES9_NS5_3SumENS_12future_valueImS9_EEmEEvT1_mT4_T2_T3_,comdat
.Lfunc_end156:
	.size	_ZN7rocprim6detail18single_scan_kernelILb1ENS0_19wrapped_scan_configINS_14default_configEmEEN6hipcub22TransformInputIteratorImNS5_6CastOpImEEPmlEES9_NS5_3SumENS_12future_valueImS9_EEmEEvT1_mT4_T2_T3_, .Lfunc_end156-_ZN7rocprim6detail18single_scan_kernelILb1ENS0_19wrapped_scan_configINS_14default_configEmEEN6hipcub22TransformInputIteratorImNS5_6CastOpImEEPmlEES9_NS5_3SumENS_12future_valueImS9_EEmEEvT1_mT4_T2_T3_
                                        ; -- End function
	.section	.AMDGPU.csdata,"",@progbits
; Kernel info:
; codeLenInByte = 3312
; NumSgprs: 58
; NumVgprs: 52
; NumAgprs: 0
; TotalNumVgprs: 52
; ScratchSize: 0
; MemoryBound: 0
; FloatMode: 240
; IeeeMode: 1
; LDSByteSize: 10752 bytes/workgroup (compile time only)
; SGPRBlocks: 7
; VGPRBlocks: 6
; NumSGPRsForWavesPerEU: 58
; NumVGPRsForWavesPerEU: 52
; AccumOffset: 52
; Occupancy: 2
; WaveLimiterHint : 0
; COMPUTE_PGM_RSRC2:SCRATCH_EN: 0
; COMPUTE_PGM_RSRC2:USER_SGPR: 6
; COMPUTE_PGM_RSRC2:TRAP_HANDLER: 0
; COMPUTE_PGM_RSRC2:TGID_X_EN: 1
; COMPUTE_PGM_RSRC2:TGID_Y_EN: 0
; COMPUTE_PGM_RSRC2:TGID_Z_EN: 0
; COMPUTE_PGM_RSRC2:TIDIG_COMP_CNT: 0
; COMPUTE_PGM_RSRC3_GFX90A:ACCUM_OFFSET: 12
; COMPUTE_PGM_RSRC3_GFX90A:TG_SPLIT: 0
	.section	.text._ZL18fill_initial_valueImEvPT_S0_,"axG",@progbits,_ZL18fill_initial_valueImEvPT_S0_,comdat
	.globl	_ZL18fill_initial_valueImEvPT_S0_ ; -- Begin function _ZL18fill_initial_valueImEvPT_S0_
	.p2align	8
	.type	_ZL18fill_initial_valueImEvPT_S0_,@function
_ZL18fill_initial_valueImEvPT_S0_:      ; @_ZL18fill_initial_valueImEvPT_S0_
; %bb.0:
	s_load_dwordx4 s[0:3], s[4:5], 0x0
	v_mov_b32_e32 v2, 0
	s_waitcnt lgkmcnt(0)
	v_mov_b32_e32 v0, s2
	v_mov_b32_e32 v1, s3
	global_store_dwordx2 v2, v[0:1], s[0:1]
	s_endpgm
	.section	.rodata,"a",@progbits
	.p2align	6, 0x0
	.amdhsa_kernel _ZL18fill_initial_valueImEvPT_S0_
		.amdhsa_group_segment_fixed_size 0
		.amdhsa_private_segment_fixed_size 0
		.amdhsa_kernarg_size 16
		.amdhsa_user_sgpr_count 6
		.amdhsa_user_sgpr_private_segment_buffer 1
		.amdhsa_user_sgpr_dispatch_ptr 0
		.amdhsa_user_sgpr_queue_ptr 0
		.amdhsa_user_sgpr_kernarg_segment_ptr 1
		.amdhsa_user_sgpr_dispatch_id 0
		.amdhsa_user_sgpr_flat_scratch_init 0
		.amdhsa_user_sgpr_kernarg_preload_length 0
		.amdhsa_user_sgpr_kernarg_preload_offset 0
		.amdhsa_user_sgpr_private_segment_size 0
		.amdhsa_uses_dynamic_stack 0
		.amdhsa_system_sgpr_private_segment_wavefront_offset 0
		.amdhsa_system_sgpr_workgroup_id_x 1
		.amdhsa_system_sgpr_workgroup_id_y 0
		.amdhsa_system_sgpr_workgroup_id_z 0
		.amdhsa_system_sgpr_workgroup_info 0
		.amdhsa_system_vgpr_workitem_id 0
		.amdhsa_next_free_vgpr 3
		.amdhsa_next_free_sgpr 6
		.amdhsa_accum_offset 4
		.amdhsa_reserve_vcc 0
		.amdhsa_reserve_flat_scratch 0
		.amdhsa_float_round_mode_32 0
		.amdhsa_float_round_mode_16_64 0
		.amdhsa_float_denorm_mode_32 3
		.amdhsa_float_denorm_mode_16_64 3
		.amdhsa_dx10_clamp 1
		.amdhsa_ieee_mode 1
		.amdhsa_fp16_overflow 0
		.amdhsa_tg_split 0
		.amdhsa_exception_fp_ieee_invalid_op 0
		.amdhsa_exception_fp_denorm_src 0
		.amdhsa_exception_fp_ieee_div_zero 0
		.amdhsa_exception_fp_ieee_overflow 0
		.amdhsa_exception_fp_ieee_underflow 0
		.amdhsa_exception_fp_ieee_inexact 0
		.amdhsa_exception_int_div_zero 0
	.end_amdhsa_kernel
	.section	.text._ZL18fill_initial_valueImEvPT_S0_,"axG",@progbits,_ZL18fill_initial_valueImEvPT_S0_,comdat
.Lfunc_end157:
	.size	_ZL18fill_initial_valueImEvPT_S0_, .Lfunc_end157-_ZL18fill_initial_valueImEvPT_S0_
                                        ; -- End function
	.section	.AMDGPU.csdata,"",@progbits
; Kernel info:
; codeLenInByte = 36
; NumSgprs: 10
; NumVgprs: 3
; NumAgprs: 0
; TotalNumVgprs: 3
; ScratchSize: 0
; MemoryBound: 0
; FloatMode: 240
; IeeeMode: 1
; LDSByteSize: 0 bytes/workgroup (compile time only)
; SGPRBlocks: 1
; VGPRBlocks: 0
; NumSGPRsForWavesPerEU: 10
; NumVGPRsForWavesPerEU: 3
; AccumOffset: 4
; Occupancy: 8
; WaveLimiterHint : 0
; COMPUTE_PGM_RSRC2:SCRATCH_EN: 0
; COMPUTE_PGM_RSRC2:USER_SGPR: 6
; COMPUTE_PGM_RSRC2:TRAP_HANDLER: 0
; COMPUTE_PGM_RSRC2:TGID_X_EN: 1
; COMPUTE_PGM_RSRC2:TGID_Y_EN: 0
; COMPUTE_PGM_RSRC2:TGID_Z_EN: 0
; COMPUTE_PGM_RSRC2:TIDIG_COMP_CNT: 0
; COMPUTE_PGM_RSRC3_GFX90A:ACCUM_OFFSET: 0
; COMPUTE_PGM_RSRC3_GFX90A:TG_SPLIT: 0
	.section	.text._ZN7rocprim6detail20lookback_scan_kernelILNS0_25lookback_scan_determinismE0ELb1ENS0_19wrapped_scan_configINS_14default_configEyEEN6hipcub22TransformInputIteratorIyNS6_6CastOpIyEEPylEESA_NS6_3MinENS_12future_valueIySA_EEyNS0_19lookback_scan_stateIyLb1ELb1EEEEEvT2_T3_mT5_T4_T7_jPT6_SN_bb,"axG",@progbits,_ZN7rocprim6detail20lookback_scan_kernelILNS0_25lookback_scan_determinismE0ELb1ENS0_19wrapped_scan_configINS_14default_configEyEEN6hipcub22TransformInputIteratorIyNS6_6CastOpIyEEPylEESA_NS6_3MinENS_12future_valueIySA_EEyNS0_19lookback_scan_stateIyLb1ELb1EEEEEvT2_T3_mT5_T4_T7_jPT6_SN_bb,comdat
	.protected	_ZN7rocprim6detail20lookback_scan_kernelILNS0_25lookback_scan_determinismE0ELb1ENS0_19wrapped_scan_configINS_14default_configEyEEN6hipcub22TransformInputIteratorIyNS6_6CastOpIyEEPylEESA_NS6_3MinENS_12future_valueIySA_EEyNS0_19lookback_scan_stateIyLb1ELb1EEEEEvT2_T3_mT5_T4_T7_jPT6_SN_bb ; -- Begin function _ZN7rocprim6detail20lookback_scan_kernelILNS0_25lookback_scan_determinismE0ELb1ENS0_19wrapped_scan_configINS_14default_configEyEEN6hipcub22TransformInputIteratorIyNS6_6CastOpIyEEPylEESA_NS6_3MinENS_12future_valueIySA_EEyNS0_19lookback_scan_stateIyLb1ELb1EEEEEvT2_T3_mT5_T4_T7_jPT6_SN_bb
	.globl	_ZN7rocprim6detail20lookback_scan_kernelILNS0_25lookback_scan_determinismE0ELb1ENS0_19wrapped_scan_configINS_14default_configEyEEN6hipcub22TransformInputIteratorIyNS6_6CastOpIyEEPylEESA_NS6_3MinENS_12future_valueIySA_EEyNS0_19lookback_scan_stateIyLb1ELb1EEEEEvT2_T3_mT5_T4_T7_jPT6_SN_bb
	.p2align	8
	.type	_ZN7rocprim6detail20lookback_scan_kernelILNS0_25lookback_scan_determinismE0ELb1ENS0_19wrapped_scan_configINS_14default_configEyEEN6hipcub22TransformInputIteratorIyNS6_6CastOpIyEEPylEESA_NS6_3MinENS_12future_valueIySA_EEyNS0_19lookback_scan_stateIyLb1ELb1EEEEEvT2_T3_mT5_T4_T7_jPT6_SN_bb,@function
_ZN7rocprim6detail20lookback_scan_kernelILNS0_25lookback_scan_determinismE0ELb1ENS0_19wrapped_scan_configINS_14default_configEyEEN6hipcub22TransformInputIteratorIyNS6_6CastOpIyEEPylEESA_NS6_3MinENS_12future_valueIySA_EEyNS0_19lookback_scan_stateIyLb1ELb1EEEEEvT2_T3_mT5_T4_T7_jPT6_SN_bb: ; @_ZN7rocprim6detail20lookback_scan_kernelILNS0_25lookback_scan_determinismE0ELb1ENS0_19wrapped_scan_configINS_14default_configEyEEN6hipcub22TransformInputIteratorIyNS6_6CastOpIyEEPylEESA_NS6_3MinENS_12future_valueIySA_EEyNS0_19lookback_scan_stateIyLb1ELb1EEEEEvT2_T3_mT5_T4_T7_jPT6_SN_bb
; %bb.0:
	s_endpgm
	.section	.rodata,"a",@progbits
	.p2align	6, 0x0
	.amdhsa_kernel _ZN7rocprim6detail20lookback_scan_kernelILNS0_25lookback_scan_determinismE0ELb1ENS0_19wrapped_scan_configINS_14default_configEyEEN6hipcub22TransformInputIteratorIyNS6_6CastOpIyEEPylEESA_NS6_3MinENS_12future_valueIySA_EEyNS0_19lookback_scan_stateIyLb1ELb1EEEEEvT2_T3_mT5_T4_T7_jPT6_SN_bb
		.amdhsa_group_segment_fixed_size 0
		.amdhsa_private_segment_fixed_size 0
		.amdhsa_kernarg_size 84
		.amdhsa_user_sgpr_count 6
		.amdhsa_user_sgpr_private_segment_buffer 1
		.amdhsa_user_sgpr_dispatch_ptr 0
		.amdhsa_user_sgpr_queue_ptr 0
		.amdhsa_user_sgpr_kernarg_segment_ptr 1
		.amdhsa_user_sgpr_dispatch_id 0
		.amdhsa_user_sgpr_flat_scratch_init 0
		.amdhsa_user_sgpr_kernarg_preload_length 0
		.amdhsa_user_sgpr_kernarg_preload_offset 0
		.amdhsa_user_sgpr_private_segment_size 0
		.amdhsa_uses_dynamic_stack 0
		.amdhsa_system_sgpr_private_segment_wavefront_offset 0
		.amdhsa_system_sgpr_workgroup_id_x 1
		.amdhsa_system_sgpr_workgroup_id_y 0
		.amdhsa_system_sgpr_workgroup_id_z 0
		.amdhsa_system_sgpr_workgroup_info 0
		.amdhsa_system_vgpr_workitem_id 0
		.amdhsa_next_free_vgpr 1
		.amdhsa_next_free_sgpr 0
		.amdhsa_accum_offset 4
		.amdhsa_reserve_vcc 0
		.amdhsa_reserve_flat_scratch 0
		.amdhsa_float_round_mode_32 0
		.amdhsa_float_round_mode_16_64 0
		.amdhsa_float_denorm_mode_32 3
		.amdhsa_float_denorm_mode_16_64 3
		.amdhsa_dx10_clamp 1
		.amdhsa_ieee_mode 1
		.amdhsa_fp16_overflow 0
		.amdhsa_tg_split 0
		.amdhsa_exception_fp_ieee_invalid_op 0
		.amdhsa_exception_fp_denorm_src 0
		.amdhsa_exception_fp_ieee_div_zero 0
		.amdhsa_exception_fp_ieee_overflow 0
		.amdhsa_exception_fp_ieee_underflow 0
		.amdhsa_exception_fp_ieee_inexact 0
		.amdhsa_exception_int_div_zero 0
	.end_amdhsa_kernel
	.section	.text._ZN7rocprim6detail20lookback_scan_kernelILNS0_25lookback_scan_determinismE0ELb1ENS0_19wrapped_scan_configINS_14default_configEyEEN6hipcub22TransformInputIteratorIyNS6_6CastOpIyEEPylEESA_NS6_3MinENS_12future_valueIySA_EEyNS0_19lookback_scan_stateIyLb1ELb1EEEEEvT2_T3_mT5_T4_T7_jPT6_SN_bb,"axG",@progbits,_ZN7rocprim6detail20lookback_scan_kernelILNS0_25lookback_scan_determinismE0ELb1ENS0_19wrapped_scan_configINS_14default_configEyEEN6hipcub22TransformInputIteratorIyNS6_6CastOpIyEEPylEESA_NS6_3MinENS_12future_valueIySA_EEyNS0_19lookback_scan_stateIyLb1ELb1EEEEEvT2_T3_mT5_T4_T7_jPT6_SN_bb,comdat
.Lfunc_end158:
	.size	_ZN7rocprim6detail20lookback_scan_kernelILNS0_25lookback_scan_determinismE0ELb1ENS0_19wrapped_scan_configINS_14default_configEyEEN6hipcub22TransformInputIteratorIyNS6_6CastOpIyEEPylEESA_NS6_3MinENS_12future_valueIySA_EEyNS0_19lookback_scan_stateIyLb1ELb1EEEEEvT2_T3_mT5_T4_T7_jPT6_SN_bb, .Lfunc_end158-_ZN7rocprim6detail20lookback_scan_kernelILNS0_25lookback_scan_determinismE0ELb1ENS0_19wrapped_scan_configINS_14default_configEyEEN6hipcub22TransformInputIteratorIyNS6_6CastOpIyEEPylEESA_NS6_3MinENS_12future_valueIySA_EEyNS0_19lookback_scan_stateIyLb1ELb1EEEEEvT2_T3_mT5_T4_T7_jPT6_SN_bb
                                        ; -- End function
	.section	.AMDGPU.csdata,"",@progbits
; Kernel info:
; codeLenInByte = 4
; NumSgprs: 4
; NumVgprs: 0
; NumAgprs: 0
; TotalNumVgprs: 0
; ScratchSize: 0
; MemoryBound: 0
; FloatMode: 240
; IeeeMode: 1
; LDSByteSize: 0 bytes/workgroup (compile time only)
; SGPRBlocks: 0
; VGPRBlocks: 0
; NumSGPRsForWavesPerEU: 4
; NumVGPRsForWavesPerEU: 1
; AccumOffset: 4
; Occupancy: 8
; WaveLimiterHint : 0
; COMPUTE_PGM_RSRC2:SCRATCH_EN: 0
; COMPUTE_PGM_RSRC2:USER_SGPR: 6
; COMPUTE_PGM_RSRC2:TRAP_HANDLER: 0
; COMPUTE_PGM_RSRC2:TGID_X_EN: 1
; COMPUTE_PGM_RSRC2:TGID_Y_EN: 0
; COMPUTE_PGM_RSRC2:TGID_Z_EN: 0
; COMPUTE_PGM_RSRC2:TIDIG_COMP_CNT: 0
; COMPUTE_PGM_RSRC3_GFX90A:ACCUM_OFFSET: 0
; COMPUTE_PGM_RSRC3_GFX90A:TG_SPLIT: 0
	.section	.text._ZN7rocprim6detail20lookback_scan_kernelILNS0_25lookback_scan_determinismE0ELb1ENS0_19wrapped_scan_configINS_14default_configEyEEN6hipcub22TransformInputIteratorIyNS6_6CastOpIyEEPylEESA_NS6_3MinENS_12future_valueIySA_EEyNS0_19lookback_scan_stateIyLb0ELb1EEEEEvT2_T3_mT5_T4_T7_jPT6_SN_bb,"axG",@progbits,_ZN7rocprim6detail20lookback_scan_kernelILNS0_25lookback_scan_determinismE0ELb1ENS0_19wrapped_scan_configINS_14default_configEyEEN6hipcub22TransformInputIteratorIyNS6_6CastOpIyEEPylEESA_NS6_3MinENS_12future_valueIySA_EEyNS0_19lookback_scan_stateIyLb0ELb1EEEEEvT2_T3_mT5_T4_T7_jPT6_SN_bb,comdat
	.protected	_ZN7rocprim6detail20lookback_scan_kernelILNS0_25lookback_scan_determinismE0ELb1ENS0_19wrapped_scan_configINS_14default_configEyEEN6hipcub22TransformInputIteratorIyNS6_6CastOpIyEEPylEESA_NS6_3MinENS_12future_valueIySA_EEyNS0_19lookback_scan_stateIyLb0ELb1EEEEEvT2_T3_mT5_T4_T7_jPT6_SN_bb ; -- Begin function _ZN7rocprim6detail20lookback_scan_kernelILNS0_25lookback_scan_determinismE0ELb1ENS0_19wrapped_scan_configINS_14default_configEyEEN6hipcub22TransformInputIteratorIyNS6_6CastOpIyEEPylEESA_NS6_3MinENS_12future_valueIySA_EEyNS0_19lookback_scan_stateIyLb0ELb1EEEEEvT2_T3_mT5_T4_T7_jPT6_SN_bb
	.globl	_ZN7rocprim6detail20lookback_scan_kernelILNS0_25lookback_scan_determinismE0ELb1ENS0_19wrapped_scan_configINS_14default_configEyEEN6hipcub22TransformInputIteratorIyNS6_6CastOpIyEEPylEESA_NS6_3MinENS_12future_valueIySA_EEyNS0_19lookback_scan_stateIyLb0ELb1EEEEEvT2_T3_mT5_T4_T7_jPT6_SN_bb
	.p2align	8
	.type	_ZN7rocprim6detail20lookback_scan_kernelILNS0_25lookback_scan_determinismE0ELb1ENS0_19wrapped_scan_configINS_14default_configEyEEN6hipcub22TransformInputIteratorIyNS6_6CastOpIyEEPylEESA_NS6_3MinENS_12future_valueIySA_EEyNS0_19lookback_scan_stateIyLb0ELb1EEEEEvT2_T3_mT5_T4_T7_jPT6_SN_bb,@function
_ZN7rocprim6detail20lookback_scan_kernelILNS0_25lookback_scan_determinismE0ELb1ENS0_19wrapped_scan_configINS_14default_configEyEEN6hipcub22TransformInputIteratorIyNS6_6CastOpIyEEPylEESA_NS6_3MinENS_12future_valueIySA_EEyNS0_19lookback_scan_stateIyLb0ELb1EEEEEvT2_T3_mT5_T4_T7_jPT6_SN_bb: ; @_ZN7rocprim6detail20lookback_scan_kernelILNS0_25lookback_scan_determinismE0ELb1ENS0_19wrapped_scan_configINS_14default_configEyEEN6hipcub22TransformInputIteratorIyNS6_6CastOpIyEEPylEESA_NS6_3MinENS_12future_valueIySA_EEyNS0_19lookback_scan_stateIyLb0ELb1EEEEEvT2_T3_mT5_T4_T7_jPT6_SN_bb
; %bb.0:
	s_load_dwordx2 s[0:1], s[4:5], 0x20
	s_load_dword s2, s[4:5], 0x38
	s_load_dwordx2 s[18:19], s[4:5], 0x0
	s_load_dwordx4 s[8:11], s[4:5], 0x10
	v_lshlrev_b32_e32 v88, 3, v0
	s_waitcnt lgkmcnt(0)
	s_load_dwordx2 s[20:21], s[0:1], 0x0
	s_add_i32 s2, s2, -1
	s_mul_i32 s3, s2, 0x540
	s_sub_u32 s24, s10, s3
	s_subb_u32 s25, s11, 0
	s_mul_i32 s0, s6, 0x540
	s_mov_b32 s1, 0
	s_cmp_lg_u32 s6, s2
	s_cselect_b64 s[10:11], -1, 0
	s_lshl_b64 s[16:17], s[0:1], 3
	s_add_u32 s12, s18, s16
	s_addc_u32 s13, s19, s17
	s_mov_b64 s[0:1], -1
	s_and_b64 vcc, exec, s[10:11]
	s_cbranch_vccz .LBB159_2
; %bb.1:
	v_mov_b32_e32 v1, s13
	v_add_co_u32_e32 v36, vcc, s12, v88
	v_addc_co_u32_e32 v1, vcc, 0, v1, vcc
	v_add_co_u32_e32 v18, vcc, 0x1000, v36
	v_addc_co_u32_e32 v19, vcc, 0, v1, vcc
	global_load_dwordx2 v[2:3], v88, s[12:13]
	global_load_dwordx2 v[4:5], v88, s[12:13] offset:512
	global_load_dwordx2 v[6:7], v88, s[12:13] offset:1024
	;; [unrolled: 1-line block ×7, first 2 shown]
	global_load_dwordx2 v[20:21], v[18:19], off
	global_load_dwordx2 v[22:23], v[18:19], off offset:512
	global_load_dwordx2 v[24:25], v[18:19], off offset:1024
	;; [unrolled: 1-line block ×7, first 2 shown]
	v_add_co_u32_e32 v18, vcc, 0x2000, v36
	v_addc_co_u32_e32 v19, vcc, 0, v1, vcc
	global_load_dwordx2 v[36:37], v[18:19], off
	global_load_dwordx2 v[38:39], v[18:19], off offset:512
	global_load_dwordx2 v[40:41], v[18:19], off offset:1024
	;; [unrolled: 1-line block ×4, first 2 shown]
	s_mov_b64 s[0:1], 0
	s_waitcnt vmcnt(19)
	ds_write2st64_b64 v88, v[2:3], v[4:5] offset1:1
	s_waitcnt vmcnt(17)
	ds_write2st64_b64 v88, v[6:7], v[8:9] offset0:2 offset1:3
	s_waitcnt vmcnt(15)
	ds_write2st64_b64 v88, v[10:11], v[12:13] offset0:4 offset1:5
	;; [unrolled: 2-line block ×9, first 2 shown]
	s_waitcnt vmcnt(0)
	ds_write_b64 v88, v[44:45] offset:10240
	s_waitcnt lgkmcnt(0)
	; wave barrier
.LBB159_2:
	s_andn2_b64 vcc, exec, s[0:1]
	v_cmp_gt_u32_e64 s[0:1], s24, v0
	s_cbranch_vccnz .LBB159_46
; %bb.3:
	s_load_dwordx2 s[2:3], s[12:13], 0x0
	v_mov_b32_e32 v1, s13
	v_add_co_u32_e32 v4, vcc, s12, v88
	v_addc_co_u32_e32 v5, vcc, 0, v1, vcc
	s_waitcnt lgkmcnt(0)
	v_pk_mov_b32 v[2:3], s[2:3], s[2:3] op_sel:[0,1]
	s_and_saveexec_b64 s[12:13], s[0:1]
	s_cbranch_execz .LBB159_5
; %bb.4:
	global_load_dwordx2 v[2:3], v[4:5], off
.LBB159_5:
	s_or_b64 exec, exec, s[12:13]
	v_or_b32_e32 v1, 64, v0
	v_cmp_gt_u32_e32 vcc, s24, v1
	v_pk_mov_b32 v[6:7], s[2:3], s[2:3] op_sel:[0,1]
	s_and_saveexec_b64 s[0:1], vcc
	s_cbranch_execz .LBB159_7
; %bb.6:
	global_load_dwordx2 v[6:7], v[4:5], off offset:512
.LBB159_7:
	s_or_b64 exec, exec, s[0:1]
	v_or_b32_e32 v1, 0x80, v0
	v_cmp_gt_u32_e32 vcc, s24, v1
	v_pk_mov_b32 v[8:9], s[2:3], s[2:3] op_sel:[0,1]
	s_and_saveexec_b64 s[0:1], vcc
	s_cbranch_execz .LBB159_9
; %bb.8:
	global_load_dwordx2 v[8:9], v[4:5], off offset:1024
.LBB159_9:
	;; [unrolled: 9-line block ×7, first 2 shown]
	s_or_b64 exec, exec, s[0:1]
	v_or_b32_e32 v1, 0x200, v0
	v_cmp_gt_u32_e32 vcc, s24, v1
	v_pk_mov_b32 v[20:21], s[2:3], s[2:3] op_sel:[0,1]
	s_and_saveexec_b64 s[0:1], vcc
	s_cbranch_execz .LBB159_21
; %bb.20:
	v_add_co_u32_e32 v20, vcc, 0x1000, v4
	v_addc_co_u32_e32 v21, vcc, 0, v5, vcc
	global_load_dwordx2 v[20:21], v[20:21], off
.LBB159_21:
	s_or_b64 exec, exec, s[0:1]
	v_or_b32_e32 v1, 0x240, v0
	v_cmp_gt_u32_e32 vcc, s24, v1
	v_pk_mov_b32 v[22:23], s[2:3], s[2:3] op_sel:[0,1]
	s_and_saveexec_b64 s[0:1], vcc
	s_cbranch_execz .LBB159_23
; %bb.22:
	v_add_co_u32_e32 v22, vcc, 0x1000, v4
	v_addc_co_u32_e32 v23, vcc, 0, v5, vcc
	global_load_dwordx2 v[22:23], v[22:23], off offset:512
.LBB159_23:
	s_or_b64 exec, exec, s[0:1]
	v_or_b32_e32 v1, 0x280, v0
	v_cmp_gt_u32_e32 vcc, s24, v1
	v_pk_mov_b32 v[24:25], s[2:3], s[2:3] op_sel:[0,1]
	s_and_saveexec_b64 s[0:1], vcc
	s_cbranch_execz .LBB159_25
; %bb.24:
	v_add_co_u32_e32 v24, vcc, 0x1000, v4
	v_addc_co_u32_e32 v25, vcc, 0, v5, vcc
	global_load_dwordx2 v[24:25], v[24:25], off offset:1024
.LBB159_25:
	;; [unrolled: 11-line block ×7, first 2 shown]
	s_or_b64 exec, exec, s[0:1]
	v_or_b32_e32 v1, 0x400, v0
	v_cmp_gt_u32_e32 vcc, s24, v1
	v_pk_mov_b32 v[36:37], s[2:3], s[2:3] op_sel:[0,1]
	s_and_saveexec_b64 s[0:1], vcc
	s_cbranch_execz .LBB159_37
; %bb.36:
	v_add_co_u32_e32 v36, vcc, 0x2000, v4
	v_addc_co_u32_e32 v37, vcc, 0, v5, vcc
	global_load_dwordx2 v[36:37], v[36:37], off
.LBB159_37:
	s_or_b64 exec, exec, s[0:1]
	v_or_b32_e32 v1, 0x440, v0
	v_cmp_gt_u32_e32 vcc, s24, v1
	v_pk_mov_b32 v[38:39], s[2:3], s[2:3] op_sel:[0,1]
	s_and_saveexec_b64 s[0:1], vcc
	s_cbranch_execz .LBB159_39
; %bb.38:
	v_add_co_u32_e32 v38, vcc, 0x2000, v4
	v_addc_co_u32_e32 v39, vcc, 0, v5, vcc
	global_load_dwordx2 v[38:39], v[38:39], off offset:512
.LBB159_39:
	s_or_b64 exec, exec, s[0:1]
	v_or_b32_e32 v1, 0x480, v0
	v_cmp_gt_u32_e32 vcc, s24, v1
	v_pk_mov_b32 v[40:41], s[2:3], s[2:3] op_sel:[0,1]
	s_and_saveexec_b64 s[0:1], vcc
	s_cbranch_execz .LBB159_41
; %bb.40:
	v_add_co_u32_e32 v40, vcc, 0x2000, v4
	v_addc_co_u32_e32 v41, vcc, 0, v5, vcc
	global_load_dwordx2 v[40:41], v[40:41], off offset:1024
.LBB159_41:
	;; [unrolled: 11-line block ×4, first 2 shown]
	s_or_b64 exec, exec, s[0:1]
	s_waitcnt vmcnt(0)
	ds_write2st64_b64 v88, v[2:3], v[6:7] offset1:1
	ds_write2st64_b64 v88, v[8:9], v[10:11] offset0:2 offset1:3
	ds_write2st64_b64 v88, v[12:13], v[14:15] offset0:4 offset1:5
	;; [unrolled: 1-line block ×9, first 2 shown]
	ds_write_b64 v88, v[44:45] offset:10240
	s_waitcnt lgkmcnt(0)
	; wave barrier
.LBB159_46:
	s_load_dwordx2 s[22:23], s[4:5], 0x30
	v_mul_u32_u24_e32 v89, 21, v0
	v_lshlrev_b32_e32 v90, 3, v89
	s_waitcnt lgkmcnt(0)
	ds_read2_b64 v[38:41], v90 offset1:1
	ds_read2_b64 v[34:37], v90 offset0:2 offset1:3
	ds_read2_b64 v[30:33], v90 offset0:4 offset1:5
	;; [unrolled: 1-line block ×9, first 2 shown]
	ds_read_b64 v[64:65], v90 offset:160
	s_cmp_lg_u32 s6, 0
	s_waitcnt lgkmcnt(10)
	v_cmp_lt_u64_e32 vcc, v[38:39], v[40:41]
	v_mbcnt_lo_u32_b32 v1, -1, 0
	s_waitcnt lgkmcnt(0)
	; wave barrier
	s_waitcnt lgkmcnt(0)
	s_cbranch_scc0 .LBB159_71
; %bb.47:
	v_cndmask_b32_e32 v43, v41, v39, vcc
	v_cndmask_b32_e32 v42, v40, v38, vcc
	v_cmp_lt_u64_e32 vcc, v[42:43], v[34:35]
	v_cndmask_b32_e32 v43, v35, v43, vcc
	v_cndmask_b32_e32 v42, v34, v42, vcc
	v_cmp_lt_u64_e32 vcc, v[42:43], v[36:37]
	;; [unrolled: 3-line block ×19, first 2 shown]
	v_cndmask_b32_e32 v43, v65, v43, vcc
	v_cndmask_b32_e32 v42, v64, v42, vcc
	v_mbcnt_hi_u32_b32 v53, -1, v1
	v_mov_b32_dpp v45, v43 row_shr:1 row_mask:0xf bank_mask:0xf
	v_mov_b32_dpp v44, v42 row_shr:1 row_mask:0xf bank_mask:0xf
	v_and_b32_e32 v48, 15, v53
	v_cmp_lt_u64_e32 vcc, v[44:45], v[42:43]
	v_cndmask_b32_e32 v44, v42, v44, vcc
	v_cndmask_b32_e32 v45, v43, v45, vcc
	v_cmp_eq_u32_e32 vcc, 0, v48
	v_cndmask_b32_e32 v45, v45, v43, vcc
	v_cndmask_b32_e32 v44, v44, v42, vcc
	v_and_b32_e32 v50, 16, v53
	v_mov_b32_dpp v47, v45 row_shr:2 row_mask:0xf bank_mask:0xf
	v_mov_b32_dpp v46, v44 row_shr:2 row_mask:0xf bank_mask:0xf
	v_cmp_lt_u64_e32 vcc, v[46:47], v[44:45]
	v_cndmask_b32_e32 v46, v44, v46, vcc
	v_cndmask_b32_e32 v47, v45, v47, vcc
	v_cmp_lt_u32_e32 vcc, 1, v48
	v_cndmask_b32_e32 v45, v45, v47, vcc
	v_cndmask_b32_e32 v44, v44, v46, vcc
	v_cmp_eq_u32_e64 s[0:1], 0, v53
	v_mov_b32_dpp v47, v45 row_shr:4 row_mask:0xf bank_mask:0xf
	v_mov_b32_dpp v46, v44 row_shr:4 row_mask:0xf bank_mask:0xf
	v_cmp_lt_u64_e32 vcc, v[46:47], v[44:45]
	v_cndmask_b32_e32 v46, v44, v46, vcc
	v_cndmask_b32_e32 v47, v45, v47, vcc
	v_cmp_lt_u32_e32 vcc, 3, v48
	v_cndmask_b32_e32 v45, v45, v47, vcc
	v_cndmask_b32_e32 v44, v44, v46, vcc
	v_cmp_ne_u32_e64 s[2:3], 0, v53
	v_mov_b32_dpp v47, v45 row_shr:8 row_mask:0xf bank_mask:0xf
	v_mov_b32_dpp v46, v44 row_shr:8 row_mask:0xf bank_mask:0xf
	v_cmp_lt_u64_e32 vcc, v[46:47], v[44:45]
	v_cndmask_b32_e32 v46, v44, v46, vcc
	v_cndmask_b32_e32 v47, v45, v47, vcc
	v_cmp_lt_u32_e32 vcc, 7, v48
	v_cndmask_b32_e32 v45, v45, v47, vcc
	v_cndmask_b32_e32 v44, v44, v46, vcc
	s_nop 0
	v_mov_b32_dpp v47, v45 row_bcast:15 row_mask:0xf bank_mask:0xf
	v_mov_b32_dpp v46, v44 row_bcast:15 row_mask:0xf bank_mask:0xf
	v_cmp_lt_u64_e32 vcc, v[46:47], v[44:45]
	v_cndmask_b32_e32 v48, v45, v47, vcc
	v_cndmask_b32_e32 v49, v44, v46, vcc
	v_cmp_eq_u32_e32 vcc, 0, v50
	v_cndmask_b32_e32 v47, v48, v45, vcc
	v_cndmask_b32_e32 v46, v49, v44, vcc
	s_nop 0
	v_mov_b32_dpp v47, v47 row_bcast:31 row_mask:0xf bank_mask:0xf
	v_mov_b32_dpp v46, v46 row_bcast:31 row_mask:0xf bank_mask:0xf
	s_and_saveexec_b64 s[12:13], s[2:3]
; %bb.48:
	v_cndmask_b32_e32 v43, v48, v45, vcc
	v_cndmask_b32_e32 v42, v49, v44, vcc
	v_cmp_lt_u32_e64 s[2:3], 31, v53
	v_cmp_lt_u64_e32 vcc, v[46:47], v[42:43]
	s_and_b64 vcc, s[2:3], vcc
	v_cndmask_b32_e32 v43, v43, v47, vcc
	v_cndmask_b32_e32 v42, v42, v46, vcc
; %bb.49:
	s_or_b64 exec, exec, s[12:13]
	v_cmp_eq_u32_e32 vcc, 63, v0
	s_and_saveexec_b64 s[2:3], vcc
	s_cbranch_execz .LBB159_51
; %bb.50:
	v_mov_b32_e32 v44, 0
	ds_write_b64 v44, v[42:43]
.LBB159_51:
	s_or_b64 exec, exec, s[2:3]
	v_add_u32_e32 v44, -1, v53
	v_and_b32_e32 v45, 64, v53
	v_cmp_lt_i32_e32 vcc, v44, v45
	v_cndmask_b32_e32 v44, v44, v53, vcc
	v_lshlrev_b32_e32 v44, 2, v44
	ds_bpermute_b32 v50, v44, v42
	ds_bpermute_b32 v51, v44, v43
	v_cmp_gt_u32_e32 vcc, 64, v0
	s_waitcnt lgkmcnt(0)
	; wave barrier
	s_waitcnt lgkmcnt(0)
	s_and_saveexec_b64 s[12:13], vcc
	s_cbranch_execz .LBB159_70
; %bb.52:
	v_mov_b32_e32 v45, 0
	ds_read_b64 v[42:43], v45
	s_and_saveexec_b64 s[2:3], s[0:1]
	s_cbranch_execz .LBB159_54
; %bb.53:
	s_add_i32 s14, s6, 64
	s_mov_b32 s15, 0
	s_lshl_b64 s[14:15], s[14:15], 4
	s_add_u32 s14, s22, s14
	s_addc_u32 s15, s23, s15
	v_mov_b32_e32 v44, 1
	v_pk_mov_b32 v[46:47], s[14:15], s[14:15] op_sel:[0,1]
	s_waitcnt lgkmcnt(0)
	;;#ASMSTART
	global_store_dwordx4 v[46:47], v[42:45] off	
s_waitcnt vmcnt(0)
	;;#ASMEND
.LBB159_54:
	s_or_b64 exec, exec, s[2:3]
	v_xad_u32 v52, v53, -1, s6
	v_add_u32_e32 v44, 64, v52
	v_lshlrev_b64 v[46:47], 4, v[44:45]
	v_mov_b32_e32 v44, s23
	v_add_co_u32_e32 v54, vcc, s22, v46
	v_addc_co_u32_e32 v55, vcc, v44, v47, vcc
	;;#ASMSTART
	global_load_dwordx4 v[46:49], v[54:55] off glc	
s_waitcnt vmcnt(0)
	;;#ASMEND
	v_cmp_eq_u16_sdwa s[14:15], v48, v45 src0_sel:BYTE_0 src1_sel:DWORD
	s_and_saveexec_b64 s[2:3], s[14:15]
	s_cbranch_execz .LBB159_58
; %bb.55:
	s_mov_b64 s[14:15], 0
	v_mov_b32_e32 v44, 0
.LBB159_56:                             ; =>This Inner Loop Header: Depth=1
	;;#ASMSTART
	global_load_dwordx4 v[46:49], v[54:55] off glc	
s_waitcnt vmcnt(0)
	;;#ASMEND
	v_cmp_ne_u16_sdwa s[26:27], v48, v44 src0_sel:BYTE_0 src1_sel:DWORD
	s_or_b64 s[14:15], s[26:27], s[14:15]
	s_andn2_b64 exec, exec, s[14:15]
	s_cbranch_execnz .LBB159_56
; %bb.57:
	s_or_b64 exec, exec, s[14:15]
.LBB159_58:
	s_or_b64 exec, exec, s[2:3]
	v_and_b32_e32 v57, 63, v53
	v_cmp_ne_u32_e32 vcc, 63, v57
	v_addc_co_u32_e32 v54, vcc, 0, v53, vcc
	v_mov_b32_e32 v58, 2
	v_lshlrev_b32_e32 v59, 2, v54
	v_cmp_eq_u16_sdwa s[2:3], v48, v58 src0_sel:BYTE_0 src1_sel:DWORD
	v_lshlrev_b64 v[44:45], v53, -1
	ds_bpermute_b32 v54, v59, v46
	ds_bpermute_b32 v55, v59, v47
	v_and_b32_e32 v49, s3, v45
	v_or_b32_e32 v49, 0x80000000, v49
	v_and_b32_e32 v56, s2, v44
	v_ffbl_b32_e32 v49, v49
	v_add_u32_e32 v49, 32, v49
	v_ffbl_b32_e32 v56, v56
	v_min_u32_e32 v49, v56, v49
	v_add_u32_e32 v60, 1, v53
	s_waitcnt lgkmcnt(0)
	v_cmp_lt_u64_e32 vcc, v[54:55], v[46:47]
	v_cndmask_b32_e32 v55, v47, v55, vcc
	v_cndmask_b32_e32 v54, v46, v54, vcc
	v_cmp_gt_u32_e32 vcc, v60, v49
	v_cndmask_b32_e32 v46, v54, v46, vcc
	v_cndmask_b32_e32 v47, v55, v47, vcc
	v_cmp_gt_u32_e32 vcc, 62, v57
	v_cndmask_b32_e64 v54, 0, 1, vcc
	v_lshlrev_b32_e32 v54, 1, v54
	v_add_lshl_u32 v61, v54, v53, 2
	ds_bpermute_b32 v54, v61, v46
	ds_bpermute_b32 v55, v61, v47
	v_add_u32_e32 v62, 2, v53
	v_add_u32_e32 v66, 4, v53
	;; [unrolled: 1-line block ×4, first 2 shown]
	s_waitcnt lgkmcnt(0)
	v_cmp_lt_u64_e32 vcc, v[54:55], v[46:47]
	v_cndmask_b32_e32 v55, v47, v55, vcc
	v_cndmask_b32_e32 v54, v46, v54, vcc
	v_cmp_gt_u32_e32 vcc, v62, v49
	v_cndmask_b32_e32 v46, v54, v46, vcc
	v_cndmask_b32_e32 v47, v55, v47, vcc
	v_cmp_gt_u32_e32 vcc, 60, v57
	v_cndmask_b32_e64 v54, 0, 1, vcc
	v_lshlrev_b32_e32 v54, 2, v54
	v_add_lshl_u32 v63, v54, v53, 2
	ds_bpermute_b32 v54, v63, v46
	ds_bpermute_b32 v55, v63, v47
	v_cmp_gt_u32_e64 s[2:3], 32, v57
	v_add_u32_e32 v72, 32, v53
	s_waitcnt lgkmcnt(0)
	v_cmp_lt_u64_e32 vcc, v[54:55], v[46:47]
	v_cndmask_b32_e32 v55, v47, v55, vcc
	v_cndmask_b32_e32 v54, v46, v54, vcc
	v_cmp_gt_u32_e32 vcc, v66, v49
	v_cndmask_b32_e32 v46, v54, v46, vcc
	v_cndmask_b32_e32 v47, v55, v47, vcc
	v_cmp_gt_u32_e32 vcc, 56, v57
	v_cndmask_b32_e64 v54, 0, 1, vcc
	v_lshlrev_b32_e32 v54, 3, v54
	v_add_lshl_u32 v67, v54, v53, 2
	ds_bpermute_b32 v54, v67, v46
	ds_bpermute_b32 v55, v67, v47
	s_waitcnt lgkmcnt(0)
	v_cmp_lt_u64_e32 vcc, v[54:55], v[46:47]
	v_cndmask_b32_e32 v55, v47, v55, vcc
	v_cndmask_b32_e32 v54, v46, v54, vcc
	v_cmp_gt_u32_e32 vcc, v68, v49
	v_cndmask_b32_e32 v46, v54, v46, vcc
	v_cndmask_b32_e32 v47, v55, v47, vcc
	v_cmp_gt_u32_e32 vcc, 48, v57
	v_cndmask_b32_e64 v54, 0, 1, vcc
	v_lshlrev_b32_e32 v54, 4, v54
	v_add_lshl_u32 v69, v54, v53, 2
	ds_bpermute_b32 v54, v69, v46
	ds_bpermute_b32 v55, v69, v47
	s_waitcnt lgkmcnt(0)
	v_cmp_lt_u64_e32 vcc, v[54:55], v[46:47]
	v_cndmask_b32_e32 v55, v47, v55, vcc
	v_cndmask_b32_e32 v54, v46, v54, vcc
	v_cmp_gt_u32_e32 vcc, v70, v49
	v_cndmask_b32_e32 v46, v54, v46, vcc
	v_cndmask_b32_e64 v54, 0, 1, s[2:3]
	v_lshlrev_b32_e32 v54, 5, v54
	v_add_lshl_u32 v71, v54, v53, 2
	v_cndmask_b32_e32 v47, v55, v47, vcc
	ds_bpermute_b32 v54, v71, v46
	ds_bpermute_b32 v55, v71, v47
	s_waitcnt lgkmcnt(0)
	v_cmp_lt_u64_e32 vcc, v[54:55], v[46:47]
	v_cndmask_b32_e32 v53, v46, v54, vcc
	v_cndmask_b32_e32 v54, v47, v55, vcc
	v_cmp_gt_u32_e32 vcc, v72, v49
	v_cndmask_b32_e32 v47, v54, v47, vcc
	v_cndmask_b32_e32 v46, v53, v46, vcc
	v_mov_b32_e32 v53, 0
	s_branch .LBB159_60
.LBB159_59:                             ;   in Loop: Header=BB159_60 Depth=1
	s_or_b64 exec, exec, s[2:3]
	v_cmp_eq_u16_sdwa s[2:3], v48, v58 src0_sel:BYTE_0 src1_sel:DWORD
	ds_bpermute_b32 v56, v59, v46
	ds_bpermute_b32 v57, v59, v47
	v_and_b32_e32 v49, s3, v45
	v_or_b32_e32 v49, 0x80000000, v49
	v_and_b32_e32 v73, s2, v44
	v_ffbl_b32_e32 v49, v49
	v_add_u32_e32 v49, 32, v49
	v_ffbl_b32_e32 v73, v73
	v_min_u32_e32 v49, v73, v49
	s_waitcnt lgkmcnt(0)
	v_cmp_lt_u64_e32 vcc, v[56:57], v[46:47]
	v_cndmask_b32_e32 v57, v47, v57, vcc
	v_cndmask_b32_e32 v56, v46, v56, vcc
	v_cmp_gt_u32_e32 vcc, v60, v49
	v_cndmask_b32_e32 v46, v56, v46, vcc
	v_cndmask_b32_e32 v47, v57, v47, vcc
	ds_bpermute_b32 v56, v61, v46
	ds_bpermute_b32 v57, v61, v47
	v_subrev_u32_e32 v52, 64, v52
	s_waitcnt lgkmcnt(0)
	v_cmp_lt_u64_e32 vcc, v[56:57], v[46:47]
	v_cndmask_b32_e32 v57, v47, v57, vcc
	v_cndmask_b32_e32 v56, v46, v56, vcc
	v_cmp_gt_u32_e32 vcc, v62, v49
	v_cndmask_b32_e32 v46, v56, v46, vcc
	v_cndmask_b32_e32 v47, v57, v47, vcc
	ds_bpermute_b32 v56, v63, v46
	ds_bpermute_b32 v57, v63, v47
	s_waitcnt lgkmcnt(0)
	v_cmp_lt_u64_e32 vcc, v[56:57], v[46:47]
	v_cndmask_b32_e32 v57, v47, v57, vcc
	v_cndmask_b32_e32 v56, v46, v56, vcc
	v_cmp_gt_u32_e32 vcc, v66, v49
	v_cndmask_b32_e32 v46, v56, v46, vcc
	v_cndmask_b32_e32 v47, v57, v47, vcc
	ds_bpermute_b32 v56, v67, v46
	ds_bpermute_b32 v57, v67, v47
	;; [unrolled: 9-line block ×4, first 2 shown]
	s_waitcnt lgkmcnt(0)
	v_cmp_lt_u64_e32 vcc, v[56:57], v[46:47]
	v_cndmask_b32_e32 v56, v46, v56, vcc
	v_cndmask_b32_e32 v57, v47, v57, vcc
	v_cmp_gt_u32_e32 vcc, v72, v49
	v_cndmask_b32_e32 v47, v57, v47, vcc
	v_cndmask_b32_e32 v46, v56, v46, vcc
	v_cmp_lt_u64_e32 vcc, v[46:47], v[54:55]
	v_cndmask_b32_e32 v47, v55, v47, vcc
	v_cndmask_b32_e32 v46, v54, v46, vcc
.LBB159_60:                             ; =>This Loop Header: Depth=1
                                        ;     Child Loop BB159_63 Depth 2
	v_cmp_ne_u16_sdwa s[2:3], v48, v58 src0_sel:BYTE_0 src1_sel:DWORD
	v_cndmask_b32_e64 v48, 0, 1, s[2:3]
	;;#ASMSTART
	;;#ASMEND
	v_cmp_ne_u32_e32 vcc, 0, v48
	s_cmp_lg_u64 vcc, exec
	v_pk_mov_b32 v[54:55], v[46:47], v[46:47] op_sel:[0,1]
	s_cbranch_scc1 .LBB159_65
; %bb.61:                               ;   in Loop: Header=BB159_60 Depth=1
	v_lshlrev_b64 v[46:47], 4, v[52:53]
	v_mov_b32_e32 v48, s23
	v_add_co_u32_e32 v56, vcc, s22, v46
	v_addc_co_u32_e32 v57, vcc, v48, v47, vcc
	;;#ASMSTART
	global_load_dwordx4 v[46:49], v[56:57] off glc	
s_waitcnt vmcnt(0)
	;;#ASMEND
	v_cmp_eq_u16_sdwa s[14:15], v48, v53 src0_sel:BYTE_0 src1_sel:DWORD
	s_and_saveexec_b64 s[2:3], s[14:15]
	s_cbranch_execz .LBB159_59
; %bb.62:                               ;   in Loop: Header=BB159_60 Depth=1
	s_mov_b64 s[14:15], 0
.LBB159_63:                             ;   Parent Loop BB159_60 Depth=1
                                        ; =>  This Inner Loop Header: Depth=2
	;;#ASMSTART
	global_load_dwordx4 v[46:49], v[56:57] off glc	
s_waitcnt vmcnt(0)
	;;#ASMEND
	v_cmp_ne_u16_sdwa s[26:27], v48, v53 src0_sel:BYTE_0 src1_sel:DWORD
	s_or_b64 s[14:15], s[26:27], s[14:15]
	s_andn2_b64 exec, exec, s[14:15]
	s_cbranch_execnz .LBB159_63
; %bb.64:                               ;   in Loop: Header=BB159_60 Depth=1
	s_or_b64 exec, exec, s[14:15]
	s_branch .LBB159_59
.LBB159_65:                             ;   in Loop: Header=BB159_60 Depth=1
                                        ; implicit-def: $vgpr46_vgpr47
                                        ; implicit-def: $vgpr48
	s_cbranch_execz .LBB159_60
; %bb.66:
	s_and_saveexec_b64 s[2:3], s[0:1]
	s_cbranch_execz .LBB159_68
; %bb.67:
	s_add_i32 s0, s6, 64
	s_mov_b32 s1, 0
	s_lshl_b64 s[0:1], s[0:1], 4
	s_add_u32 s0, s22, s0
	v_cmp_lt_u64_e32 vcc, v[54:55], v[42:43]
	s_addc_u32 s1, s23, s1
	v_cndmask_b32_e32 v43, v43, v55, vcc
	v_cndmask_b32_e32 v42, v42, v54, vcc
	v_mov_b32_e32 v44, 2
	v_mov_b32_e32 v45, 0
	v_pk_mov_b32 v[46:47], s[0:1], s[0:1] op_sel:[0,1]
	;;#ASMSTART
	global_store_dwordx4 v[46:47], v[42:45] off	
s_waitcnt vmcnt(0)
	;;#ASMEND
.LBB159_68:
	s_or_b64 exec, exec, s[2:3]
	v_cmp_eq_u32_e32 vcc, 0, v0
	s_and_b64 exec, exec, vcc
	s_cbranch_execz .LBB159_70
; %bb.69:
	v_mov_b32_e32 v42, 0
	ds_write_b64 v42, v[54:55]
.LBB159_70:
	s_or_b64 exec, exec, s[12:13]
	v_mov_b32_e32 v42, 0
	s_waitcnt lgkmcnt(0)
	; wave barrier
	s_waitcnt lgkmcnt(0)
	ds_read_b64 v[42:43], v42
	s_waitcnt lgkmcnt(0)
	v_cmp_lt_u64_e32 vcc, v[42:43], v[50:51]
	v_cndmask_b32_e32 v44, v50, v42, vcc
	v_cndmask_b32_e32 v45, v51, v43, vcc
	v_cmp_eq_u32_e32 vcc, 0, v0
	v_cndmask_b32_e32 v69, v45, v43, vcc
	v_cndmask_b32_e32 v68, v44, v42, vcc
	v_cmp_lt_u64_e32 vcc, v[68:69], v[38:39]
	v_cndmask_b32_e32 v45, v39, v69, vcc
	v_cndmask_b32_e32 v44, v38, v68, vcc
	v_cmp_lt_u64_e32 vcc, v[44:45], v[40:41]
	;; [unrolled: 3-line block ×20, first 2 shown]
	v_cndmask_b32_e32 v87, v5, v63, vcc
	v_cndmask_b32_e32 v86, v4, v62, vcc
	s_load_dwordx4 s[12:15], s[4:5], 0x40
	s_branch .LBB159_81
.LBB159_71:
                                        ; implicit-def: $vgpr60_vgpr61_vgpr62_vgpr63
                                        ; implicit-def: $vgpr58_vgpr59_vgpr60_vgpr61
                                        ; implicit-def: $vgpr68_vgpr69
                                        ; implicit-def: $vgpr66_vgpr67
                                        ; implicit-def: $vgpr70_vgpr71
                                        ; implicit-def: $vgpr72_vgpr73
                                        ; implicit-def: $vgpr74_vgpr75
                                        ; implicit-def: $vgpr76_vgpr77
                                        ; implicit-def: $vgpr78_vgpr79
                                        ; implicit-def: $vgpr80_vgpr81
                                        ; implicit-def: $vgpr82_vgpr83
                                        ; implicit-def: $vgpr84_vgpr85
                                        ; implicit-def: $vgpr86_vgpr87
                                        ; implicit-def: $vgpr56_vgpr57_vgpr58_vgpr59
                                        ; implicit-def: $vgpr54_vgpr55_vgpr56_vgpr57
                                        ; implicit-def: $vgpr52_vgpr53_vgpr54_vgpr55
                                        ; implicit-def: $vgpr50_vgpr51_vgpr52_vgpr53
                                        ; implicit-def: $vgpr48_vgpr49_vgpr50_vgpr51
                                        ; implicit-def: $vgpr46_vgpr47_vgpr48_vgpr49
                                        ; implicit-def: $vgpr44_vgpr45_vgpr46_vgpr47
                                        ; implicit-def: $vgpr42_vgpr43_vgpr44_vgpr45
	s_load_dwordx4 s[12:15], s[4:5], 0x40
	s_cbranch_execz .LBB159_81
; %bb.72:
	s_load_dword s0, s[4:5], 0x50
	v_pk_mov_b32 v[42:43], s[20:21], s[20:21] op_sel:[0,1]
	s_waitcnt lgkmcnt(0)
	s_bitcmp0_b32 s0, 0
	s_cbranch_scc1 .LBB159_74
; %bb.73:
	v_mov_b32_e32 v42, 0
	global_load_dwordx2 v[42:43], v42, s[18:19] offset:-8
	s_load_dwordx2 s[0:1], s[12:13], 0x0
	s_waitcnt lgkmcnt(0)
	v_mov_b32_e32 v44, s1
	s_waitcnt vmcnt(0)
	v_cmp_lt_u64_e32 vcc, s[0:1], v[42:43]
	v_cndmask_b32_e32 v43, v43, v44, vcc
	v_mov_b32_e32 v44, s0
	v_cndmask_b32_e32 v42, v42, v44, vcc
.LBB159_74:
	v_cmp_lt_u64_e32 vcc, v[38:39], v[40:41]
	v_cndmask_b32_e32 v45, v41, v39, vcc
	v_cndmask_b32_e32 v44, v40, v38, vcc
	v_cmp_lt_u64_e32 vcc, v[44:45], v[34:35]
	v_cndmask_b32_e32 v45, v35, v45, vcc
	v_cndmask_b32_e32 v44, v34, v44, vcc
	;; [unrolled: 3-line block ×20, first 2 shown]
	v_mbcnt_hi_u32_b32 v1, -1, v1
	v_mov_b32_dpp v47, v45 row_shr:1 row_mask:0xf bank_mask:0xf
	v_mov_b32_dpp v46, v44 row_shr:1 row_mask:0xf bank_mask:0xf
	v_and_b32_e32 v50, 15, v1
	v_cmp_lt_u64_e32 vcc, v[46:47], v[44:45]
	v_cndmask_b32_e32 v46, v44, v46, vcc
	v_cndmask_b32_e32 v47, v45, v47, vcc
	v_cmp_eq_u32_e32 vcc, 0, v50
	v_cndmask_b32_e32 v47, v47, v45, vcc
	v_cndmask_b32_e32 v46, v46, v44, vcc
	v_and_b32_e32 v52, 16, v1
	v_mov_b32_dpp v49, v47 row_shr:2 row_mask:0xf bank_mask:0xf
	v_mov_b32_dpp v48, v46 row_shr:2 row_mask:0xf bank_mask:0xf
	v_cmp_lt_u64_e32 vcc, v[48:49], v[46:47]
	v_cndmask_b32_e32 v48, v46, v48, vcc
	v_cndmask_b32_e32 v49, v47, v49, vcc
	v_cmp_lt_u32_e32 vcc, 1, v50
	v_cndmask_b32_e32 v47, v47, v49, vcc
	v_cndmask_b32_e32 v46, v46, v48, vcc
	v_cmp_eq_u32_e64 s[0:1], 0, v1
	v_mov_b32_dpp v49, v47 row_shr:4 row_mask:0xf bank_mask:0xf
	v_mov_b32_dpp v48, v46 row_shr:4 row_mask:0xf bank_mask:0xf
	v_cmp_lt_u64_e32 vcc, v[48:49], v[46:47]
	v_cndmask_b32_e32 v48, v46, v48, vcc
	v_cndmask_b32_e32 v49, v47, v49, vcc
	v_cmp_lt_u32_e32 vcc, 3, v50
	v_cndmask_b32_e32 v47, v47, v49, vcc
	v_cndmask_b32_e32 v46, v46, v48, vcc
	v_cmp_ne_u32_e64 s[2:3], 0, v1
	v_mov_b32_dpp v49, v47 row_shr:8 row_mask:0xf bank_mask:0xf
	v_mov_b32_dpp v48, v46 row_shr:8 row_mask:0xf bank_mask:0xf
	v_cmp_lt_u64_e32 vcc, v[48:49], v[46:47]
	v_cndmask_b32_e32 v48, v46, v48, vcc
	v_cndmask_b32_e32 v49, v47, v49, vcc
	v_cmp_lt_u32_e32 vcc, 7, v50
	v_cndmask_b32_e32 v47, v47, v49, vcc
	v_cndmask_b32_e32 v46, v46, v48, vcc
	s_nop 0
	v_mov_b32_dpp v49, v47 row_bcast:15 row_mask:0xf bank_mask:0xf
	v_mov_b32_dpp v48, v46 row_bcast:15 row_mask:0xf bank_mask:0xf
	v_cmp_lt_u64_e32 vcc, v[48:49], v[46:47]
	v_cndmask_b32_e32 v50, v47, v49, vcc
	v_cndmask_b32_e32 v51, v46, v48, vcc
	v_cmp_eq_u32_e32 vcc, 0, v52
	v_cndmask_b32_e32 v49, v50, v47, vcc
	v_cndmask_b32_e32 v48, v51, v46, vcc
	s_nop 0
	v_mov_b32_dpp v49, v49 row_bcast:31 row_mask:0xf bank_mask:0xf
	v_mov_b32_dpp v48, v48 row_bcast:31 row_mask:0xf bank_mask:0xf
	s_and_saveexec_b64 s[6:7], s[2:3]
; %bb.75:
	v_cndmask_b32_e32 v45, v50, v47, vcc
	v_cndmask_b32_e32 v44, v51, v46, vcc
	v_cmp_lt_u64_e32 vcc, v[48:49], v[44:45]
	v_cmp_lt_u32_e64 s[2:3], 31, v1
	v_cndmask_b32_e32 v46, v45, v49, vcc
	s_and_b64 vcc, s[2:3], vcc
	v_cndmask_b32_e64 v45, v45, v46, s[2:3]
	v_cndmask_b32_e32 v44, v44, v48, vcc
; %bb.76:
	s_or_b64 exec, exec, s[6:7]
	v_cmp_eq_u32_e32 vcc, 63, v0
	s_and_saveexec_b64 s[2:3], vcc
	s_cbranch_execz .LBB159_78
; %bb.77:
	v_mov_b32_e32 v46, 0
	ds_write_b64 v46, v[44:45]
.LBB159_78:
	s_or_b64 exec, exec, s[2:3]
	v_cmp_lt_u64_e32 vcc, v[42:43], v[44:45]
	v_add_u32_e32 v46, -1, v1
	v_and_b32_e32 v47, 64, v1
	v_cndmask_b32_e32 v45, v45, v43, vcc
	v_cndmask_b32_e32 v44, v44, v42, vcc
	v_cmp_lt_i32_e32 vcc, v46, v47
	v_cndmask_b32_e32 v1, v46, v1, vcc
	v_lshlrev_b32_e32 v1, 2, v1
	ds_bpermute_b32 v45, v1, v45
	ds_bpermute_b32 v1, v1, v44
	v_cmp_eq_u32_e32 vcc, 0, v0
	s_or_b64 s[0:1], vcc, s[0:1]
	s_waitcnt lgkmcnt(0)
	v_cndmask_b32_e64 v69, v45, v43, s[0:1]
	v_cndmask_b32_e64 v68, v1, v42, s[0:1]
	v_cmp_lt_u64_e64 s[0:1], v[68:69], v[38:39]
	v_cndmask_b32_e64 v45, v39, v69, s[0:1]
	v_cndmask_b32_e64 v44, v38, v68, s[0:1]
	v_cmp_lt_u64_e64 s[0:1], v[44:45], v[40:41]
	;; [unrolled: 3-line block ×20, first 2 shown]
	v_cndmask_b32_e64 v87, v5, v63, s[0:1]
	v_cndmask_b32_e64 v86, v4, v62, s[0:1]
	; wave barrier
	s_and_saveexec_b64 s[0:1], vcc
	s_cbranch_execz .LBB159_80
; %bb.79:
	v_mov_b32_e32 v5, 0
	ds_read_b64 v[2:3], v5
	s_add_u32 s2, s22, 0x400
	s_addc_u32 s3, s23, 0
	v_mov_b32_e32 v4, 2
	v_pk_mov_b32 v[6:7], s[2:3], s[2:3] op_sel:[0,1]
	s_waitcnt lgkmcnt(0)
	v_cmp_lt_u64_e32 vcc, v[42:43], v[2:3]
	v_cndmask_b32_e32 v3, v3, v43, vcc
	v_cndmask_b32_e32 v2, v2, v42, vcc
	;;#ASMSTART
	global_store_dwordx4 v[6:7], v[2:5] off	
s_waitcnt vmcnt(0)
	;;#ASMEND
	v_pk_mov_b32 v[68:69], v[42:43], v[42:43] op_sel:[0,1]
.LBB159_80:
	s_or_b64 exec, exec, s[0:1]
.LBB159_81:
	s_add_u32 s0, s8, s16
	s_addc_u32 s1, s9, s17
	s_mov_b64 s[2:3], -1
	s_and_b64 vcc, exec, s[10:11]
	s_waitcnt lgkmcnt(0)
	; wave barrier
	s_waitcnt lgkmcnt(0)
	s_cbranch_vccz .LBB159_83
; %bb.82:
	v_mul_u32_u24_e32 v1, 0xa8, v0
	s_movk_i32 s2, 0xa8
	ds_write2_b64 v1, v[68:69], v[44:45] offset1:1
	ds_write2_b64 v1, v[66:67], v[46:47] offset0:2 offset1:3
	ds_write2_b64 v1, v[70:71], v[48:49] offset0:4 offset1:5
	;; [unrolled: 1-line block ×9, first 2 shown]
	ds_write_b64 v1, v[86:87] offset:160
	v_mul_i32_i24_e32 v1, 0xffffff60, v0
	v_mad_u32_u24 v1, v0, s2, v1
	s_waitcnt lgkmcnt(0)
	; wave barrier
	s_waitcnt lgkmcnt(0)
	ds_read2st64_b64 v[2:5], v1 offset1:1
	ds_read2st64_b64 v[6:9], v1 offset0:2 offset1:3
	ds_read2st64_b64 v[10:13], v1 offset0:4 offset1:5
	;; [unrolled: 1-line block ×9, first 2 shown]
	ds_read_b64 v[42:43], v1 offset:10240
	v_mov_b32_e32 v1, s1
	v_add_co_u32_e32 v64, vcc, s0, v88
	v_addc_co_u32_e32 v1, vcc, 0, v1, vcc
	s_movk_i32 s2, 0x1000
	s_waitcnt lgkmcnt(10)
	global_store_dwordx2 v88, v[2:3], s[0:1]
	global_store_dwordx2 v88, v[4:5], s[0:1] offset:512
	s_waitcnt lgkmcnt(9)
	global_store_dwordx2 v88, v[6:7], s[0:1] offset:1024
	global_store_dwordx2 v88, v[8:9], s[0:1] offset:1536
	s_waitcnt lgkmcnt(8)
	global_store_dwordx2 v88, v[10:11], s[0:1] offset:2048
	;; [unrolled: 3-line block ×3, first 2 shown]
	global_store_dwordx2 v88, v[16:17], s[0:1] offset:3584
	v_add_co_u32_e32 v2, vcc, s2, v64
	v_addc_co_u32_e32 v3, vcc, 0, v1, vcc
	s_waitcnt lgkmcnt(6)
	global_store_dwordx2 v[2:3], v[18:19], off
	global_store_dwordx2 v[2:3], v[20:21], off offset:512
	s_waitcnt lgkmcnt(5)
	global_store_dwordx2 v[2:3], v[22:23], off offset:1024
	global_store_dwordx2 v[2:3], v[24:25], off offset:1536
	s_waitcnt lgkmcnt(4)
	global_store_dwordx2 v[2:3], v[26:27], off offset:2048
	;; [unrolled: 3-line block ×3, first 2 shown]
	global_store_dwordx2 v[2:3], v[32:33], off offset:3584
	v_add_co_u32_e32 v2, vcc, 0x2000, v64
	v_addc_co_u32_e32 v3, vcc, 0, v1, vcc
	s_waitcnt lgkmcnt(2)
	global_store_dwordx2 v[2:3], v[34:35], off
	global_store_dwordx2 v[2:3], v[36:37], off offset:512
	s_waitcnt lgkmcnt(1)
	global_store_dwordx2 v[2:3], v[38:39], off offset:1024
	global_store_dwordx2 v[2:3], v[40:41], off offset:1536
	s_waitcnt lgkmcnt(0)
	global_store_dwordx2 v[2:3], v[42:43], off offset:2048
	s_mov_b64 s[2:3], 0
.LBB159_83:
	s_andn2_b64 vcc, exec, s[2:3]
	s_cbranch_vccnz .LBB159_204
; %bb.84:
	s_movk_i32 s2, 0xff60
	v_mad_i32_i24 v42, v0, s2, v90
	ds_write2_b64 v90, v[68:69], v[44:45] offset1:1
	ds_write2_b64 v90, v[66:67], v[46:47] offset0:2 offset1:3
	ds_write2_b64 v90, v[70:71], v[48:49] offset0:4 offset1:5
	;; [unrolled: 1-line block ×9, first 2 shown]
	ds_write_b64 v90, v[86:87] offset:160
	s_waitcnt lgkmcnt(0)
	; wave barrier
	s_waitcnt lgkmcnt(0)
	ds_read2st64_b64 v[6:9], v42 offset1:1
	ds_read2st64_b64 v[10:13], v42 offset0:2 offset1:3
	ds_read2st64_b64 v[14:17], v42 offset0:4 offset1:5
	ds_read2st64_b64 v[26:29], v42 offset0:6 offset1:7
	ds_read2st64_b64 v[18:21], v42 offset0:8 offset1:9
	ds_read2st64_b64 v[2:5], v42 offset0:10 offset1:11
	ds_read2st64_b64 v[22:25], v42 offset0:12 offset1:13
	ds_read2st64_b64 v[30:33], v42 offset0:14 offset1:15
	ds_read2st64_b64 v[38:41], v42 offset0:16 offset1:17
	ds_read2st64_b64 v[34:37], v42 offset0:18 offset1:19
	ds_read_b64 v[42:43], v42 offset:10240
	v_mov_b32_e32 v45, s1
	v_add_co_u32_e32 v44, vcc, s0, v88
	v_addc_co_u32_e32 v45, vcc, 0, v45, vcc
	v_mov_b32_e32 v1, 0
	v_cmp_gt_u32_e32 vcc, s24, v0
	s_and_saveexec_b64 s[0:1], vcc
	s_cbranch_execz .LBB159_86
; %bb.85:
	s_waitcnt lgkmcnt(10)
	global_store_dwordx2 v[44:45], v[6:7], off
.LBB159_86:
	s_or_b64 exec, exec, s[0:1]
	v_or_b32_e32 v46, 64, v0
	v_cmp_gt_u32_e32 vcc, s24, v46
	s_and_saveexec_b64 s[0:1], vcc
	s_cbranch_execz .LBB159_88
; %bb.87:
	s_waitcnt lgkmcnt(10)
	global_store_dwordx2 v[44:45], v[8:9], off offset:512
.LBB159_88:
	s_or_b64 exec, exec, s[0:1]
	v_or_b32_e32 v46, 0x80, v0
	v_cmp_gt_u32_e32 vcc, s24, v46
	s_and_saveexec_b64 s[0:1], vcc
	s_cbranch_execz .LBB159_90
; %bb.89:
	s_waitcnt lgkmcnt(9)
	global_store_dwordx2 v[44:45], v[10:11], off offset:1024
.LBB159_90:
	;; [unrolled: 9-line block ×7, first 2 shown]
	s_or_b64 exec, exec, s[0:1]
	v_or_b32_e32 v46, 0x200, v0
	v_cmp_gt_u32_e32 vcc, s24, v46
	s_and_saveexec_b64 s[0:1], vcc
	s_cbranch_execz .LBB159_102
; %bb.101:
	v_add_co_u32_e32 v46, vcc, 0x1000, v44
	v_addc_co_u32_e32 v47, vcc, 0, v45, vcc
	s_waitcnt lgkmcnt(6)
	global_store_dwordx2 v[46:47], v[18:19], off
.LBB159_102:
	s_or_b64 exec, exec, s[0:1]
	v_or_b32_e32 v46, 0x240, v0
	v_cmp_gt_u32_e32 vcc, s24, v46
	s_and_saveexec_b64 s[0:1], vcc
	s_cbranch_execz .LBB159_104
; %bb.103:
	v_add_co_u32_e32 v46, vcc, 0x1000, v44
	v_addc_co_u32_e32 v47, vcc, 0, v45, vcc
	s_waitcnt lgkmcnt(6)
	global_store_dwordx2 v[46:47], v[20:21], off offset:512
.LBB159_104:
	s_or_b64 exec, exec, s[0:1]
	v_or_b32_e32 v46, 0x280, v0
	v_cmp_gt_u32_e32 vcc, s24, v46
	s_and_saveexec_b64 s[0:1], vcc
	s_cbranch_execz .LBB159_106
; %bb.105:
	v_add_co_u32_e32 v46, vcc, 0x1000, v44
	v_addc_co_u32_e32 v47, vcc, 0, v45, vcc
	s_waitcnt lgkmcnt(5)
	global_store_dwordx2 v[46:47], v[2:3], off offset:1024
.LBB159_106:
	;; [unrolled: 11-line block ×7, first 2 shown]
	s_or_b64 exec, exec, s[0:1]
	v_or_b32_e32 v46, 0x400, v0
	v_cmp_gt_u32_e32 vcc, s24, v46
	s_and_saveexec_b64 s[0:1], vcc
	s_cbranch_execz .LBB159_118
; %bb.117:
	v_add_co_u32_e32 v46, vcc, 0x2000, v44
	v_addc_co_u32_e32 v47, vcc, 0, v45, vcc
	s_waitcnt lgkmcnt(2)
	global_store_dwordx2 v[46:47], v[38:39], off
.LBB159_118:
	s_or_b64 exec, exec, s[0:1]
	v_or_b32_e32 v46, 0x440, v0
	v_cmp_gt_u32_e32 vcc, s24, v46
	s_and_saveexec_b64 s[0:1], vcc
	s_cbranch_execz .LBB159_120
; %bb.119:
	v_add_co_u32_e32 v46, vcc, 0x2000, v44
	v_addc_co_u32_e32 v47, vcc, 0, v45, vcc
	s_waitcnt lgkmcnt(2)
	global_store_dwordx2 v[46:47], v[40:41], off offset:512
.LBB159_120:
	s_or_b64 exec, exec, s[0:1]
	v_or_b32_e32 v46, 0x480, v0
	v_cmp_gt_u32_e32 vcc, s24, v46
	s_and_saveexec_b64 s[0:1], vcc
	s_cbranch_execz .LBB159_122
; %bb.121:
	v_add_co_u32_e32 v46, vcc, 0x2000, v44
	v_addc_co_u32_e32 v47, vcc, 0, v45, vcc
	s_waitcnt lgkmcnt(1)
	global_store_dwordx2 v[46:47], v[34:35], off offset:1024
.LBB159_122:
	;; [unrolled: 11-line block ×4, first 2 shown]
	s_or_b64 exec, exec, s[0:1]
	s_load_dword s0, s[4:5], 0x50
	s_waitcnt lgkmcnt(0)
	s_bfe_u32 s0, s0, 0x10008
	s_cmp_eq_u32 s0, 0
	s_cbranch_scc1 .LBB159_204
; %bb.127:
	s_add_u32 s0, s24, -1
	s_addc_u32 s1, s25, -1
	s_add_u32 s2, 0, 0x30c26c00
	s_addc_u32 s3, 0, 44
	s_add_i32 s3, s3, 0xc30c2e0
	s_mul_hi_u32 s7, s2, 0xffffffeb
	s_sub_i32 s7, s7, s2
	s_mul_i32 s8, s3, 0xffffffeb
	s_mul_i32 s4, s2, 0xffffffeb
	s_add_i32 s7, s7, s8
	s_mul_hi_u32 s5, s3, s4
	s_mul_i32 s6, s3, s4
	s_mul_i32 s9, s2, s7
	s_mul_hi_u32 s4, s2, s4
	s_mul_hi_u32 s8, s2, s7
	s_add_u32 s4, s4, s9
	s_addc_u32 s8, 0, s8
	s_add_u32 s4, s4, s6
	s_mul_hi_u32 s9, s3, s7
	s_addc_u32 s4, s8, s5
	s_addc_u32 s5, s9, 0
	s_mul_i32 s6, s3, s7
	s_add_u32 s4, s4, s6
	v_mov_b32_e32 v44, s4
	s_addc_u32 s5, 0, s5
	v_add_co_u32_e32 v44, vcc, s2, v44
	s_cmp_lg_u64 vcc, 0
	s_addc_u32 s2, s3, s5
	v_readfirstlane_b32 s5, v44
	s_mul_i32 s4, s0, s2
	s_mul_hi_u32 s6, s0, s5
	s_mul_hi_u32 s3, s0, s2
	s_add_u32 s4, s6, s4
	s_addc_u32 s3, 0, s3
	s_mul_hi_u32 s7, s1, s5
	s_mul_i32 s5, s1, s5
	s_add_u32 s4, s4, s5
	s_mul_hi_u32 s6, s1, s2
	s_addc_u32 s3, s3, s7
	s_addc_u32 s4, s6, 0
	s_mul_i32 s2, s1, s2
	s_add_u32 s2, s3, s2
	s_addc_u32 s3, 0, s4
	s_add_u32 s4, s2, 1
	s_addc_u32 s5, s3, 0
	s_add_u32 s6, s2, 2
	s_mul_i32 s8, s3, 21
	s_mul_hi_u32 s9, s2, 21
	s_addc_u32 s7, s3, 0
	s_add_i32 s9, s9, s8
	s_mul_i32 s8, s2, 21
	v_mov_b32_e32 v44, s8
	v_sub_co_u32_e32 v44, vcc, s0, v44
	s_cmp_lg_u64 vcc, 0
	s_subb_u32 s8, s1, s9
	v_subrev_co_u32_e32 v45, vcc, 21, v44
	s_cmp_lg_u64 vcc, 0
	s_subb_u32 s9, s8, 0
	v_readfirstlane_b32 s10, v45
	s_cmp_gt_u32 s10, 20
	s_cselect_b32 s10, -1, 0
	s_cmp_eq_u32 s9, 0
	s_cselect_b32 s9, s10, -1
	s_cmp_lg_u32 s9, 0
	s_cselect_b32 s4, s6, s4
	v_readfirstlane_b32 s6, v44
	s_cselect_b32 s5, s7, s5
	s_cmp_gt_u32 s6, 20
	s_cselect_b32 s6, -1, 0
	s_cmp_eq_u32 s8, 0
	s_cselect_b32 s6, s6, -1
	s_cmp_lg_u32 s6, 0
	s_cselect_b32 s3, s5, s3
	s_cselect_b32 s2, s4, s2
	v_cmp_eq_u64_e32 vcc, s[2:3], v[0:1]
	s_and_saveexec_b64 s[2:3], vcc
	s_cbranch_execz .LBB159_204
; %bb.128:
	v_mul_hi_u32_u24_e32 v1, 21, v0
	v_mov_b32_e32 v44, s1
	v_sub_co_u32_e32 v0, vcc, s0, v89
	v_subb_co_u32_e32 v1, vcc, v44, v1, vcc
	v_cmp_lt_i64_e32 vcc, 10, v[0:1]
	s_and_saveexec_b64 s[0:1], vcc
	s_xor_b64 s[0:1], exec, s[0:1]
	s_cbranch_execz .LBB159_166
; %bb.129:
	v_cmp_lt_i64_e32 vcc, 15, v[0:1]
	s_and_saveexec_b64 s[2:3], vcc
	s_xor_b64 s[2:3], exec, s[2:3]
	s_cbranch_execz .LBB159_147
; %bb.130:
	;; [unrolled: 5-line block ×5, first 2 shown]
	v_mov_b32_e32 v0, 0
	global_store_dwordx2 v0, v[42:43], s[14:15]
                                        ; implicit-def: $vgpr34_vgpr35_vgpr36_vgpr37
.LBB159_134:
	s_andn2_saveexec_b64 s[8:9], s[8:9]
	s_cbranch_execz .LBB159_136
; %bb.135:
	v_mov_b32_e32 v0, 0
	global_store_dwordx2 v0, v[36:37], s[14:15]
.LBB159_136:
	s_or_b64 exec, exec, s[8:9]
                                        ; implicit-def: $vgpr34_vgpr35_vgpr36_vgpr37
.LBB159_137:
	s_andn2_saveexec_b64 s[6:7], s[6:7]
	s_cbranch_execz .LBB159_139
; %bb.138:
	v_mov_b32_e32 v0, 0
	global_store_dwordx2 v0, v[34:35], s[14:15]
.LBB159_139:
	s_or_b64 exec, exec, s[6:7]
                                        ; implicit-def: $vgpr38_vgpr39_vgpr40_vgpr41
                                        ; implicit-def: $vgpr0_vgpr1
.LBB159_140:
	s_andn2_saveexec_b64 s[4:5], s[4:5]
	s_cbranch_execz .LBB159_146
; %bb.141:
	v_cmp_lt_i64_e32 vcc, 16, v[0:1]
	s_and_saveexec_b64 s[6:7], vcc
	s_xor_b64 s[6:7], exec, s[6:7]
	s_cbranch_execz .LBB159_143
; %bb.142:
	v_mov_b32_e32 v0, 0
	global_store_dwordx2 v0, v[40:41], s[14:15]
                                        ; implicit-def: $vgpr38_vgpr39_vgpr40_vgpr41
.LBB159_143:
	s_andn2_saveexec_b64 s[6:7], s[6:7]
	s_cbranch_execz .LBB159_145
; %bb.144:
	v_mov_b32_e32 v0, 0
	global_store_dwordx2 v0, v[38:39], s[14:15]
.LBB159_145:
	s_or_b64 exec, exec, s[6:7]
.LBB159_146:
	s_or_b64 exec, exec, s[4:5]
                                        ; implicit-def: $vgpr0_vgpr1
                                        ; implicit-def: $vgpr2_vgpr3_vgpr4_vgpr5
                                        ; implicit-def: $vgpr22_vgpr23_vgpr24_vgpr25
                                        ; implicit-def: $vgpr30_vgpr31_vgpr32_vgpr33
.LBB159_147:
	s_andn2_saveexec_b64 s[2:3], s[2:3]
	s_cbranch_execz .LBB159_165
; %bb.148:
	v_cmp_lt_i64_e32 vcc, 12, v[0:1]
	s_and_saveexec_b64 s[4:5], vcc
	s_xor_b64 s[4:5], exec, s[4:5]
	s_cbranch_execz .LBB159_158
; %bb.149:
	v_cmp_lt_i64_e32 vcc, 13, v[0:1]
	s_and_saveexec_b64 s[6:7], vcc
	s_xor_b64 s[6:7], exec, s[6:7]
	;; [unrolled: 5-line block ×3, first 2 shown]
	s_cbranch_execz .LBB159_152
; %bb.151:
	v_mov_b32_e32 v0, 0
	global_store_dwordx2 v0, v[32:33], s[14:15]
                                        ; implicit-def: $vgpr30_vgpr31_vgpr32_vgpr33
.LBB159_152:
	s_andn2_saveexec_b64 s[8:9], s[8:9]
	s_cbranch_execz .LBB159_154
; %bb.153:
	v_mov_b32_e32 v0, 0
	global_store_dwordx2 v0, v[30:31], s[14:15]
.LBB159_154:
	s_or_b64 exec, exec, s[8:9]
                                        ; implicit-def: $vgpr22_vgpr23_vgpr24_vgpr25
.LBB159_155:
	s_andn2_saveexec_b64 s[6:7], s[6:7]
	s_cbranch_execz .LBB159_157
; %bb.156:
	v_mov_b32_e32 v0, 0
	global_store_dwordx2 v0, v[24:25], s[14:15]
.LBB159_157:
	s_or_b64 exec, exec, s[6:7]
                                        ; implicit-def: $vgpr2_vgpr3_vgpr4_vgpr5
                                        ; implicit-def: $vgpr0_vgpr1
                                        ; implicit-def: $vgpr22_vgpr23_vgpr24_vgpr25
.LBB159_158:
	s_andn2_saveexec_b64 s[4:5], s[4:5]
	s_cbranch_execz .LBB159_164
; %bb.159:
	v_cmp_lt_i64_e32 vcc, 11, v[0:1]
	s_and_saveexec_b64 s[6:7], vcc
	s_xor_b64 s[6:7], exec, s[6:7]
	s_cbranch_execz .LBB159_161
; %bb.160:
	v_mov_b32_e32 v0, 0
	global_store_dwordx2 v0, v[22:23], s[14:15]
                                        ; implicit-def: $vgpr2_vgpr3_vgpr4_vgpr5
.LBB159_161:
	s_andn2_saveexec_b64 s[6:7], s[6:7]
	s_cbranch_execz .LBB159_163
; %bb.162:
	v_mov_b32_e32 v0, 0
	global_store_dwordx2 v0, v[4:5], s[14:15]
.LBB159_163:
	s_or_b64 exec, exec, s[6:7]
.LBB159_164:
	s_or_b64 exec, exec, s[4:5]
.LBB159_165:
	s_or_b64 exec, exec, s[2:3]
                                        ; implicit-def: $vgpr0_vgpr1
                                        ; implicit-def: $vgpr26_vgpr27_vgpr28_vgpr29
                                        ; implicit-def: $vgpr10_vgpr11_vgpr12_vgpr13
                                        ; implicit-def: $vgpr6_vgpr7_vgpr8_vgpr9
                                        ; implicit-def: $vgpr18_vgpr19_vgpr20_vgpr21
                                        ; implicit-def: $vgpr14_vgpr15_vgpr16_vgpr17
                                        ; implicit-def: $vgpr2_vgpr3_vgpr4_vgpr5
.LBB159_166:
	s_andn2_saveexec_b64 s[0:1], s[0:1]
	s_cbranch_execz .LBB159_204
; %bb.167:
	v_cmp_lt_i64_e32 vcc, 5, v[0:1]
	s_and_saveexec_b64 s[0:1], vcc
	s_xor_b64 s[0:1], exec, s[0:1]
	s_cbranch_execz .LBB159_185
; %bb.168:
	v_cmp_lt_i64_e32 vcc, 7, v[0:1]
	s_and_saveexec_b64 s[2:3], vcc
	s_xor_b64 s[2:3], exec, s[2:3]
	;; [unrolled: 5-line block ×4, first 2 shown]
	s_cbranch_execz .LBB159_172
; %bb.171:
	v_mov_b32_e32 v0, 0
	global_store_dwordx2 v0, v[2:3], s[14:15]
                                        ; implicit-def: $vgpr18_vgpr19_vgpr20_vgpr21
.LBB159_172:
	s_andn2_saveexec_b64 s[6:7], s[6:7]
	s_cbranch_execz .LBB159_174
; %bb.173:
	v_mov_b32_e32 v0, 0
	global_store_dwordx2 v0, v[20:21], s[14:15]
.LBB159_174:
	s_or_b64 exec, exec, s[6:7]
                                        ; implicit-def: $vgpr18_vgpr19_vgpr20_vgpr21
.LBB159_175:
	s_andn2_saveexec_b64 s[4:5], s[4:5]
	s_cbranch_execz .LBB159_177
; %bb.176:
	v_mov_b32_e32 v0, 0
	global_store_dwordx2 v0, v[18:19], s[14:15]
.LBB159_177:
	s_or_b64 exec, exec, s[4:5]
                                        ; implicit-def: $vgpr26_vgpr27_vgpr28_vgpr29
                                        ; implicit-def: $vgpr0_vgpr1
.LBB159_178:
	s_andn2_saveexec_b64 s[2:3], s[2:3]
	s_cbranch_execz .LBB159_184
; %bb.179:
	v_cmp_lt_i64_e32 vcc, 6, v[0:1]
	s_and_saveexec_b64 s[4:5], vcc
	s_xor_b64 s[4:5], exec, s[4:5]
	s_cbranch_execz .LBB159_181
; %bb.180:
	v_mov_b32_e32 v0, 0
	global_store_dwordx2 v0, v[28:29], s[14:15]
                                        ; implicit-def: $vgpr26_vgpr27_vgpr28_vgpr29
.LBB159_181:
	s_andn2_saveexec_b64 s[4:5], s[4:5]
	s_cbranch_execz .LBB159_183
; %bb.182:
	v_mov_b32_e32 v0, 0
	global_store_dwordx2 v0, v[26:27], s[14:15]
.LBB159_183:
	s_or_b64 exec, exec, s[4:5]
.LBB159_184:
	s_or_b64 exec, exec, s[2:3]
                                        ; implicit-def: $vgpr0_vgpr1
                                        ; implicit-def: $vgpr10_vgpr11_vgpr12_vgpr13
                                        ; implicit-def: $vgpr6_vgpr7_vgpr8_vgpr9
                                        ; implicit-def: $vgpr14_vgpr15_vgpr16_vgpr17
.LBB159_185:
	s_andn2_saveexec_b64 s[0:1], s[0:1]
	s_cbranch_execz .LBB159_204
; %bb.186:
	v_cmp_lt_i64_e32 vcc, 2, v[0:1]
	s_and_saveexec_b64 s[0:1], vcc
	s_xor_b64 s[0:1], exec, s[0:1]
	s_cbranch_execz .LBB159_196
; %bb.187:
	v_cmp_lt_i64_e32 vcc, 3, v[0:1]
	s_and_saveexec_b64 s[2:3], vcc
	s_xor_b64 s[2:3], exec, s[2:3]
	;; [unrolled: 5-line block ×3, first 2 shown]
	s_cbranch_execz .LBB159_190
; %bb.189:
	v_mov_b32_e32 v0, 0
	global_store_dwordx2 v0, v[16:17], s[14:15]
                                        ; implicit-def: $vgpr14_vgpr15_vgpr16_vgpr17
.LBB159_190:
	s_andn2_saveexec_b64 s[4:5], s[4:5]
	s_cbranch_execz .LBB159_192
; %bb.191:
	v_mov_b32_e32 v0, 0
	global_store_dwordx2 v0, v[14:15], s[14:15]
.LBB159_192:
	s_or_b64 exec, exec, s[4:5]
                                        ; implicit-def: $vgpr10_vgpr11_vgpr12_vgpr13
.LBB159_193:
	s_andn2_saveexec_b64 s[2:3], s[2:3]
	s_cbranch_execz .LBB159_195
; %bb.194:
	v_mov_b32_e32 v0, 0
	global_store_dwordx2 v0, v[12:13], s[14:15]
.LBB159_195:
	s_or_b64 exec, exec, s[2:3]
                                        ; implicit-def: $vgpr0_vgpr1
                                        ; implicit-def: $vgpr10_vgpr11_vgpr12_vgpr13
                                        ; implicit-def: $vgpr6_vgpr7_vgpr8_vgpr9
.LBB159_196:
	s_andn2_saveexec_b64 s[0:1], s[0:1]
	s_cbranch_execz .LBB159_204
; %bb.197:
	v_cmp_lt_i64_e32 vcc, 1, v[0:1]
	s_and_saveexec_b64 s[0:1], vcc
	s_xor_b64 s[0:1], exec, s[0:1]
	s_cbranch_execz .LBB159_199
; %bb.198:
	v_mov_b32_e32 v0, 0
	global_store_dwordx2 v0, v[10:11], s[14:15]
                                        ; implicit-def: $vgpr6_vgpr7_vgpr8_vgpr9
                                        ; implicit-def: $vgpr0_vgpr1
.LBB159_199:
	s_andn2_saveexec_b64 s[0:1], s[0:1]
	s_cbranch_execz .LBB159_204
; %bb.200:
	v_cmp_ne_u64_e32 vcc, 1, v[0:1]
	s_and_saveexec_b64 s[0:1], vcc
	s_xor_b64 s[0:1], exec, s[0:1]
	s_cbranch_execz .LBB159_202
; %bb.201:
	v_mov_b32_e32 v0, 0
	global_store_dwordx2 v0, v[6:7], s[14:15]
                                        ; implicit-def: $vgpr6_vgpr7_vgpr8_vgpr9
.LBB159_202:
	s_andn2_saveexec_b64 s[0:1], s[0:1]
	s_cbranch_execz .LBB159_204
; %bb.203:
	v_mov_b32_e32 v0, 0
	global_store_dwordx2 v0, v[8:9], s[14:15]
.LBB159_204:
	s_endpgm
	.section	.rodata,"a",@progbits
	.p2align	6, 0x0
	.amdhsa_kernel _ZN7rocprim6detail20lookback_scan_kernelILNS0_25lookback_scan_determinismE0ELb1ENS0_19wrapped_scan_configINS_14default_configEyEEN6hipcub22TransformInputIteratorIyNS6_6CastOpIyEEPylEESA_NS6_3MinENS_12future_valueIySA_EEyNS0_19lookback_scan_stateIyLb0ELb1EEEEEvT2_T3_mT5_T4_T7_jPT6_SN_bb
		.amdhsa_group_segment_fixed_size 10752
		.amdhsa_private_segment_fixed_size 0
		.amdhsa_kernarg_size 84
		.amdhsa_user_sgpr_count 6
		.amdhsa_user_sgpr_private_segment_buffer 1
		.amdhsa_user_sgpr_dispatch_ptr 0
		.amdhsa_user_sgpr_queue_ptr 0
		.amdhsa_user_sgpr_kernarg_segment_ptr 1
		.amdhsa_user_sgpr_dispatch_id 0
		.amdhsa_user_sgpr_flat_scratch_init 0
		.amdhsa_user_sgpr_kernarg_preload_length 0
		.amdhsa_user_sgpr_kernarg_preload_offset 0
		.amdhsa_user_sgpr_private_segment_size 0
		.amdhsa_uses_dynamic_stack 0
		.amdhsa_system_sgpr_private_segment_wavefront_offset 0
		.amdhsa_system_sgpr_workgroup_id_x 1
		.amdhsa_system_sgpr_workgroup_id_y 0
		.amdhsa_system_sgpr_workgroup_id_z 0
		.amdhsa_system_sgpr_workgroup_info 0
		.amdhsa_system_vgpr_workitem_id 0
		.amdhsa_next_free_vgpr 91
		.amdhsa_next_free_sgpr 28
		.amdhsa_accum_offset 92
		.amdhsa_reserve_vcc 1
		.amdhsa_reserve_flat_scratch 0
		.amdhsa_float_round_mode_32 0
		.amdhsa_float_round_mode_16_64 0
		.amdhsa_float_denorm_mode_32 3
		.amdhsa_float_denorm_mode_16_64 3
		.amdhsa_dx10_clamp 1
		.amdhsa_ieee_mode 1
		.amdhsa_fp16_overflow 0
		.amdhsa_tg_split 0
		.amdhsa_exception_fp_ieee_invalid_op 0
		.amdhsa_exception_fp_denorm_src 0
		.amdhsa_exception_fp_ieee_div_zero 0
		.amdhsa_exception_fp_ieee_overflow 0
		.amdhsa_exception_fp_ieee_underflow 0
		.amdhsa_exception_fp_ieee_inexact 0
		.amdhsa_exception_int_div_zero 0
	.end_amdhsa_kernel
	.section	.text._ZN7rocprim6detail20lookback_scan_kernelILNS0_25lookback_scan_determinismE0ELb1ENS0_19wrapped_scan_configINS_14default_configEyEEN6hipcub22TransformInputIteratorIyNS6_6CastOpIyEEPylEESA_NS6_3MinENS_12future_valueIySA_EEyNS0_19lookback_scan_stateIyLb0ELb1EEEEEvT2_T3_mT5_T4_T7_jPT6_SN_bb,"axG",@progbits,_ZN7rocprim6detail20lookback_scan_kernelILNS0_25lookback_scan_determinismE0ELb1ENS0_19wrapped_scan_configINS_14default_configEyEEN6hipcub22TransformInputIteratorIyNS6_6CastOpIyEEPylEESA_NS6_3MinENS_12future_valueIySA_EEyNS0_19lookback_scan_stateIyLb0ELb1EEEEEvT2_T3_mT5_T4_T7_jPT6_SN_bb,comdat
.Lfunc_end159:
	.size	_ZN7rocprim6detail20lookback_scan_kernelILNS0_25lookback_scan_determinismE0ELb1ENS0_19wrapped_scan_configINS_14default_configEyEEN6hipcub22TransformInputIteratorIyNS6_6CastOpIyEEPylEESA_NS6_3MinENS_12future_valueIySA_EEyNS0_19lookback_scan_stateIyLb0ELb1EEEEEvT2_T3_mT5_T4_T7_jPT6_SN_bb, .Lfunc_end159-_ZN7rocprim6detail20lookback_scan_kernelILNS0_25lookback_scan_determinismE0ELb1ENS0_19wrapped_scan_configINS_14default_configEyEEN6hipcub22TransformInputIteratorIyNS6_6CastOpIyEEPylEESA_NS6_3MinENS_12future_valueIySA_EEyNS0_19lookback_scan_stateIyLb0ELb1EEEEEvT2_T3_mT5_T4_T7_jPT6_SN_bb
                                        ; -- End function
	.section	.AMDGPU.csdata,"",@progbits
; Kernel info:
; codeLenInByte = 7960
; NumSgprs: 32
; NumVgprs: 91
; NumAgprs: 0
; TotalNumVgprs: 91
; ScratchSize: 0
; MemoryBound: 0
; FloatMode: 240
; IeeeMode: 1
; LDSByteSize: 10752 bytes/workgroup (compile time only)
; SGPRBlocks: 3
; VGPRBlocks: 11
; NumSGPRsForWavesPerEU: 32
; NumVGPRsForWavesPerEU: 91
; AccumOffset: 92
; Occupancy: 2
; WaveLimiterHint : 1
; COMPUTE_PGM_RSRC2:SCRATCH_EN: 0
; COMPUTE_PGM_RSRC2:USER_SGPR: 6
; COMPUTE_PGM_RSRC2:TRAP_HANDLER: 0
; COMPUTE_PGM_RSRC2:TGID_X_EN: 1
; COMPUTE_PGM_RSRC2:TGID_Y_EN: 0
; COMPUTE_PGM_RSRC2:TGID_Z_EN: 0
; COMPUTE_PGM_RSRC2:TIDIG_COMP_CNT: 0
; COMPUTE_PGM_RSRC3_GFX90A:ACCUM_OFFSET: 22
; COMPUTE_PGM_RSRC3_GFX90A:TG_SPLIT: 0
	.section	.text._ZN7rocprim6detail18single_scan_kernelILb1ENS0_19wrapped_scan_configINS_14default_configEyEEN6hipcub22TransformInputIteratorIyNS5_6CastOpIyEEPylEES9_NS5_3MinENS_12future_valueIyS9_EEyEEvT1_mT4_T2_T3_,"axG",@progbits,_ZN7rocprim6detail18single_scan_kernelILb1ENS0_19wrapped_scan_configINS_14default_configEyEEN6hipcub22TransformInputIteratorIyNS5_6CastOpIyEEPylEES9_NS5_3MinENS_12future_valueIyS9_EEyEEvT1_mT4_T2_T3_,comdat
	.protected	_ZN7rocprim6detail18single_scan_kernelILb1ENS0_19wrapped_scan_configINS_14default_configEyEEN6hipcub22TransformInputIteratorIyNS5_6CastOpIyEEPylEES9_NS5_3MinENS_12future_valueIyS9_EEyEEvT1_mT4_T2_T3_ ; -- Begin function _ZN7rocprim6detail18single_scan_kernelILb1ENS0_19wrapped_scan_configINS_14default_configEyEEN6hipcub22TransformInputIteratorIyNS5_6CastOpIyEEPylEES9_NS5_3MinENS_12future_valueIyS9_EEyEEvT1_mT4_T2_T3_
	.globl	_ZN7rocprim6detail18single_scan_kernelILb1ENS0_19wrapped_scan_configINS_14default_configEyEEN6hipcub22TransformInputIteratorIyNS5_6CastOpIyEEPylEES9_NS5_3MinENS_12future_valueIyS9_EEyEEvT1_mT4_T2_T3_
	.p2align	8
	.type	_ZN7rocprim6detail18single_scan_kernelILb1ENS0_19wrapped_scan_configINS_14default_configEyEEN6hipcub22TransformInputIteratorIyNS5_6CastOpIyEEPylEES9_NS5_3MinENS_12future_valueIyS9_EEyEEvT1_mT4_T2_T3_,@function
_ZN7rocprim6detail18single_scan_kernelILb1ENS0_19wrapped_scan_configINS_14default_configEyEEN6hipcub22TransformInputIteratorIyNS5_6CastOpIyEEPylEES9_NS5_3MinENS_12future_valueIyS9_EEyEEvT1_mT4_T2_T3_: ; @_ZN7rocprim6detail18single_scan_kernelILb1ENS0_19wrapped_scan_configINS_14default_configEyEEN6hipcub22TransformInputIteratorIyNS5_6CastOpIyEEPylEES9_NS5_3MinENS_12future_valueIyS9_EEyEEvT1_mT4_T2_T3_
; %bb.0:
	s_load_dwordx2 s[0:1], s[4:5], 0x0
	s_load_dwordx4 s[48:51], s[4:5], 0x10
	v_lshlrev_b32_e32 v48, 3, v0
	s_waitcnt lgkmcnt(0)
	s_load_dwordx2 s[46:47], s[0:1], 0x0
	v_mov_b32_e32 v1, s1
	v_add_co_u32_e32 v4, vcc, s0, v48
	v_addc_co_u32_e32 v5, vcc, 0, v1, vcc
	v_cmp_gt_u32_e64 s[0:1], s48, v0
	s_waitcnt lgkmcnt(0)
	v_pk_mov_b32 v[2:3], s[46:47], s[46:47] op_sel:[0,1]
	s_and_saveexec_b64 s[2:3], s[0:1]
	s_cbranch_execz .LBB160_2
; %bb.1:
	global_load_dwordx2 v[2:3], v[4:5], off
.LBB160_2:
	s_or_b64 exec, exec, s[2:3]
	v_or_b32_e32 v1, 64, v0
	v_cmp_gt_u32_e64 s[2:3], s48, v1
	v_pk_mov_b32 v[6:7], s[46:47], s[46:47] op_sel:[0,1]
	s_and_saveexec_b64 s[6:7], s[2:3]
	s_cbranch_execz .LBB160_4
; %bb.3:
	global_load_dwordx2 v[6:7], v[4:5], off offset:512
.LBB160_4:
	s_or_b64 exec, exec, s[6:7]
	v_or_b32_e32 v1, 0x80, v0
	v_cmp_gt_u32_e64 s[44:45], s48, v1
	v_pk_mov_b32 v[8:9], s[46:47], s[46:47] op_sel:[0,1]
	s_and_saveexec_b64 s[6:7], s[44:45]
	s_cbranch_execz .LBB160_6
; %bb.5:
	global_load_dwordx2 v[8:9], v[4:5], off offset:1024
.LBB160_6:
	;; [unrolled: 9-line block ×7, first 2 shown]
	s_or_b64 exec, exec, s[16:17]
	v_or_b32_e32 v1, 0x200, v0
	v_cmp_gt_u32_e64 s[16:17], s48, v1
	v_pk_mov_b32 v[20:21], s[46:47], s[46:47] op_sel:[0,1]
	s_and_saveexec_b64 s[18:19], s[16:17]
	s_cbranch_execz .LBB160_18
; %bb.17:
	v_add_co_u32_e32 v20, vcc, 0x1000, v4
	v_addc_co_u32_e32 v21, vcc, 0, v5, vcc
	global_load_dwordx2 v[20:21], v[20:21], off
.LBB160_18:
	s_or_b64 exec, exec, s[18:19]
	v_or_b32_e32 v1, 0x240, v0
	v_cmp_gt_u32_e64 s[18:19], s48, v1
	v_pk_mov_b32 v[22:23], s[46:47], s[46:47] op_sel:[0,1]
	s_and_saveexec_b64 s[20:21], s[18:19]
	s_cbranch_execz .LBB160_20
; %bb.19:
	v_add_co_u32_e32 v22, vcc, 0x1000, v4
	v_addc_co_u32_e32 v23, vcc, 0, v5, vcc
	global_load_dwordx2 v[22:23], v[22:23], off offset:512
.LBB160_20:
	s_or_b64 exec, exec, s[20:21]
	v_or_b32_e32 v1, 0x280, v0
	v_cmp_gt_u32_e64 s[20:21], s48, v1
	v_pk_mov_b32 v[24:25], s[46:47], s[46:47] op_sel:[0,1]
	s_and_saveexec_b64 s[22:23], s[20:21]
	s_cbranch_execz .LBB160_22
; %bb.21:
	v_add_co_u32_e32 v24, vcc, 0x1000, v4
	v_addc_co_u32_e32 v25, vcc, 0, v5, vcc
	global_load_dwordx2 v[24:25], v[24:25], off offset:1024
.LBB160_22:
	;; [unrolled: 11-line block ×7, first 2 shown]
	s_or_b64 exec, exec, s[34:35]
	v_or_b32_e32 v1, 0x400, v0
	v_cmp_gt_u32_e64 s[34:35], s48, v1
	v_pk_mov_b32 v[36:37], s[46:47], s[46:47] op_sel:[0,1]
	s_and_saveexec_b64 s[36:37], s[34:35]
	s_cbranch_execz .LBB160_34
; %bb.33:
	v_add_co_u32_e32 v36, vcc, 0x2000, v4
	v_addc_co_u32_e32 v37, vcc, 0, v5, vcc
	global_load_dwordx2 v[36:37], v[36:37], off
.LBB160_34:
	s_or_b64 exec, exec, s[36:37]
	v_or_b32_e32 v1, 0x440, v0
	v_cmp_gt_u32_e64 s[36:37], s48, v1
	v_pk_mov_b32 v[38:39], s[46:47], s[46:47] op_sel:[0,1]
	s_and_saveexec_b64 s[38:39], s[36:37]
	s_cbranch_execz .LBB160_36
; %bb.35:
	v_add_co_u32_e32 v38, vcc, 0x2000, v4
	v_addc_co_u32_e32 v39, vcc, 0, v5, vcc
	global_load_dwordx2 v[38:39], v[38:39], off offset:512
.LBB160_36:
	s_or_b64 exec, exec, s[38:39]
	v_or_b32_e32 v1, 0x480, v0
	v_cmp_gt_u32_e64 s[38:39], s48, v1
	v_pk_mov_b32 v[40:41], s[46:47], s[46:47] op_sel:[0,1]
	s_and_saveexec_b64 s[40:41], s[38:39]
	s_cbranch_execz .LBB160_38
; %bb.37:
	v_add_co_u32_e32 v40, vcc, 0x2000, v4
	v_addc_co_u32_e32 v41, vcc, 0, v5, vcc
	global_load_dwordx2 v[40:41], v[40:41], off offset:1024
.LBB160_38:
	;; [unrolled: 11-line block ×3, first 2 shown]
	s_or_b64 exec, exec, s[42:43]
	s_load_dwordx2 s[52:53], s[4:5], 0x20
	v_or_b32_e32 v1, 0x500, v0
	v_cmp_gt_u32_e64 s[42:43], s48, v1
	v_pk_mov_b32 v[44:45], s[46:47], s[46:47] op_sel:[0,1]
	s_and_saveexec_b64 s[4:5], s[42:43]
	s_cbranch_execz .LBB160_42
; %bb.41:
	v_add_co_u32_e32 v4, vcc, 0x2000, v4
	v_addc_co_u32_e32 v5, vcc, 0, v5, vcc
	global_load_dwordx2 v[44:45], v[4:5], off offset:2048
.LBB160_42:
	s_or_b64 exec, exec, s[4:5]
	s_movk_i32 s4, 0xa0
	v_mad_u32_u24 v1, v0, s4, v48
	s_load_dwordx2 s[48:49], s[50:51], 0x0
	s_waitcnt vmcnt(0)
	ds_write2st64_b64 v48, v[2:3], v[6:7] offset1:1
	ds_write2st64_b64 v48, v[8:9], v[10:11] offset0:2 offset1:3
	ds_write2st64_b64 v48, v[12:13], v[14:15] offset0:4 offset1:5
	;; [unrolled: 1-line block ×9, first 2 shown]
	ds_write_b64 v48, v[44:45] offset:10240
	s_waitcnt lgkmcnt(0)
	; wave barrier
	s_waitcnt lgkmcnt(0)
	ds_read2_b64 v[38:41], v1 offset1:1
	ds_read2_b64 v[34:37], v1 offset0:2 offset1:3
	ds_read2_b64 v[30:33], v1 offset0:4 offset1:5
	ds_read2_b64 v[26:29], v1 offset0:6 offset1:7
	ds_read2_b64 v[22:25], v1 offset0:8 offset1:9
	ds_read2_b64 v[18:21], v1 offset0:10 offset1:11
	ds_read2_b64 v[14:17], v1 offset0:12 offset1:13
	ds_read2_b64 v[10:13], v1 offset0:14 offset1:15
	ds_read2_b64 v[6:9], v1 offset0:16 offset1:17
	ds_read2_b64 v[2:5], v1 offset0:18 offset1:19
	ds_read_b64 v[42:43], v1 offset:160
	s_waitcnt lgkmcnt(10)
	v_cmp_lt_u64_e32 vcc, v[38:39], v[40:41]
	v_cndmask_b32_e32 v45, v41, v39, vcc
	v_cndmask_b32_e32 v44, v40, v38, vcc
	s_waitcnt lgkmcnt(9)
	v_cmp_lt_u64_e32 vcc, v[44:45], v[34:35]
	v_cndmask_b32_e32 v45, v35, v45, vcc
	v_cndmask_b32_e32 v44, v34, v44, vcc
	v_cmp_lt_u64_e32 vcc, v[44:45], v[36:37]
	v_cndmask_b32_e32 v45, v37, v45, vcc
	v_cndmask_b32_e32 v44, v36, v44, vcc
	s_waitcnt lgkmcnt(8)
	v_cmp_lt_u64_e32 vcc, v[44:45], v[30:31]
	v_cndmask_b32_e32 v45, v31, v45, vcc
	v_cndmask_b32_e32 v44, v30, v44, vcc
	;; [unrolled: 7-line block ×10, first 2 shown]
	v_mbcnt_lo_u32_b32 v44, -1, 0
	v_mbcnt_hi_u32_b32 v49, -1, v44
	v_mov_b32_dpp v45, v43 row_shr:1 row_mask:0xf bank_mask:0xf
	v_mov_b32_dpp v44, v42 row_shr:1 row_mask:0xf bank_mask:0xf
	v_and_b32_e32 v50, 15, v49
	v_cmp_lt_u64_e32 vcc, v[44:45], v[42:43]
	v_cndmask_b32_e32 v44, v42, v44, vcc
	v_cndmask_b32_e32 v45, v43, v45, vcc
	v_cmp_eq_u32_e32 vcc, 0, v50
	v_cndmask_b32_e32 v45, v45, v43, vcc
	v_cndmask_b32_e32 v44, v44, v42, vcc
	v_and_b32_e32 v52, 16, v49
	v_mov_b32_dpp v47, v45 row_shr:2 row_mask:0xf bank_mask:0xf
	v_mov_b32_dpp v46, v44 row_shr:2 row_mask:0xf bank_mask:0xf
	v_cmp_lt_u64_e32 vcc, v[46:47], v[44:45]
	v_cndmask_b32_e32 v46, v44, v46, vcc
	v_cndmask_b32_e32 v47, v45, v47, vcc
	v_cmp_lt_u32_e32 vcc, 1, v50
	v_cndmask_b32_e32 v45, v45, v47, vcc
	v_cndmask_b32_e32 v44, v44, v46, vcc
	v_cmp_eq_u32_e64 s[4:5], 0, v52
	v_mov_b32_dpp v47, v45 row_shr:4 row_mask:0xf bank_mask:0xf
	v_mov_b32_dpp v46, v44 row_shr:4 row_mask:0xf bank_mask:0xf
	v_cmp_lt_u64_e32 vcc, v[46:47], v[44:45]
	v_cndmask_b32_e32 v46, v44, v46, vcc
	v_cndmask_b32_e32 v47, v45, v47, vcc
	v_cmp_lt_u32_e32 vcc, 3, v50
	v_cndmask_b32_e32 v45, v45, v47, vcc
	v_cndmask_b32_e32 v44, v44, v46, vcc
	v_cmp_ne_u32_e64 s[46:47], 0, v49
	v_mov_b32_dpp v47, v45 row_shr:8 row_mask:0xf bank_mask:0xf
	v_mov_b32_dpp v46, v44 row_shr:8 row_mask:0xf bank_mask:0xf
	v_cmp_lt_u64_e32 vcc, v[46:47], v[44:45]
	v_cndmask_b32_e32 v46, v44, v46, vcc
	v_cndmask_b32_e32 v47, v45, v47, vcc
	v_cmp_lt_u32_e32 vcc, 7, v50
	v_cndmask_b32_e32 v45, v45, v47, vcc
	v_cndmask_b32_e32 v44, v44, v46, vcc
	s_nop 0
	v_mov_b32_dpp v47, v45 row_bcast:15 row_mask:0xf bank_mask:0xf
	v_mov_b32_dpp v46, v44 row_bcast:15 row_mask:0xf bank_mask:0xf
	v_cmp_lt_u64_e32 vcc, v[46:47], v[44:45]
	v_cndmask_b32_e32 v50, v45, v47, vcc
	v_cndmask_b32_e32 v51, v44, v46, vcc
	v_cndmask_b32_e64 v47, v50, v45, s[4:5]
	v_cndmask_b32_e64 v46, v51, v44, s[4:5]
	v_cmp_eq_u32_e32 vcc, 0, v49
	v_mov_b32_dpp v47, v47 row_bcast:31 row_mask:0xf bank_mask:0xf
	v_mov_b32_dpp v46, v46 row_bcast:31 row_mask:0xf bank_mask:0xf
	; wave barrier
	s_and_saveexec_b64 s[50:51], s[46:47]
; %bb.43:
	v_cndmask_b32_e64 v43, v50, v45, s[4:5]
	v_cndmask_b32_e64 v42, v51, v44, s[4:5]
	v_cmp_lt_u64_e64 s[4:5], v[46:47], v[42:43]
	v_cmp_lt_u32_e64 s[46:47], 31, v49
	v_cndmask_b32_e64 v44, v43, v47, s[4:5]
	s_and_b64 s[4:5], s[46:47], s[4:5]
	v_cndmask_b32_e64 v43, v43, v44, s[46:47]
	v_cndmask_b32_e64 v42, v42, v46, s[4:5]
; %bb.44:
	s_or_b64 exec, exec, s[50:51]
	v_cmp_eq_u32_e64 s[4:5], 63, v0
	s_and_saveexec_b64 s[46:47], s[4:5]
	s_cbranch_execz .LBB160_46
; %bb.45:
	v_mov_b32_e32 v44, 0
	ds_write_b64 v44, v[42:43]
.LBB160_46:
	s_or_b64 exec, exec, s[46:47]
	v_mov_b32_e32 v44, s49
	v_cmp_lt_u64_e64 s[4:5], s[48:49], v[42:43]
	v_mov_b32_e32 v45, s48
	v_add_u32_e32 v46, -1, v49
	v_and_b32_e32 v47, 64, v49
	v_cndmask_b32_e64 v43, v43, v44, s[4:5]
	v_cndmask_b32_e64 v42, v42, v45, s[4:5]
	v_cmp_lt_i32_e64 s[4:5], v46, v47
	v_cndmask_b32_e64 v46, v46, v49, s[4:5]
	v_lshlrev_b32_e32 v46, 2, v46
	ds_bpermute_b32 v43, v46, v43
	ds_bpermute_b32 v42, v46, v42
	v_cmp_eq_u32_e64 s[4:5], 0, v0
	s_or_b64 vcc, s[4:5], vcc
	s_movk_i32 s4, 0xff60
	s_waitcnt lgkmcnt(1)
	v_cndmask_b32_e32 v43, v43, v44, vcc
	s_waitcnt lgkmcnt(0)
	v_cndmask_b32_e32 v42, v42, v45, vcc
	v_cmp_lt_u64_e32 vcc, v[42:43], v[38:39]
	v_cndmask_b32_e32 v39, v39, v43, vcc
	v_cndmask_b32_e32 v38, v38, v42, vcc
	v_cmp_lt_u64_e32 vcc, v[38:39], v[40:41]
	v_cndmask_b32_e32 v41, v41, v39, vcc
	;; [unrolled: 3-line block ×19, first 2 shown]
	v_cndmask_b32_e32 v2, v2, v8, vcc
	v_cmp_lt_u64_e32 vcc, v[2:3], v[4:5]
	s_waitcnt lgkmcnt(0)
	; wave barrier
	v_cndmask_b32_e32 v5, v5, v3, vcc
	v_cndmask_b32_e32 v4, v4, v2, vcc
	s_waitcnt lgkmcnt(0)
	; wave barrier
	ds_write2_b64 v1, v[42:43], v[38:39] offset1:1
	ds_write2_b64 v1, v[40:41], v[34:35] offset0:2 offset1:3
	ds_write2_b64 v1, v[36:37], v[30:31] offset0:4 offset1:5
	;; [unrolled: 1-line block ×9, first 2 shown]
	ds_write_b64 v1, v[4:5] offset:160
	v_mad_i32_i24 v36, v0, s4, v1
	s_waitcnt lgkmcnt(0)
	; wave barrier
	s_waitcnt lgkmcnt(0)
	ds_read2st64_b64 v[32:35], v36 offset0:1 offset1:2
	ds_read2st64_b64 v[28:31], v36 offset0:3 offset1:4
	;; [unrolled: 1-line block ×7, first 2 shown]
	ds_read_b64 v[40:41], v48 offset:8192
	ds_read2st64_b64 v[8:11], v36 offset0:13 offset1:14
	ds_read2st64_b64 v[0:3], v36 offset0:18 offset1:19
	ds_read_b64 v[36:37], v36 offset:10240
	v_mov_b32_e32 v39, s53
	v_add_co_u32_e32 v38, vcc, s52, v48
	v_addc_co_u32_e32 v39, vcc, 0, v39, vcc
	s_and_saveexec_b64 s[4:5], s[0:1]
	s_cbranch_execnz .LBB160_68
; %bb.47:
	s_or_b64 exec, exec, s[4:5]
	s_and_saveexec_b64 s[0:1], s[2:3]
	s_cbranch_execnz .LBB160_69
.LBB160_48:
	s_or_b64 exec, exec, s[0:1]
	s_and_saveexec_b64 s[0:1], s[44:45]
	s_cbranch_execnz .LBB160_70
.LBB160_49:
	s_or_b64 exec, exec, s[0:1]
	s_and_saveexec_b64 s[0:1], s[6:7]
	s_cbranch_execnz .LBB160_71
.LBB160_50:
	s_or_b64 exec, exec, s[0:1]
	s_and_saveexec_b64 s[0:1], s[8:9]
	s_cbranch_execnz .LBB160_72
.LBB160_51:
	s_or_b64 exec, exec, s[0:1]
	s_and_saveexec_b64 s[0:1], s[10:11]
	s_cbranch_execnz .LBB160_73
.LBB160_52:
	s_or_b64 exec, exec, s[0:1]
	s_and_saveexec_b64 s[0:1], s[12:13]
	s_cbranch_execnz .LBB160_74
.LBB160_53:
	s_or_b64 exec, exec, s[0:1]
	s_and_saveexec_b64 s[0:1], s[14:15]
	s_cbranch_execnz .LBB160_75
.LBB160_54:
	s_or_b64 exec, exec, s[0:1]
	s_and_saveexec_b64 s[0:1], s[16:17]
	s_cbranch_execnz .LBB160_76
.LBB160_55:
	s_or_b64 exec, exec, s[0:1]
	s_and_saveexec_b64 s[0:1], s[18:19]
	s_cbranch_execnz .LBB160_77
.LBB160_56:
	s_or_b64 exec, exec, s[0:1]
	s_and_saveexec_b64 s[0:1], s[20:21]
	s_cbranch_execnz .LBB160_78
.LBB160_57:
	s_or_b64 exec, exec, s[0:1]
	s_and_saveexec_b64 s[0:1], s[22:23]
	s_cbranch_execnz .LBB160_79
.LBB160_58:
	s_or_b64 exec, exec, s[0:1]
	s_and_saveexec_b64 s[0:1], s[24:25]
	s_cbranch_execnz .LBB160_80
.LBB160_59:
	s_or_b64 exec, exec, s[0:1]
	s_and_saveexec_b64 s[0:1], s[26:27]
	s_cbranch_execnz .LBB160_81
.LBB160_60:
	s_or_b64 exec, exec, s[0:1]
	s_and_saveexec_b64 s[0:1], s[28:29]
	s_cbranch_execnz .LBB160_82
.LBB160_61:
	s_or_b64 exec, exec, s[0:1]
	s_and_saveexec_b64 s[0:1], s[30:31]
	s_cbranch_execnz .LBB160_83
.LBB160_62:
	s_or_b64 exec, exec, s[0:1]
	s_and_saveexec_b64 s[0:1], s[34:35]
	s_cbranch_execnz .LBB160_84
.LBB160_63:
	s_or_b64 exec, exec, s[0:1]
	s_and_saveexec_b64 s[0:1], s[36:37]
	s_cbranch_execnz .LBB160_85
.LBB160_64:
	s_or_b64 exec, exec, s[0:1]
	s_and_saveexec_b64 s[0:1], s[38:39]
	s_cbranch_execnz .LBB160_86
.LBB160_65:
	s_or_b64 exec, exec, s[0:1]
	s_and_saveexec_b64 s[0:1], s[40:41]
	s_cbranch_execnz .LBB160_87
.LBB160_66:
	s_or_b64 exec, exec, s[0:1]
	s_and_saveexec_b64 s[0:1], s[42:43]
	s_cbranch_execnz .LBB160_88
.LBB160_67:
	s_endpgm
.LBB160_68:
	ds_read_b64 v[42:43], v48
	s_waitcnt lgkmcnt(0)
	global_store_dwordx2 v[38:39], v[42:43], off
	s_or_b64 exec, exec, s[4:5]
	s_and_saveexec_b64 s[0:1], s[2:3]
	s_cbranch_execz .LBB160_48
.LBB160_69:
	s_waitcnt lgkmcnt(10)
	global_store_dwordx2 v[38:39], v[32:33], off offset:512
	s_or_b64 exec, exec, s[0:1]
	s_and_saveexec_b64 s[0:1], s[44:45]
	s_cbranch_execz .LBB160_49
.LBB160_70:
	s_waitcnt lgkmcnt(10)
	global_store_dwordx2 v[38:39], v[34:35], off offset:1024
	s_or_b64 exec, exec, s[0:1]
	s_and_saveexec_b64 s[0:1], s[6:7]
	s_cbranch_execz .LBB160_50
.LBB160_71:
	s_waitcnt lgkmcnt(9)
	global_store_dwordx2 v[38:39], v[28:29], off offset:1536
	s_or_b64 exec, exec, s[0:1]
	s_and_saveexec_b64 s[0:1], s[8:9]
	s_cbranch_execz .LBB160_51
.LBB160_72:
	s_waitcnt lgkmcnt(9)
	global_store_dwordx2 v[38:39], v[30:31], off offset:2048
	s_or_b64 exec, exec, s[0:1]
	s_and_saveexec_b64 s[0:1], s[10:11]
	s_cbranch_execz .LBB160_52
.LBB160_73:
	s_waitcnt lgkmcnt(8)
	global_store_dwordx2 v[38:39], v[24:25], off offset:2560
	s_or_b64 exec, exec, s[0:1]
	s_and_saveexec_b64 s[0:1], s[12:13]
	s_cbranch_execz .LBB160_53
.LBB160_74:
	s_waitcnt lgkmcnt(8)
	global_store_dwordx2 v[38:39], v[26:27], off offset:3072
	s_or_b64 exec, exec, s[0:1]
	s_and_saveexec_b64 s[0:1], s[14:15]
	s_cbranch_execz .LBB160_54
.LBB160_75:
	s_waitcnt lgkmcnt(7)
	global_store_dwordx2 v[38:39], v[20:21], off offset:3584
	s_or_b64 exec, exec, s[0:1]
	s_and_saveexec_b64 s[0:1], s[16:17]
	s_cbranch_execz .LBB160_55
.LBB160_76:
	s_waitcnt lgkmcnt(7)
	v_add_co_u32_e32 v20, vcc, 0x1000, v38
	v_addc_co_u32_e32 v21, vcc, 0, v39, vcc
	global_store_dwordx2 v[20:21], v[22:23], off
	s_or_b64 exec, exec, s[0:1]
	s_and_saveexec_b64 s[0:1], s[18:19]
	s_cbranch_execz .LBB160_56
.LBB160_77:
	s_waitcnt lgkmcnt(7)
	v_add_co_u32_e32 v20, vcc, 0x1000, v38
	v_addc_co_u32_e32 v21, vcc, 0, v39, vcc
	s_waitcnt lgkmcnt(6)
	global_store_dwordx2 v[20:21], v[16:17], off offset:512
	s_or_b64 exec, exec, s[0:1]
	s_and_saveexec_b64 s[0:1], s[20:21]
	s_cbranch_execz .LBB160_57
.LBB160_78:
	s_waitcnt lgkmcnt(6)
	v_add_co_u32_e32 v16, vcc, 0x1000, v38
	v_addc_co_u32_e32 v17, vcc, 0, v39, vcc
	global_store_dwordx2 v[16:17], v[18:19], off offset:1024
	s_or_b64 exec, exec, s[0:1]
	s_and_saveexec_b64 s[0:1], s[22:23]
	s_cbranch_execz .LBB160_58
.LBB160_79:
	s_waitcnt lgkmcnt(6)
	v_add_co_u32_e32 v16, vcc, 0x1000, v38
	v_addc_co_u32_e32 v17, vcc, 0, v39, vcc
	s_waitcnt lgkmcnt(5)
	global_store_dwordx2 v[16:17], v[12:13], off offset:1536
	s_or_b64 exec, exec, s[0:1]
	s_and_saveexec_b64 s[0:1], s[24:25]
	s_cbranch_execz .LBB160_59
.LBB160_80:
	s_waitcnt lgkmcnt(5)
	v_add_co_u32_e32 v12, vcc, 0x1000, v38
	v_addc_co_u32_e32 v13, vcc, 0, v39, vcc
	global_store_dwordx2 v[12:13], v[14:15], off offset:2048
	s_or_b64 exec, exec, s[0:1]
	s_and_saveexec_b64 s[0:1], s[26:27]
	s_cbranch_execz .LBB160_60
.LBB160_81:
	s_waitcnt lgkmcnt(5)
	v_add_co_u32_e32 v12, vcc, 0x1000, v38
	v_addc_co_u32_e32 v13, vcc, 0, v39, vcc
	s_waitcnt lgkmcnt(2)
	global_store_dwordx2 v[12:13], v[8:9], off offset:2560
	s_or_b64 exec, exec, s[0:1]
	s_and_saveexec_b64 s[0:1], s[28:29]
	s_cbranch_execz .LBB160_61
.LBB160_82:
	s_waitcnt lgkmcnt(2)
	v_add_co_u32_e32 v8, vcc, 0x1000, v38
	v_addc_co_u32_e32 v9, vcc, 0, v39, vcc
	global_store_dwordx2 v[8:9], v[10:11], off offset:3072
	s_or_b64 exec, exec, s[0:1]
	s_and_saveexec_b64 s[0:1], s[30:31]
	s_cbranch_execz .LBB160_62
.LBB160_83:
	s_waitcnt lgkmcnt(2)
	v_add_co_u32_e32 v8, vcc, 0x1000, v38
	v_addc_co_u32_e32 v9, vcc, 0, v39, vcc
	global_store_dwordx2 v[8:9], v[4:5], off offset:3584
	s_or_b64 exec, exec, s[0:1]
	s_and_saveexec_b64 s[0:1], s[34:35]
	s_cbranch_execz .LBB160_63
.LBB160_84:
	s_waitcnt lgkmcnt(4)
	v_add_co_u32_e32 v4, vcc, 0x2000, v38
	v_addc_co_u32_e32 v5, vcc, 0, v39, vcc
	s_waitcnt lgkmcnt(3)
	global_store_dwordx2 v[4:5], v[40:41], off
	s_or_b64 exec, exec, s[0:1]
	s_and_saveexec_b64 s[0:1], s[36:37]
	s_cbranch_execz .LBB160_64
.LBB160_85:
	s_waitcnt lgkmcnt(4)
	v_add_co_u32_e32 v4, vcc, 0x2000, v38
	v_addc_co_u32_e32 v5, vcc, 0, v39, vcc
	global_store_dwordx2 v[4:5], v[6:7], off offset:512
	s_or_b64 exec, exec, s[0:1]
	s_and_saveexec_b64 s[0:1], s[38:39]
	s_cbranch_execz .LBB160_65
.LBB160_86:
	s_waitcnt lgkmcnt(4)
	v_add_co_u32_e32 v4, vcc, 0x2000, v38
	v_addc_co_u32_e32 v5, vcc, 0, v39, vcc
	s_waitcnt lgkmcnt(1)
	global_store_dwordx2 v[4:5], v[0:1], off offset:1024
	s_or_b64 exec, exec, s[0:1]
	s_and_saveexec_b64 s[0:1], s[40:41]
	s_cbranch_execz .LBB160_66
.LBB160_87:
	s_waitcnt lgkmcnt(1)
	v_add_co_u32_e32 v0, vcc, 0x2000, v38
	v_addc_co_u32_e32 v1, vcc, 0, v39, vcc
	global_store_dwordx2 v[0:1], v[2:3], off offset:1536
	s_or_b64 exec, exec, s[0:1]
	s_and_saveexec_b64 s[0:1], s[42:43]
	s_cbranch_execz .LBB160_67
.LBB160_88:
	s_waitcnt lgkmcnt(1)
	v_add_co_u32_e32 v0, vcc, 0x2000, v38
	v_addc_co_u32_e32 v1, vcc, 0, v39, vcc
	s_waitcnt lgkmcnt(0)
	global_store_dwordx2 v[0:1], v[36:37], off offset:2048
	s_endpgm
	.section	.rodata,"a",@progbits
	.p2align	6, 0x0
	.amdhsa_kernel _ZN7rocprim6detail18single_scan_kernelILb1ENS0_19wrapped_scan_configINS_14default_configEyEEN6hipcub22TransformInputIteratorIyNS5_6CastOpIyEEPylEES9_NS5_3MinENS_12future_valueIyS9_EEyEEvT1_mT4_T2_T3_
		.amdhsa_group_segment_fixed_size 10752
		.amdhsa_private_segment_fixed_size 0
		.amdhsa_kernarg_size 44
		.amdhsa_user_sgpr_count 6
		.amdhsa_user_sgpr_private_segment_buffer 1
		.amdhsa_user_sgpr_dispatch_ptr 0
		.amdhsa_user_sgpr_queue_ptr 0
		.amdhsa_user_sgpr_kernarg_segment_ptr 1
		.amdhsa_user_sgpr_dispatch_id 0
		.amdhsa_user_sgpr_flat_scratch_init 0
		.amdhsa_user_sgpr_kernarg_preload_length 0
		.amdhsa_user_sgpr_kernarg_preload_offset 0
		.amdhsa_user_sgpr_private_segment_size 0
		.amdhsa_uses_dynamic_stack 0
		.amdhsa_system_sgpr_private_segment_wavefront_offset 0
		.amdhsa_system_sgpr_workgroup_id_x 1
		.amdhsa_system_sgpr_workgroup_id_y 0
		.amdhsa_system_sgpr_workgroup_id_z 0
		.amdhsa_system_sgpr_workgroup_info 0
		.amdhsa_system_vgpr_workitem_id 0
		.amdhsa_next_free_vgpr 53
		.amdhsa_next_free_sgpr 54
		.amdhsa_accum_offset 56
		.amdhsa_reserve_vcc 1
		.amdhsa_reserve_flat_scratch 0
		.amdhsa_float_round_mode_32 0
		.amdhsa_float_round_mode_16_64 0
		.amdhsa_float_denorm_mode_32 3
		.amdhsa_float_denorm_mode_16_64 3
		.amdhsa_dx10_clamp 1
		.amdhsa_ieee_mode 1
		.amdhsa_fp16_overflow 0
		.amdhsa_tg_split 0
		.amdhsa_exception_fp_ieee_invalid_op 0
		.amdhsa_exception_fp_denorm_src 0
		.amdhsa_exception_fp_ieee_div_zero 0
		.amdhsa_exception_fp_ieee_overflow 0
		.amdhsa_exception_fp_ieee_underflow 0
		.amdhsa_exception_fp_ieee_inexact 0
		.amdhsa_exception_int_div_zero 0
	.end_amdhsa_kernel
	.section	.text._ZN7rocprim6detail18single_scan_kernelILb1ENS0_19wrapped_scan_configINS_14default_configEyEEN6hipcub22TransformInputIteratorIyNS5_6CastOpIyEEPylEES9_NS5_3MinENS_12future_valueIyS9_EEyEEvT1_mT4_T2_T3_,"axG",@progbits,_ZN7rocprim6detail18single_scan_kernelILb1ENS0_19wrapped_scan_configINS_14default_configEyEEN6hipcub22TransformInputIteratorIyNS5_6CastOpIyEEPylEES9_NS5_3MinENS_12future_valueIyS9_EEyEEvT1_mT4_T2_T3_,comdat
.Lfunc_end160:
	.size	_ZN7rocprim6detail18single_scan_kernelILb1ENS0_19wrapped_scan_configINS_14default_configEyEEN6hipcub22TransformInputIteratorIyNS5_6CastOpIyEEPylEES9_NS5_3MinENS_12future_valueIyS9_EEyEEvT1_mT4_T2_T3_, .Lfunc_end160-_ZN7rocprim6detail18single_scan_kernelILb1ENS0_19wrapped_scan_configINS_14default_configEyEEN6hipcub22TransformInputIteratorIyNS5_6CastOpIyEEPylEES9_NS5_3MinENS_12future_valueIyS9_EEyEEvT1_mT4_T2_T3_
                                        ; -- End function
	.section	.AMDGPU.csdata,"",@progbits
; Kernel info:
; codeLenInByte = 3480
; NumSgprs: 58
; NumVgprs: 53
; NumAgprs: 0
; TotalNumVgprs: 53
; ScratchSize: 0
; MemoryBound: 0
; FloatMode: 240
; IeeeMode: 1
; LDSByteSize: 10752 bytes/workgroup (compile time only)
; SGPRBlocks: 7
; VGPRBlocks: 6
; NumSGPRsForWavesPerEU: 58
; NumVGPRsForWavesPerEU: 53
; AccumOffset: 56
; Occupancy: 2
; WaveLimiterHint : 0
; COMPUTE_PGM_RSRC2:SCRATCH_EN: 0
; COMPUTE_PGM_RSRC2:USER_SGPR: 6
; COMPUTE_PGM_RSRC2:TRAP_HANDLER: 0
; COMPUTE_PGM_RSRC2:TGID_X_EN: 1
; COMPUTE_PGM_RSRC2:TGID_Y_EN: 0
; COMPUTE_PGM_RSRC2:TGID_Z_EN: 0
; COMPUTE_PGM_RSRC2:TIDIG_COMP_CNT: 0
; COMPUTE_PGM_RSRC3_GFX90A:ACCUM_OFFSET: 13
; COMPUTE_PGM_RSRC3_GFX90A:TG_SPLIT: 0
	.section	.text._ZL18fill_initial_valueIyEvPT_S0_,"axG",@progbits,_ZL18fill_initial_valueIyEvPT_S0_,comdat
	.globl	_ZL18fill_initial_valueIyEvPT_S0_ ; -- Begin function _ZL18fill_initial_valueIyEvPT_S0_
	.p2align	8
	.type	_ZL18fill_initial_valueIyEvPT_S0_,@function
_ZL18fill_initial_valueIyEvPT_S0_:      ; @_ZL18fill_initial_valueIyEvPT_S0_
; %bb.0:
	s_load_dwordx4 s[0:3], s[4:5], 0x0
	v_mov_b32_e32 v2, 0
	s_waitcnt lgkmcnt(0)
	v_mov_b32_e32 v0, s2
	v_mov_b32_e32 v1, s3
	global_store_dwordx2 v2, v[0:1], s[0:1]
	s_endpgm
	.section	.rodata,"a",@progbits
	.p2align	6, 0x0
	.amdhsa_kernel _ZL18fill_initial_valueIyEvPT_S0_
		.amdhsa_group_segment_fixed_size 0
		.amdhsa_private_segment_fixed_size 0
		.amdhsa_kernarg_size 16
		.amdhsa_user_sgpr_count 6
		.amdhsa_user_sgpr_private_segment_buffer 1
		.amdhsa_user_sgpr_dispatch_ptr 0
		.amdhsa_user_sgpr_queue_ptr 0
		.amdhsa_user_sgpr_kernarg_segment_ptr 1
		.amdhsa_user_sgpr_dispatch_id 0
		.amdhsa_user_sgpr_flat_scratch_init 0
		.amdhsa_user_sgpr_kernarg_preload_length 0
		.amdhsa_user_sgpr_kernarg_preload_offset 0
		.amdhsa_user_sgpr_private_segment_size 0
		.amdhsa_uses_dynamic_stack 0
		.amdhsa_system_sgpr_private_segment_wavefront_offset 0
		.amdhsa_system_sgpr_workgroup_id_x 1
		.amdhsa_system_sgpr_workgroup_id_y 0
		.amdhsa_system_sgpr_workgroup_id_z 0
		.amdhsa_system_sgpr_workgroup_info 0
		.amdhsa_system_vgpr_workitem_id 0
		.amdhsa_next_free_vgpr 3
		.amdhsa_next_free_sgpr 6
		.amdhsa_accum_offset 4
		.amdhsa_reserve_vcc 0
		.amdhsa_reserve_flat_scratch 0
		.amdhsa_float_round_mode_32 0
		.amdhsa_float_round_mode_16_64 0
		.amdhsa_float_denorm_mode_32 3
		.amdhsa_float_denorm_mode_16_64 3
		.amdhsa_dx10_clamp 1
		.amdhsa_ieee_mode 1
		.amdhsa_fp16_overflow 0
		.amdhsa_tg_split 0
		.amdhsa_exception_fp_ieee_invalid_op 0
		.amdhsa_exception_fp_denorm_src 0
		.amdhsa_exception_fp_ieee_div_zero 0
		.amdhsa_exception_fp_ieee_overflow 0
		.amdhsa_exception_fp_ieee_underflow 0
		.amdhsa_exception_fp_ieee_inexact 0
		.amdhsa_exception_int_div_zero 0
	.end_amdhsa_kernel
	.section	.text._ZL18fill_initial_valueIyEvPT_S0_,"axG",@progbits,_ZL18fill_initial_valueIyEvPT_S0_,comdat
.Lfunc_end161:
	.size	_ZL18fill_initial_valueIyEvPT_S0_, .Lfunc_end161-_ZL18fill_initial_valueIyEvPT_S0_
                                        ; -- End function
	.section	.AMDGPU.csdata,"",@progbits
; Kernel info:
; codeLenInByte = 36
; NumSgprs: 10
; NumVgprs: 3
; NumAgprs: 0
; TotalNumVgprs: 3
; ScratchSize: 0
; MemoryBound: 0
; FloatMode: 240
; IeeeMode: 1
; LDSByteSize: 0 bytes/workgroup (compile time only)
; SGPRBlocks: 1
; VGPRBlocks: 0
; NumSGPRsForWavesPerEU: 10
; NumVGPRsForWavesPerEU: 3
; AccumOffset: 4
; Occupancy: 8
; WaveLimiterHint : 0
; COMPUTE_PGM_RSRC2:SCRATCH_EN: 0
; COMPUTE_PGM_RSRC2:USER_SGPR: 6
; COMPUTE_PGM_RSRC2:TRAP_HANDLER: 0
; COMPUTE_PGM_RSRC2:TGID_X_EN: 1
; COMPUTE_PGM_RSRC2:TGID_Y_EN: 0
; COMPUTE_PGM_RSRC2:TGID_Z_EN: 0
; COMPUTE_PGM_RSRC2:TIDIG_COMP_CNT: 0
; COMPUTE_PGM_RSRC3_GFX90A:ACCUM_OFFSET: 0
; COMPUTE_PGM_RSRC3_GFX90A:TG_SPLIT: 0
	.text
	.p2alignl 6, 3212836864
	.fill 256, 4, 3212836864
	.type	__hip_cuid_f404e462df1323a4,@object ; @__hip_cuid_f404e462df1323a4
	.section	.bss,"aw",@nobits
	.globl	__hip_cuid_f404e462df1323a4
__hip_cuid_f404e462df1323a4:
	.byte	0                               ; 0x0
	.size	__hip_cuid_f404e462df1323a4, 1

	.ident	"AMD clang version 19.0.0git (https://github.com/RadeonOpenCompute/llvm-project roc-6.4.0 25133 c7fe45cf4b819c5991fe208aaa96edf142730f1d)"
	.section	".note.GNU-stack","",@progbits
	.addrsig
	.addrsig_sym __hip_cuid_f404e462df1323a4
	.amdgpu_metadata
---
amdhsa.kernels:
  - .agpr_count:     0
    .args:
      - .address_space:  global
        .offset:         0
        .size:           8
        .value_kind:     global_buffer
      - .offset:         8
        .size:           4
        .value_kind:     by_value
      - .offset:         12
        .size:           4
        .value_kind:     by_value
      - .address_space:  global
        .offset:         16
        .size:           8
        .value_kind:     global_buffer
      - .offset:         24
        .size:           4
        .value_kind:     hidden_block_count_x
      - .offset:         28
        .size:           4
        .value_kind:     hidden_block_count_y
      - .offset:         32
        .size:           4
        .value_kind:     hidden_block_count_z
      - .offset:         36
        .size:           2
        .value_kind:     hidden_group_size_x
      - .offset:         38
        .size:           2
        .value_kind:     hidden_group_size_y
      - .offset:         40
        .size:           2
        .value_kind:     hidden_group_size_z
      - .offset:         42
        .size:           2
        .value_kind:     hidden_remainder_x
      - .offset:         44
        .size:           2
        .value_kind:     hidden_remainder_y
      - .offset:         46
        .size:           2
        .value_kind:     hidden_remainder_z
      - .offset:         64
        .size:           8
        .value_kind:     hidden_global_offset_x
      - .offset:         72
        .size:           8
        .value_kind:     hidden_global_offset_y
      - .offset:         80
        .size:           8
        .value_kind:     hidden_global_offset_z
      - .offset:         88
        .size:           2
        .value_kind:     hidden_grid_dims
    .group_segment_fixed_size: 0
    .kernarg_segment_align: 8
    .kernarg_segment_size: 280
    .language:       OpenCL C
    .language_version:
      - 2
      - 0
    .max_flat_workgroup_size: 256
    .name:           _ZN7rocprim6detail31init_lookback_scan_state_kernelINS0_19lookback_scan_stateIiLb1ELb1EEEEEvT_jjPNS4_10value_typeE
    .private_segment_fixed_size: 0
    .sgpr_count:     16
    .sgpr_spill_count: 0
    .symbol:         _ZN7rocprim6detail31init_lookback_scan_state_kernelINS0_19lookback_scan_stateIiLb1ELb1EEEEEvT_jjPNS4_10value_typeE.kd
    .uniform_work_group_size: 1
    .uses_dynamic_stack: false
    .vgpr_count:     6
    .vgpr_spill_count: 0
    .wavefront_size: 64
  - .agpr_count:     0
    .args:
      - .address_space:  global
        .offset:         0
        .size:           8
        .value_kind:     global_buffer
      - .offset:         8
        .size:           4
        .value_kind:     by_value
      - .offset:         12
        .size:           4
        .value_kind:     by_value
      - .address_space:  global
        .offset:         16
        .size:           8
        .value_kind:     global_buffer
      - .offset:         24
        .size:           4
        .value_kind:     hidden_block_count_x
      - .offset:         28
        .size:           4
        .value_kind:     hidden_block_count_y
      - .offset:         32
        .size:           4
        .value_kind:     hidden_block_count_z
      - .offset:         36
        .size:           2
        .value_kind:     hidden_group_size_x
      - .offset:         38
        .size:           2
        .value_kind:     hidden_group_size_y
      - .offset:         40
        .size:           2
        .value_kind:     hidden_group_size_z
      - .offset:         42
        .size:           2
        .value_kind:     hidden_remainder_x
      - .offset:         44
        .size:           2
        .value_kind:     hidden_remainder_y
      - .offset:         46
        .size:           2
        .value_kind:     hidden_remainder_z
      - .offset:         64
        .size:           8
        .value_kind:     hidden_global_offset_x
      - .offset:         72
        .size:           8
        .value_kind:     hidden_global_offset_y
      - .offset:         80
        .size:           8
        .value_kind:     hidden_global_offset_z
      - .offset:         88
        .size:           2
        .value_kind:     hidden_grid_dims
    .group_segment_fixed_size: 0
    .kernarg_segment_align: 8
    .kernarg_segment_size: 280
    .language:       OpenCL C
    .language_version:
      - 2
      - 0
    .max_flat_workgroup_size: 256
    .name:           _ZN7rocprim6detail31init_lookback_scan_state_kernelINS0_19lookback_scan_stateIiLb0ELb1EEEEEvT_jjPNS4_10value_typeE
    .private_segment_fixed_size: 0
    .sgpr_count:     14
    .sgpr_spill_count: 0
    .symbol:         _ZN7rocprim6detail31init_lookback_scan_state_kernelINS0_19lookback_scan_stateIiLb0ELb1EEEEEvT_jjPNS4_10value_typeE.kd
    .uniform_work_group_size: 1
    .uses_dynamic_stack: false
    .vgpr_count:     6
    .vgpr_spill_count: 0
    .wavefront_size: 64
  - .agpr_count:     0
    .args:
      - .offset:         0
        .size:           16
        .value_kind:     by_value
      - .address_space:  global
        .offset:         16
        .size:           8
        .value_kind:     global_buffer
      - .offset:         24
        .size:           8
        .value_kind:     by_value
      - .offset:         32
        .size:           4
        .value_kind:     by_value
      - .offset:         36
        .size:           1
        .value_kind:     by_value
      - .address_space:  global
        .offset:         40
        .size:           8
        .value_kind:     global_buffer
      - .offset:         48
        .size:           4
        .value_kind:     by_value
      - .address_space:  global
        .offset:         56
        .size:           8
        .value_kind:     global_buffer
      - .address_space:  global
        .offset:         64
        .size:           8
        .value_kind:     global_buffer
      - .offset:         72
        .size:           1
        .value_kind:     by_value
      - .offset:         73
        .size:           1
        .value_kind:     by_value
    .group_segment_fixed_size: 0
    .kernarg_segment_align: 8
    .kernarg_segment_size: 76
    .language:       OpenCL C
    .language_version:
      - 2
      - 0
    .max_flat_workgroup_size: 128
    .name:           _ZN7rocprim6detail20lookback_scan_kernelILNS0_25lookback_scan_determinismE0ELb0ENS0_19wrapped_scan_configINS_14default_configEiEEN6hipcub22TransformInputIteratorIiNS6_6CastOpIiEEPilEEPlNS6_3SumEiiNS0_19lookback_scan_stateIiLb1ELb1EEEEEvT2_T3_mT5_T4_T7_jPT6_SM_bb
    .private_segment_fixed_size: 0
    .sgpr_count:     4
    .sgpr_spill_count: 0
    .symbol:         _ZN7rocprim6detail20lookback_scan_kernelILNS0_25lookback_scan_determinismE0ELb0ENS0_19wrapped_scan_configINS_14default_configEiEEN6hipcub22TransformInputIteratorIiNS6_6CastOpIiEEPilEEPlNS6_3SumEiiNS0_19lookback_scan_stateIiLb1ELb1EEEEEvT2_T3_mT5_T4_T7_jPT6_SM_bb.kd
    .uniform_work_group_size: 1
    .uses_dynamic_stack: false
    .vgpr_count:     0
    .vgpr_spill_count: 0
    .wavefront_size: 64
  - .agpr_count:     0
    .args:
      - .offset:         0
        .size:           16
        .value_kind:     by_value
      - .address_space:  global
        .offset:         16
        .size:           8
        .value_kind:     global_buffer
      - .offset:         24
        .size:           8
        .value_kind:     by_value
      - .offset:         32
        .size:           4
        .value_kind:     by_value
      - .offset:         36
        .size:           1
        .value_kind:     by_value
      - .address_space:  global
        .offset:         40
        .size:           8
        .value_kind:     global_buffer
      - .offset:         48
        .size:           4
        .value_kind:     by_value
      - .address_space:  global
        .offset:         56
        .size:           8
        .value_kind:     global_buffer
      - .address_space:  global
        .offset:         64
        .size:           8
        .value_kind:     global_buffer
      - .offset:         72
        .size:           1
        .value_kind:     by_value
      - .offset:         73
        .size:           1
        .value_kind:     by_value
    .group_segment_fixed_size: 5120
    .kernarg_segment_align: 8
    .kernarg_segment_size: 76
    .language:       OpenCL C
    .language_version:
      - 2
      - 0
    .max_flat_workgroup_size: 128
    .name:           _ZN7rocprim6detail20lookback_scan_kernelILNS0_25lookback_scan_determinismE0ELb0ENS0_19wrapped_scan_configINS_14default_configEiEEN6hipcub22TransformInputIteratorIiNS6_6CastOpIiEEPilEEPlNS6_3SumEiiNS0_19lookback_scan_stateIiLb0ELb1EEEEEvT2_T3_mT5_T4_T7_jPT6_SM_bb
    .private_segment_fixed_size: 0
    .sgpr_count:     30
    .sgpr_spill_count: 0
    .symbol:         _ZN7rocprim6detail20lookback_scan_kernelILNS0_25lookback_scan_determinismE0ELb0ENS0_19wrapped_scan_configINS_14default_configEiEEN6hipcub22TransformInputIteratorIiNS6_6CastOpIiEEPilEEPlNS6_3SumEiiNS0_19lookback_scan_stateIiLb0ELb1EEEEEvT2_T3_mT5_T4_T7_jPT6_SM_bb.kd
    .uniform_work_group_size: 1
    .uses_dynamic_stack: false
    .vgpr_count:     40
    .vgpr_spill_count: 0
    .wavefront_size: 64
  - .agpr_count:     0
    .args:
      - .address_space:  global
        .offset:         0
        .size:           8
        .value_kind:     global_buffer
      - .offset:         8
        .size:           8
        .value_kind:     by_value
      - .address_space:  global
        .offset:         16
        .size:           8
        .value_kind:     global_buffer
      - .offset:         24
        .size:           1
        .value_kind:     by_value
      - .offset:         32
        .size:           4
        .value_kind:     hidden_block_count_x
      - .offset:         36
        .size:           4
        .value_kind:     hidden_block_count_y
      - .offset:         40
        .size:           4
        .value_kind:     hidden_block_count_z
      - .offset:         44
        .size:           2
        .value_kind:     hidden_group_size_x
      - .offset:         46
        .size:           2
        .value_kind:     hidden_group_size_y
      - .offset:         48
        .size:           2
        .value_kind:     hidden_group_size_z
      - .offset:         50
        .size:           2
        .value_kind:     hidden_remainder_x
      - .offset:         52
        .size:           2
        .value_kind:     hidden_remainder_y
      - .offset:         54
        .size:           2
        .value_kind:     hidden_remainder_z
      - .offset:         72
        .size:           8
        .value_kind:     hidden_global_offset_x
      - .offset:         80
        .size:           8
        .value_kind:     hidden_global_offset_y
      - .offset:         88
        .size:           8
        .value_kind:     hidden_global_offset_z
      - .offset:         96
        .size:           2
        .value_kind:     hidden_grid_dims
    .group_segment_fixed_size: 0
    .kernarg_segment_align: 8
    .kernarg_segment_size: 288
    .language:       OpenCL C
    .language_version:
      - 2
      - 0
    .max_flat_workgroup_size: 1024
    .name:           _ZN7rocprim6detail16transform_kernelINS0_24wrapped_transform_configINS_14default_configEiEEiPiS5_NS_8identityIiEEEEvT1_mT2_T3_
    .private_segment_fixed_size: 0
    .sgpr_count:     16
    .sgpr_spill_count: 0
    .symbol:         _ZN7rocprim6detail16transform_kernelINS0_24wrapped_transform_configINS_14default_configEiEEiPiS5_NS_8identityIiEEEEvT1_mT2_T3_.kd
    .uniform_work_group_size: 1
    .uses_dynamic_stack: false
    .vgpr_count:     7
    .vgpr_spill_count: 0
    .wavefront_size: 64
  - .agpr_count:     0
    .args:
      - .offset:         0
        .size:           16
        .value_kind:     by_value
      - .offset:         16
        .size:           8
        .value_kind:     by_value
      - .offset:         24
        .size:           4
        .value_kind:     by_value
      - .address_space:  global
        .offset:         32
        .size:           8
        .value_kind:     global_buffer
      - .offset:         40
        .size:           1
        .value_kind:     by_value
    .group_segment_fixed_size: 5120
    .kernarg_segment_align: 8
    .kernarg_segment_size: 44
    .language:       OpenCL C
    .language_version:
      - 2
      - 0
    .max_flat_workgroup_size: 128
    .name:           _ZN7rocprim6detail18single_scan_kernelILb0ENS0_19wrapped_scan_configINS_14default_configEiEEN6hipcub22TransformInputIteratorIiNS5_6CastOpIiEEPilEEPlNS5_3SumEiiEEvT1_mT4_T2_T3_
    .private_segment_fixed_size: 0
    .sgpr_count:     28
    .sgpr_spill_count: 0
    .symbol:         _ZN7rocprim6detail18single_scan_kernelILb0ENS0_19wrapped_scan_configINS_14default_configEiEEN6hipcub22TransformInputIteratorIiNS5_6CastOpIiEEPilEEPlNS5_3SumEiiEEvT1_mT4_T2_T3_.kd
    .uniform_work_group_size: 1
    .uses_dynamic_stack: false
    .vgpr_count:     20
    .vgpr_spill_count: 0
    .wavefront_size: 64
  - .agpr_count:     0
    .args:
      - .address_space:  global
        .offset:         0
        .size:           8
        .value_kind:     global_buffer
      - .offset:         8
        .size:           4
        .value_kind:     by_value
      - .offset:         12
        .size:           4
        .value_kind:     by_value
      - .address_space:  global
        .offset:         16
        .size:           8
        .value_kind:     global_buffer
      - .offset:         24
        .size:           4
        .value_kind:     hidden_block_count_x
      - .offset:         28
        .size:           4
        .value_kind:     hidden_block_count_y
      - .offset:         32
        .size:           4
        .value_kind:     hidden_block_count_z
      - .offset:         36
        .size:           2
        .value_kind:     hidden_group_size_x
      - .offset:         38
        .size:           2
        .value_kind:     hidden_group_size_y
      - .offset:         40
        .size:           2
        .value_kind:     hidden_group_size_z
      - .offset:         42
        .size:           2
        .value_kind:     hidden_remainder_x
      - .offset:         44
        .size:           2
        .value_kind:     hidden_remainder_y
      - .offset:         46
        .size:           2
        .value_kind:     hidden_remainder_z
      - .offset:         64
        .size:           8
        .value_kind:     hidden_global_offset_x
      - .offset:         72
        .size:           8
        .value_kind:     hidden_global_offset_y
      - .offset:         80
        .size:           8
        .value_kind:     hidden_global_offset_z
      - .offset:         88
        .size:           2
        .value_kind:     hidden_grid_dims
    .group_segment_fixed_size: 0
    .kernarg_segment_align: 8
    .kernarg_segment_size: 280
    .language:       OpenCL C
    .language_version:
      - 2
      - 0
    .max_flat_workgroup_size: 256
    .name:           _ZN7rocprim6detail31init_lookback_scan_state_kernelINS0_19lookback_scan_stateI6__halfLb1ELb1EEEEEvT_jjPNS5_10value_typeE
    .private_segment_fixed_size: 0
    .sgpr_count:     16
    .sgpr_spill_count: 0
    .symbol:         _ZN7rocprim6detail31init_lookback_scan_state_kernelINS0_19lookback_scan_stateI6__halfLb1ELb1EEEEEvT_jjPNS5_10value_typeE.kd
    .uniform_work_group_size: 1
    .uses_dynamic_stack: false
    .vgpr_count:     6
    .vgpr_spill_count: 0
    .wavefront_size: 64
  - .agpr_count:     0
    .args:
      - .address_space:  global
        .offset:         0
        .size:           8
        .value_kind:     global_buffer
      - .offset:         8
        .size:           4
        .value_kind:     by_value
      - .offset:         12
        .size:           4
        .value_kind:     by_value
      - .address_space:  global
        .offset:         16
        .size:           8
        .value_kind:     global_buffer
      - .offset:         24
        .size:           4
        .value_kind:     hidden_block_count_x
      - .offset:         28
        .size:           4
        .value_kind:     hidden_block_count_y
      - .offset:         32
        .size:           4
        .value_kind:     hidden_block_count_z
      - .offset:         36
        .size:           2
        .value_kind:     hidden_group_size_x
      - .offset:         38
        .size:           2
        .value_kind:     hidden_group_size_y
      - .offset:         40
        .size:           2
        .value_kind:     hidden_group_size_z
      - .offset:         42
        .size:           2
        .value_kind:     hidden_remainder_x
      - .offset:         44
        .size:           2
        .value_kind:     hidden_remainder_y
      - .offset:         46
        .size:           2
        .value_kind:     hidden_remainder_z
      - .offset:         64
        .size:           8
        .value_kind:     hidden_global_offset_x
      - .offset:         72
        .size:           8
        .value_kind:     hidden_global_offset_y
      - .offset:         80
        .size:           8
        .value_kind:     hidden_global_offset_z
      - .offset:         88
        .size:           2
        .value_kind:     hidden_grid_dims
    .group_segment_fixed_size: 0
    .kernarg_segment_align: 8
    .kernarg_segment_size: 280
    .language:       OpenCL C
    .language_version:
      - 2
      - 0
    .max_flat_workgroup_size: 256
    .name:           _ZN7rocprim6detail31init_lookback_scan_state_kernelINS0_19lookback_scan_stateI6__halfLb0ELb1EEEEEvT_jjPNS5_10value_typeE
    .private_segment_fixed_size: 0
    .sgpr_count:     14
    .sgpr_spill_count: 0
    .symbol:         _ZN7rocprim6detail31init_lookback_scan_state_kernelINS0_19lookback_scan_stateI6__halfLb0ELb1EEEEEvT_jjPNS5_10value_typeE.kd
    .uniform_work_group_size: 1
    .uses_dynamic_stack: false
    .vgpr_count:     6
    .vgpr_spill_count: 0
    .wavefront_size: 64
  - .agpr_count:     0
    .args:
      - .address_space:  global
        .offset:         0
        .size:           8
        .value_kind:     global_buffer
      - .address_space:  global
        .offset:         8
        .size:           8
        .value_kind:     global_buffer
      - .offset:         16
        .size:           8
        .value_kind:     by_value
      - .offset:         24
        .size:           2
        .value_kind:     by_value
      - .offset:         26
        .size:           1
        .value_kind:     by_value
      - .address_space:  global
        .offset:         32
        .size:           8
        .value_kind:     global_buffer
      - .offset:         40
        .size:           4
        .value_kind:     by_value
      - .address_space:  global
        .offset:         48
        .size:           8
        .value_kind:     global_buffer
      - .address_space:  global
        .offset:         56
        .size:           8
        .value_kind:     global_buffer
      - .offset:         64
        .size:           1
        .value_kind:     by_value
      - .offset:         65
        .size:           1
        .value_kind:     by_value
    .group_segment_fixed_size: 0
    .kernarg_segment_align: 8
    .kernarg_segment_size: 68
    .language:       OpenCL C
    .language_version:
      - 2
      - 0
    .max_flat_workgroup_size: 64
    .name:           _ZN7rocprim6detail20lookback_scan_kernelILNS0_25lookback_scan_determinismE0ELb0ENS0_19wrapped_scan_configINS_14default_configE6__halfEEPS5_S7_N6hipcub3MaxES5_S5_NS0_19lookback_scan_stateIS5_Lb1ELb1EEEEEvT2_T3_mT5_T4_T7_jPT6_SI_bb
    .private_segment_fixed_size: 0
    .sgpr_count:     4
    .sgpr_spill_count: 0
    .symbol:         _ZN7rocprim6detail20lookback_scan_kernelILNS0_25lookback_scan_determinismE0ELb0ENS0_19wrapped_scan_configINS_14default_configE6__halfEEPS5_S7_N6hipcub3MaxES5_S5_NS0_19lookback_scan_stateIS5_Lb1ELb1EEEEEvT2_T3_mT5_T4_T7_jPT6_SI_bb.kd
    .uniform_work_group_size: 1
    .uses_dynamic_stack: false
    .vgpr_count:     0
    .vgpr_spill_count: 0
    .wavefront_size: 64
  - .agpr_count:     0
    .args:
      - .address_space:  global
        .offset:         0
        .size:           8
        .value_kind:     global_buffer
      - .address_space:  global
        .offset:         8
        .size:           8
        .value_kind:     global_buffer
      - .offset:         16
        .size:           8
        .value_kind:     by_value
      - .offset:         24
        .size:           2
        .value_kind:     by_value
      - .offset:         26
        .size:           1
        .value_kind:     by_value
      - .address_space:  global
        .offset:         32
        .size:           8
        .value_kind:     global_buffer
      - .offset:         40
        .size:           4
        .value_kind:     by_value
      - .address_space:  global
        .offset:         48
        .size:           8
        .value_kind:     global_buffer
      - .address_space:  global
        .offset:         56
        .size:           8
        .value_kind:     global_buffer
      - .offset:         64
        .size:           1
        .value_kind:     by_value
      - .offset:         65
        .size:           1
        .value_kind:     by_value
    .group_segment_fixed_size: 3072
    .kernarg_segment_align: 8
    .kernarg_segment_size: 68
    .language:       OpenCL C
    .language_version:
      - 2
      - 0
    .max_flat_workgroup_size: 64
    .name:           _ZN7rocprim6detail20lookback_scan_kernelILNS0_25lookback_scan_determinismE0ELb0ENS0_19wrapped_scan_configINS_14default_configE6__halfEEPS5_S7_N6hipcub3MaxES5_S5_NS0_19lookback_scan_stateIS5_Lb0ELb1EEEEEvT2_T3_mT5_T4_T7_jPT6_SI_bb
    .private_segment_fixed_size: 0
    .sgpr_count:     33
    .sgpr_spill_count: 0
    .symbol:         _ZN7rocprim6detail20lookback_scan_kernelILNS0_25lookback_scan_determinismE0ELb0ENS0_19wrapped_scan_configINS_14default_configE6__halfEEPS5_S7_N6hipcub3MaxES5_S5_NS0_19lookback_scan_stateIS5_Lb0ELb1EEEEEvT2_T3_mT5_T4_T7_jPT6_SI_bb.kd
    .uniform_work_group_size: 1
    .uses_dynamic_stack: false
    .vgpr_count:     56
    .vgpr_spill_count: 0
    .wavefront_size: 64
  - .agpr_count:     0
    .args:
      - .address_space:  global
        .offset:         0
        .size:           8
        .value_kind:     global_buffer
      - .offset:         8
        .size:           8
        .value_kind:     by_value
      - .address_space:  global
        .offset:         16
        .size:           8
        .value_kind:     global_buffer
      - .offset:         24
        .size:           1
        .value_kind:     by_value
      - .offset:         32
        .size:           4
        .value_kind:     hidden_block_count_x
      - .offset:         36
        .size:           4
        .value_kind:     hidden_block_count_y
      - .offset:         40
        .size:           4
        .value_kind:     hidden_block_count_z
      - .offset:         44
        .size:           2
        .value_kind:     hidden_group_size_x
      - .offset:         46
        .size:           2
        .value_kind:     hidden_group_size_y
      - .offset:         48
        .size:           2
        .value_kind:     hidden_group_size_z
      - .offset:         50
        .size:           2
        .value_kind:     hidden_remainder_x
      - .offset:         52
        .size:           2
        .value_kind:     hidden_remainder_y
      - .offset:         54
        .size:           2
        .value_kind:     hidden_remainder_z
      - .offset:         72
        .size:           8
        .value_kind:     hidden_global_offset_x
      - .offset:         80
        .size:           8
        .value_kind:     hidden_global_offset_y
      - .offset:         88
        .size:           8
        .value_kind:     hidden_global_offset_z
      - .offset:         96
        .size:           2
        .value_kind:     hidden_grid_dims
    .group_segment_fixed_size: 0
    .kernarg_segment_align: 8
    .kernarg_segment_size: 288
    .language:       OpenCL C
    .language_version:
      - 2
      - 0
    .max_flat_workgroup_size: 64
    .name:           _ZN7rocprim6detail16transform_kernelINS0_24wrapped_transform_configINS_14default_configE6__halfEES4_PS4_S6_NS_8identityIS4_EEEEvT1_mT2_T3_
    .private_segment_fixed_size: 0
    .sgpr_count:     24
    .sgpr_spill_count: 0
    .symbol:         _ZN7rocprim6detail16transform_kernelINS0_24wrapped_transform_configINS_14default_configE6__halfEES4_PS4_S6_NS_8identityIS4_EEEEvT1_mT2_T3_.kd
    .uniform_work_group_size: 1
    .uses_dynamic_stack: false
    .vgpr_count:     13
    .vgpr_spill_count: 0
    .wavefront_size: 64
  - .agpr_count:     0
    .args:
      - .address_space:  global
        .offset:         0
        .size:           8
        .value_kind:     global_buffer
      - .offset:         8
        .size:           8
        .value_kind:     by_value
      - .offset:         16
        .size:           2
        .value_kind:     by_value
      - .address_space:  global
        .offset:         24
        .size:           8
        .value_kind:     global_buffer
      - .offset:         32
        .size:           1
        .value_kind:     by_value
    .group_segment_fixed_size: 3072
    .kernarg_segment_align: 8
    .kernarg_segment_size: 36
    .language:       OpenCL C
    .language_version:
      - 2
      - 0
    .max_flat_workgroup_size: 64
    .name:           _ZN7rocprim6detail18single_scan_kernelILb0ENS0_19wrapped_scan_configINS_14default_configE6__halfEEPS4_S6_N6hipcub3MaxES4_S4_EEvT1_mT4_T2_T3_
    .private_segment_fixed_size: 0
    .sgpr_count:     58
    .sgpr_spill_count: 0
    .symbol:         _ZN7rocprim6detail18single_scan_kernelILb0ENS0_19wrapped_scan_configINS_14default_configE6__halfEEPS4_S6_N6hipcub3MaxES4_S4_EEvT1_mT4_T2_T3_.kd
    .uniform_work_group_size: 1
    .uses_dynamic_stack: false
    .vgpr_count:     31
    .vgpr_spill_count: 0
    .wavefront_size: 64
  - .agpr_count:     0
    .args:
      - .address_space:  global
        .offset:         0
        .size:           8
        .value_kind:     global_buffer
      - .offset:         8
        .size:           4
        .value_kind:     by_value
      - .offset:         12
        .size:           4
        .value_kind:     by_value
      - .address_space:  global
        .offset:         16
        .size:           8
        .value_kind:     global_buffer
      - .offset:         24
        .size:           4
        .value_kind:     hidden_block_count_x
      - .offset:         28
        .size:           4
        .value_kind:     hidden_block_count_y
      - .offset:         32
        .size:           4
        .value_kind:     hidden_block_count_z
      - .offset:         36
        .size:           2
        .value_kind:     hidden_group_size_x
      - .offset:         38
        .size:           2
        .value_kind:     hidden_group_size_y
      - .offset:         40
        .size:           2
        .value_kind:     hidden_group_size_z
      - .offset:         42
        .size:           2
        .value_kind:     hidden_remainder_x
      - .offset:         44
        .size:           2
        .value_kind:     hidden_remainder_y
      - .offset:         46
        .size:           2
        .value_kind:     hidden_remainder_z
      - .offset:         64
        .size:           8
        .value_kind:     hidden_global_offset_x
      - .offset:         72
        .size:           8
        .value_kind:     hidden_global_offset_y
      - .offset:         80
        .size:           8
        .value_kind:     hidden_global_offset_z
      - .offset:         88
        .size:           2
        .value_kind:     hidden_grid_dims
    .group_segment_fixed_size: 0
    .kernarg_segment_align: 8
    .kernarg_segment_size: 280
    .language:       OpenCL C
    .language_version:
      - 2
      - 0
    .max_flat_workgroup_size: 256
    .name:           _ZN7rocprim6detail31init_lookback_scan_state_kernelINS0_19lookback_scan_stateI12hip_bfloat16Lb1ELb1EEEEEvT_jjPNS5_10value_typeE
    .private_segment_fixed_size: 0
    .sgpr_count:     16
    .sgpr_spill_count: 0
    .symbol:         _ZN7rocprim6detail31init_lookback_scan_state_kernelINS0_19lookback_scan_stateI12hip_bfloat16Lb1ELb1EEEEEvT_jjPNS5_10value_typeE.kd
    .uniform_work_group_size: 1
    .uses_dynamic_stack: false
    .vgpr_count:     6
    .vgpr_spill_count: 0
    .wavefront_size: 64
  - .agpr_count:     0
    .args:
      - .address_space:  global
        .offset:         0
        .size:           8
        .value_kind:     global_buffer
      - .offset:         8
        .size:           4
        .value_kind:     by_value
      - .offset:         12
        .size:           4
        .value_kind:     by_value
      - .address_space:  global
        .offset:         16
        .size:           8
        .value_kind:     global_buffer
      - .offset:         24
        .size:           4
        .value_kind:     hidden_block_count_x
      - .offset:         28
        .size:           4
        .value_kind:     hidden_block_count_y
      - .offset:         32
        .size:           4
        .value_kind:     hidden_block_count_z
      - .offset:         36
        .size:           2
        .value_kind:     hidden_group_size_x
      - .offset:         38
        .size:           2
        .value_kind:     hidden_group_size_y
      - .offset:         40
        .size:           2
        .value_kind:     hidden_group_size_z
      - .offset:         42
        .size:           2
        .value_kind:     hidden_remainder_x
      - .offset:         44
        .size:           2
        .value_kind:     hidden_remainder_y
      - .offset:         46
        .size:           2
        .value_kind:     hidden_remainder_z
      - .offset:         64
        .size:           8
        .value_kind:     hidden_global_offset_x
      - .offset:         72
        .size:           8
        .value_kind:     hidden_global_offset_y
      - .offset:         80
        .size:           8
        .value_kind:     hidden_global_offset_z
      - .offset:         88
        .size:           2
        .value_kind:     hidden_grid_dims
    .group_segment_fixed_size: 0
    .kernarg_segment_align: 8
    .kernarg_segment_size: 280
    .language:       OpenCL C
    .language_version:
      - 2
      - 0
    .max_flat_workgroup_size: 256
    .name:           _ZN7rocprim6detail31init_lookback_scan_state_kernelINS0_19lookback_scan_stateI12hip_bfloat16Lb0ELb1EEEEEvT_jjPNS5_10value_typeE
    .private_segment_fixed_size: 0
    .sgpr_count:     14
    .sgpr_spill_count: 0
    .symbol:         _ZN7rocprim6detail31init_lookback_scan_state_kernelINS0_19lookback_scan_stateI12hip_bfloat16Lb0ELb1EEEEEvT_jjPNS5_10value_typeE.kd
    .uniform_work_group_size: 1
    .uses_dynamic_stack: false
    .vgpr_count:     6
    .vgpr_spill_count: 0
    .wavefront_size: 64
  - .agpr_count:     0
    .args:
      - .address_space:  global
        .offset:         0
        .size:           8
        .value_kind:     global_buffer
      - .address_space:  global
        .offset:         8
        .size:           8
        .value_kind:     global_buffer
      - .offset:         16
        .size:           8
        .value_kind:     by_value
      - .offset:         24
        .size:           2
        .value_kind:     by_value
      - .offset:         26
        .size:           1
        .value_kind:     by_value
      - .address_space:  global
        .offset:         32
        .size:           8
        .value_kind:     global_buffer
      - .offset:         40
        .size:           4
        .value_kind:     by_value
      - .address_space:  global
        .offset:         48
        .size:           8
        .value_kind:     global_buffer
      - .address_space:  global
        .offset:         56
        .size:           8
        .value_kind:     global_buffer
      - .offset:         64
        .size:           1
        .value_kind:     by_value
      - .offset:         65
        .size:           1
        .value_kind:     by_value
    .group_segment_fixed_size: 0
    .kernarg_segment_align: 8
    .kernarg_segment_size: 68
    .language:       OpenCL C
    .language_version:
      - 2
      - 0
    .max_flat_workgroup_size: 64
    .name:           _ZN7rocprim6detail20lookback_scan_kernelILNS0_25lookback_scan_determinismE0ELb0ENS0_19wrapped_scan_configINS_14default_configE12hip_bfloat16EEPS5_S7_N6hipcub3MaxES5_S5_NS0_19lookback_scan_stateIS5_Lb1ELb1EEEEEvT2_T3_mT5_T4_T7_jPT6_SI_bb
    .private_segment_fixed_size: 0
    .sgpr_count:     4
    .sgpr_spill_count: 0
    .symbol:         _ZN7rocprim6detail20lookback_scan_kernelILNS0_25lookback_scan_determinismE0ELb0ENS0_19wrapped_scan_configINS_14default_configE12hip_bfloat16EEPS5_S7_N6hipcub3MaxES5_S5_NS0_19lookback_scan_stateIS5_Lb1ELb1EEEEEvT2_T3_mT5_T4_T7_jPT6_SI_bb.kd
    .uniform_work_group_size: 1
    .uses_dynamic_stack: false
    .vgpr_count:     0
    .vgpr_spill_count: 0
    .wavefront_size: 64
  - .agpr_count:     0
    .args:
      - .address_space:  global
        .offset:         0
        .size:           8
        .value_kind:     global_buffer
      - .address_space:  global
        .offset:         8
        .size:           8
        .value_kind:     global_buffer
      - .offset:         16
        .size:           8
        .value_kind:     by_value
      - .offset:         24
        .size:           2
        .value_kind:     by_value
      - .offset:         26
        .size:           1
        .value_kind:     by_value
      - .address_space:  global
        .offset:         32
        .size:           8
        .value_kind:     global_buffer
      - .offset:         40
        .size:           4
        .value_kind:     by_value
      - .address_space:  global
        .offset:         48
        .size:           8
        .value_kind:     global_buffer
      - .address_space:  global
        .offset:         56
        .size:           8
        .value_kind:     global_buffer
      - .offset:         64
        .size:           1
        .value_kind:     by_value
      - .offset:         65
        .size:           1
        .value_kind:     by_value
    .group_segment_fixed_size: 3072
    .kernarg_segment_align: 8
    .kernarg_segment_size: 68
    .language:       OpenCL C
    .language_version:
      - 2
      - 0
    .max_flat_workgroup_size: 64
    .name:           _ZN7rocprim6detail20lookback_scan_kernelILNS0_25lookback_scan_determinismE0ELb0ENS0_19wrapped_scan_configINS_14default_configE12hip_bfloat16EEPS5_S7_N6hipcub3MaxES5_S5_NS0_19lookback_scan_stateIS5_Lb0ELb1EEEEEvT2_T3_mT5_T4_T7_jPT6_SI_bb
    .private_segment_fixed_size: 0
    .sgpr_count:     34
    .sgpr_spill_count: 0
    .symbol:         _ZN7rocprim6detail20lookback_scan_kernelILNS0_25lookback_scan_determinismE0ELb0ENS0_19wrapped_scan_configINS_14default_configE12hip_bfloat16EEPS5_S7_N6hipcub3MaxES5_S5_NS0_19lookback_scan_stateIS5_Lb0ELb1EEEEEvT2_T3_mT5_T4_T7_jPT6_SI_bb.kd
    .uniform_work_group_size: 1
    .uses_dynamic_stack: false
    .vgpr_count:     81
    .vgpr_spill_count: 0
    .wavefront_size: 64
  - .agpr_count:     0
    .args:
      - .address_space:  global
        .offset:         0
        .size:           8
        .value_kind:     global_buffer
      - .offset:         8
        .size:           8
        .value_kind:     by_value
      - .address_space:  global
        .offset:         16
        .size:           8
        .value_kind:     global_buffer
      - .offset:         24
        .size:           1
        .value_kind:     by_value
      - .offset:         32
        .size:           4
        .value_kind:     hidden_block_count_x
      - .offset:         36
        .size:           4
        .value_kind:     hidden_block_count_y
      - .offset:         40
        .size:           4
        .value_kind:     hidden_block_count_z
      - .offset:         44
        .size:           2
        .value_kind:     hidden_group_size_x
      - .offset:         46
        .size:           2
        .value_kind:     hidden_group_size_y
      - .offset:         48
        .size:           2
        .value_kind:     hidden_group_size_z
      - .offset:         50
        .size:           2
        .value_kind:     hidden_remainder_x
      - .offset:         52
        .size:           2
        .value_kind:     hidden_remainder_y
      - .offset:         54
        .size:           2
        .value_kind:     hidden_remainder_z
      - .offset:         72
        .size:           8
        .value_kind:     hidden_global_offset_x
      - .offset:         80
        .size:           8
        .value_kind:     hidden_global_offset_y
      - .offset:         88
        .size:           8
        .value_kind:     hidden_global_offset_z
      - .offset:         96
        .size:           2
        .value_kind:     hidden_grid_dims
    .group_segment_fixed_size: 0
    .kernarg_segment_align: 8
    .kernarg_segment_size: 288
    .language:       OpenCL C
    .language_version:
      - 2
      - 0
    .max_flat_workgroup_size: 64
    .name:           _ZN7rocprim6detail16transform_kernelINS0_24wrapped_transform_configINS_14default_configE12hip_bfloat16EES4_PS4_S6_NS_8identityIS4_EEEEvT1_mT2_T3_
    .private_segment_fixed_size: 0
    .sgpr_count:     24
    .sgpr_spill_count: 0
    .symbol:         _ZN7rocprim6detail16transform_kernelINS0_24wrapped_transform_configINS_14default_configE12hip_bfloat16EES4_PS4_S6_NS_8identityIS4_EEEEvT1_mT2_T3_.kd
    .uniform_work_group_size: 1
    .uses_dynamic_stack: false
    .vgpr_count:     13
    .vgpr_spill_count: 0
    .wavefront_size: 64
  - .agpr_count:     0
    .args:
      - .address_space:  global
        .offset:         0
        .size:           8
        .value_kind:     global_buffer
      - .offset:         8
        .size:           8
        .value_kind:     by_value
      - .offset:         16
        .size:           2
        .value_kind:     by_value
      - .address_space:  global
        .offset:         24
        .size:           8
        .value_kind:     global_buffer
      - .offset:         32
        .size:           1
        .value_kind:     by_value
    .group_segment_fixed_size: 3072
    .kernarg_segment_align: 8
    .kernarg_segment_size: 36
    .language:       OpenCL C
    .language_version:
      - 2
      - 0
    .max_flat_workgroup_size: 64
    .name:           _ZN7rocprim6detail18single_scan_kernelILb0ENS0_19wrapped_scan_configINS_14default_configE12hip_bfloat16EEPS4_S6_N6hipcub3MaxES4_S4_EEvT1_mT4_T2_T3_
    .private_segment_fixed_size: 0
    .sgpr_count:     58
    .sgpr_spill_count: 0
    .symbol:         _ZN7rocprim6detail18single_scan_kernelILb0ENS0_19wrapped_scan_configINS_14default_configE12hip_bfloat16EEPS4_S6_N6hipcub3MaxES4_S4_EEvT1_mT4_T2_T3_.kd
    .uniform_work_group_size: 1
    .uses_dynamic_stack: false
    .vgpr_count:     58
    .vgpr_spill_count: 0
    .wavefront_size: 64
  - .agpr_count:     0
    .args:
      - .offset:         0
        .size:           16
        .value_kind:     by_value
      - .address_space:  global
        .offset:         16
        .size:           8
        .value_kind:     global_buffer
      - .offset:         24
        .size:           8
        .value_kind:     by_value
      - .offset:         32
        .size:           4
        .value_kind:     by_value
      - .offset:         36
        .size:           1
        .value_kind:     by_value
      - .address_space:  global
        .offset:         40
        .size:           8
        .value_kind:     global_buffer
      - .offset:         48
        .size:           4
        .value_kind:     by_value
      - .address_space:  global
        .offset:         56
        .size:           8
        .value_kind:     global_buffer
      - .address_space:  global
        .offset:         64
        .size:           8
        .value_kind:     global_buffer
      - .offset:         72
        .size:           1
        .value_kind:     by_value
      - .offset:         73
        .size:           1
        .value_kind:     by_value
    .group_segment_fixed_size: 0
    .kernarg_segment_align: 8
    .kernarg_segment_size: 76
    .language:       OpenCL C
    .language_version:
      - 2
      - 0
    .max_flat_workgroup_size: 128
    .name:           _ZN7rocprim6detail20lookback_scan_kernelILNS0_25lookback_scan_determinismE0ELb0ENS0_19wrapped_scan_configINS_14default_configEiEEN6hipcub22TransformInputIteratorIiNS6_6CastOpIiEEPilEEPdNS6_3SumEiiNS0_19lookback_scan_stateIiLb1ELb1EEEEEvT2_T3_mT5_T4_T7_jPT6_SM_bb
    .private_segment_fixed_size: 0
    .sgpr_count:     4
    .sgpr_spill_count: 0
    .symbol:         _ZN7rocprim6detail20lookback_scan_kernelILNS0_25lookback_scan_determinismE0ELb0ENS0_19wrapped_scan_configINS_14default_configEiEEN6hipcub22TransformInputIteratorIiNS6_6CastOpIiEEPilEEPdNS6_3SumEiiNS0_19lookback_scan_stateIiLb1ELb1EEEEEvT2_T3_mT5_T4_T7_jPT6_SM_bb.kd
    .uniform_work_group_size: 1
    .uses_dynamic_stack: false
    .vgpr_count:     0
    .vgpr_spill_count: 0
    .wavefront_size: 64
  - .agpr_count:     0
    .args:
      - .offset:         0
        .size:           16
        .value_kind:     by_value
      - .address_space:  global
        .offset:         16
        .size:           8
        .value_kind:     global_buffer
      - .offset:         24
        .size:           8
        .value_kind:     by_value
      - .offset:         32
        .size:           4
        .value_kind:     by_value
      - .offset:         36
        .size:           1
        .value_kind:     by_value
      - .address_space:  global
        .offset:         40
        .size:           8
        .value_kind:     global_buffer
      - .offset:         48
        .size:           4
        .value_kind:     by_value
      - .address_space:  global
        .offset:         56
        .size:           8
        .value_kind:     global_buffer
      - .address_space:  global
        .offset:         64
        .size:           8
        .value_kind:     global_buffer
      - .offset:         72
        .size:           1
        .value_kind:     by_value
      - .offset:         73
        .size:           1
        .value_kind:     by_value
    .group_segment_fixed_size: 5120
    .kernarg_segment_align: 8
    .kernarg_segment_size: 76
    .language:       OpenCL C
    .language_version:
      - 2
      - 0
    .max_flat_workgroup_size: 128
    .name:           _ZN7rocprim6detail20lookback_scan_kernelILNS0_25lookback_scan_determinismE0ELb0ENS0_19wrapped_scan_configINS_14default_configEiEEN6hipcub22TransformInputIteratorIiNS6_6CastOpIiEEPilEEPdNS6_3SumEiiNS0_19lookback_scan_stateIiLb0ELb1EEEEEvT2_T3_mT5_T4_T7_jPT6_SM_bb
    .private_segment_fixed_size: 0
    .sgpr_count:     30
    .sgpr_spill_count: 0
    .symbol:         _ZN7rocprim6detail20lookback_scan_kernelILNS0_25lookback_scan_determinismE0ELb0ENS0_19wrapped_scan_configINS_14default_configEiEEN6hipcub22TransformInputIteratorIiNS6_6CastOpIiEEPilEEPdNS6_3SumEiiNS0_19lookback_scan_stateIiLb0ELb1EEEEEvT2_T3_mT5_T4_T7_jPT6_SM_bb.kd
    .uniform_work_group_size: 1
    .uses_dynamic_stack: false
    .vgpr_count:     40
    .vgpr_spill_count: 0
    .wavefront_size: 64
  - .agpr_count:     0
    .args:
      - .offset:         0
        .size:           16
        .value_kind:     by_value
      - .offset:         16
        .size:           8
        .value_kind:     by_value
      - .offset:         24
        .size:           4
        .value_kind:     by_value
      - .address_space:  global
        .offset:         32
        .size:           8
        .value_kind:     global_buffer
      - .offset:         40
        .size:           1
        .value_kind:     by_value
    .group_segment_fixed_size: 5120
    .kernarg_segment_align: 8
    .kernarg_segment_size: 44
    .language:       OpenCL C
    .language_version:
      - 2
      - 0
    .max_flat_workgroup_size: 128
    .name:           _ZN7rocprim6detail18single_scan_kernelILb0ENS0_19wrapped_scan_configINS_14default_configEiEEN6hipcub22TransformInputIteratorIiNS5_6CastOpIiEEPilEEPdNS5_3SumEiiEEvT1_mT4_T2_T3_
    .private_segment_fixed_size: 0
    .sgpr_count:     28
    .sgpr_spill_count: 0
    .symbol:         _ZN7rocprim6detail18single_scan_kernelILb0ENS0_19wrapped_scan_configINS_14default_configEiEEN6hipcub22TransformInputIteratorIiNS5_6CastOpIiEEPilEEPdNS5_3SumEiiEEvT1_mT4_T2_T3_.kd
    .uniform_work_group_size: 1
    .uses_dynamic_stack: false
    .vgpr_count:     20
    .vgpr_spill_count: 0
    .wavefront_size: 64
  - .agpr_count:     0
    .args:
      - .address_space:  global
        .offset:         0
        .size:           8
        .value_kind:     global_buffer
      - .offset:         8
        .size:           4
        .value_kind:     by_value
      - .offset:         12
        .size:           4
        .value_kind:     by_value
      - .address_space:  global
        .offset:         16
        .size:           8
        .value_kind:     global_buffer
      - .offset:         24
        .size:           4
        .value_kind:     hidden_block_count_x
      - .offset:         28
        .size:           4
        .value_kind:     hidden_block_count_y
      - .offset:         32
        .size:           4
        .value_kind:     hidden_block_count_z
      - .offset:         36
        .size:           2
        .value_kind:     hidden_group_size_x
      - .offset:         38
        .size:           2
        .value_kind:     hidden_group_size_y
      - .offset:         40
        .size:           2
        .value_kind:     hidden_group_size_z
      - .offset:         42
        .size:           2
        .value_kind:     hidden_remainder_x
      - .offset:         44
        .size:           2
        .value_kind:     hidden_remainder_y
      - .offset:         46
        .size:           2
        .value_kind:     hidden_remainder_z
      - .offset:         64
        .size:           8
        .value_kind:     hidden_global_offset_x
      - .offset:         72
        .size:           8
        .value_kind:     hidden_global_offset_y
      - .offset:         80
        .size:           8
        .value_kind:     hidden_global_offset_z
      - .offset:         88
        .size:           2
        .value_kind:     hidden_grid_dims
    .group_segment_fixed_size: 0
    .kernarg_segment_align: 8
    .kernarg_segment_size: 280
    .language:       OpenCL C
    .language_version:
      - 2
      - 0
    .max_flat_workgroup_size: 256
    .name:           _ZN7rocprim6detail31init_lookback_scan_state_kernelINS0_19lookback_scan_stateIsLb1ELb1EEEEEvT_jjPNS4_10value_typeE
    .private_segment_fixed_size: 0
    .sgpr_count:     16
    .sgpr_spill_count: 0
    .symbol:         _ZN7rocprim6detail31init_lookback_scan_state_kernelINS0_19lookback_scan_stateIsLb1ELb1EEEEEvT_jjPNS4_10value_typeE.kd
    .uniform_work_group_size: 1
    .uses_dynamic_stack: false
    .vgpr_count:     6
    .vgpr_spill_count: 0
    .wavefront_size: 64
  - .agpr_count:     0
    .args:
      - .address_space:  global
        .offset:         0
        .size:           8
        .value_kind:     global_buffer
      - .offset:         8
        .size:           4
        .value_kind:     by_value
      - .offset:         12
        .size:           4
        .value_kind:     by_value
      - .address_space:  global
        .offset:         16
        .size:           8
        .value_kind:     global_buffer
      - .offset:         24
        .size:           4
        .value_kind:     hidden_block_count_x
      - .offset:         28
        .size:           4
        .value_kind:     hidden_block_count_y
      - .offset:         32
        .size:           4
        .value_kind:     hidden_block_count_z
      - .offset:         36
        .size:           2
        .value_kind:     hidden_group_size_x
      - .offset:         38
        .size:           2
        .value_kind:     hidden_group_size_y
      - .offset:         40
        .size:           2
        .value_kind:     hidden_group_size_z
      - .offset:         42
        .size:           2
        .value_kind:     hidden_remainder_x
      - .offset:         44
        .size:           2
        .value_kind:     hidden_remainder_y
      - .offset:         46
        .size:           2
        .value_kind:     hidden_remainder_z
      - .offset:         64
        .size:           8
        .value_kind:     hidden_global_offset_x
      - .offset:         72
        .size:           8
        .value_kind:     hidden_global_offset_y
      - .offset:         80
        .size:           8
        .value_kind:     hidden_global_offset_z
      - .offset:         88
        .size:           2
        .value_kind:     hidden_grid_dims
    .group_segment_fixed_size: 0
    .kernarg_segment_align: 8
    .kernarg_segment_size: 280
    .language:       OpenCL C
    .language_version:
      - 2
      - 0
    .max_flat_workgroup_size: 256
    .name:           _ZN7rocprim6detail31init_lookback_scan_state_kernelINS0_19lookback_scan_stateIsLb0ELb1EEEEEvT_jjPNS4_10value_typeE
    .private_segment_fixed_size: 0
    .sgpr_count:     14
    .sgpr_spill_count: 0
    .symbol:         _ZN7rocprim6detail31init_lookback_scan_state_kernelINS0_19lookback_scan_stateIsLb0ELb1EEEEEvT_jjPNS4_10value_typeE.kd
    .uniform_work_group_size: 1
    .uses_dynamic_stack: false
    .vgpr_count:     6
    .vgpr_spill_count: 0
    .wavefront_size: 64
  - .agpr_count:     0
    .args:
      - .offset:         0
        .size:           16
        .value_kind:     by_value
      - .address_space:  global
        .offset:         16
        .size:           8
        .value_kind:     global_buffer
      - .offset:         24
        .size:           8
        .value_kind:     by_value
      - .offset:         32
        .size:           2
        .value_kind:     by_value
      - .offset:         34
        .size:           1
        .value_kind:     by_value
      - .address_space:  global
        .offset:         40
        .size:           8
        .value_kind:     global_buffer
      - .offset:         48
        .size:           4
        .value_kind:     by_value
      - .address_space:  global
        .offset:         56
        .size:           8
        .value_kind:     global_buffer
      - .address_space:  global
        .offset:         64
        .size:           8
        .value_kind:     global_buffer
      - .offset:         72
        .size:           1
        .value_kind:     by_value
      - .offset:         73
        .size:           1
        .value_kind:     by_value
    .group_segment_fixed_size: 0
    .kernarg_segment_align: 8
    .kernarg_segment_size: 76
    .language:       OpenCL C
    .language_version:
      - 2
      - 0
    .max_flat_workgroup_size: 256
    .name:           _ZN7rocprim6detail20lookback_scan_kernelILNS0_25lookback_scan_determinismE0ELb0ENS0_19wrapped_scan_configINS_14default_configEsEEN6hipcub22TransformInputIteratorIsNS6_6CastOpIsEEPslEEPfNS6_3MaxEssNS0_19lookback_scan_stateIsLb1ELb1EEEEEvT2_T3_mT5_T4_T7_jPT6_SM_bb
    .private_segment_fixed_size: 0
    .sgpr_count:     4
    .sgpr_spill_count: 0
    .symbol:         _ZN7rocprim6detail20lookback_scan_kernelILNS0_25lookback_scan_determinismE0ELb0ENS0_19wrapped_scan_configINS_14default_configEsEEN6hipcub22TransformInputIteratorIsNS6_6CastOpIsEEPslEEPfNS6_3MaxEssNS0_19lookback_scan_stateIsLb1ELb1EEEEEvT2_T3_mT5_T4_T7_jPT6_SM_bb.kd
    .uniform_work_group_size: 1
    .uses_dynamic_stack: false
    .vgpr_count:     0
    .vgpr_spill_count: 0
    .wavefront_size: 64
  - .agpr_count:     0
    .args:
      - .offset:         0
        .size:           16
        .value_kind:     by_value
      - .address_space:  global
        .offset:         16
        .size:           8
        .value_kind:     global_buffer
      - .offset:         24
        .size:           8
        .value_kind:     by_value
      - .offset:         32
        .size:           2
        .value_kind:     by_value
      - .offset:         34
        .size:           1
        .value_kind:     by_value
      - .address_space:  global
        .offset:         40
        .size:           8
        .value_kind:     global_buffer
      - .offset:         48
        .size:           4
        .value_kind:     by_value
      - .address_space:  global
        .offset:         56
        .size:           8
        .value_kind:     global_buffer
      - .address_space:  global
        .offset:         64
        .size:           8
        .value_kind:     global_buffer
      - .offset:         72
        .size:           1
        .value_kind:     by_value
      - .offset:         73
        .size:           1
        .value_kind:     by_value
    .group_segment_fixed_size: 5120
    .kernarg_segment_align: 8
    .kernarg_segment_size: 76
    .language:       OpenCL C
    .language_version:
      - 2
      - 0
    .max_flat_workgroup_size: 256
    .name:           _ZN7rocprim6detail20lookback_scan_kernelILNS0_25lookback_scan_determinismE0ELb0ENS0_19wrapped_scan_configINS_14default_configEsEEN6hipcub22TransformInputIteratorIsNS6_6CastOpIsEEPslEEPfNS6_3MaxEssNS0_19lookback_scan_stateIsLb0ELb1EEEEEvT2_T3_mT5_T4_T7_jPT6_SM_bb
    .private_segment_fixed_size: 0
    .sgpr_count:     30
    .sgpr_spill_count: 0
    .symbol:         _ZN7rocprim6detail20lookback_scan_kernelILNS0_25lookback_scan_determinismE0ELb0ENS0_19wrapped_scan_configINS_14default_configEsEEN6hipcub22TransformInputIteratorIsNS6_6CastOpIsEEPslEEPfNS6_3MaxEssNS0_19lookback_scan_stateIsLb0ELb1EEEEEvT2_T3_mT5_T4_T7_jPT6_SM_bb.kd
    .uniform_work_group_size: 1
    .uses_dynamic_stack: false
    .vgpr_count:     40
    .vgpr_spill_count: 0
    .wavefront_size: 64
  - .agpr_count:     0
    .args:
      - .address_space:  global
        .offset:         0
        .size:           8
        .value_kind:     global_buffer
      - .offset:         8
        .size:           8
        .value_kind:     by_value
      - .address_space:  global
        .offset:         16
        .size:           8
        .value_kind:     global_buffer
      - .offset:         24
        .size:           1
        .value_kind:     by_value
      - .offset:         32
        .size:           4
        .value_kind:     hidden_block_count_x
      - .offset:         36
        .size:           4
        .value_kind:     hidden_block_count_y
      - .offset:         40
        .size:           4
        .value_kind:     hidden_block_count_z
      - .offset:         44
        .size:           2
        .value_kind:     hidden_group_size_x
      - .offset:         46
        .size:           2
        .value_kind:     hidden_group_size_y
      - .offset:         48
        .size:           2
        .value_kind:     hidden_group_size_z
      - .offset:         50
        .size:           2
        .value_kind:     hidden_remainder_x
      - .offset:         52
        .size:           2
        .value_kind:     hidden_remainder_y
      - .offset:         54
        .size:           2
        .value_kind:     hidden_remainder_z
      - .offset:         72
        .size:           8
        .value_kind:     hidden_global_offset_x
      - .offset:         80
        .size:           8
        .value_kind:     hidden_global_offset_y
      - .offset:         88
        .size:           8
        .value_kind:     hidden_global_offset_z
      - .offset:         96
        .size:           2
        .value_kind:     hidden_grid_dims
    .group_segment_fixed_size: 0
    .kernarg_segment_align: 8
    .kernarg_segment_size: 288
    .language:       OpenCL C
    .language_version:
      - 2
      - 0
    .max_flat_workgroup_size: 64
    .name:           _ZN7rocprim6detail16transform_kernelINS0_24wrapped_transform_configINS_14default_configEsEEsPsS5_NS_8identityIsEEEEvT1_mT2_T3_
    .private_segment_fixed_size: 0
    .sgpr_count:     27
    .sgpr_spill_count: 0
    .symbol:         _ZN7rocprim6detail16transform_kernelINS0_24wrapped_transform_configINS_14default_configEsEEsPsS5_NS_8identityIsEEEEvT1_mT2_T3_.kd
    .uniform_work_group_size: 1
    .uses_dynamic_stack: false
    .vgpr_count:     12
    .vgpr_spill_count: 0
    .wavefront_size: 64
  - .agpr_count:     0
    .args:
      - .offset:         0
        .size:           16
        .value_kind:     by_value
      - .offset:         16
        .size:           8
        .value_kind:     by_value
      - .offset:         24
        .size:           2
        .value_kind:     by_value
      - .address_space:  global
        .offset:         32
        .size:           8
        .value_kind:     global_buffer
      - .offset:         40
        .size:           1
        .value_kind:     by_value
    .group_segment_fixed_size: 5120
    .kernarg_segment_align: 8
    .kernarg_segment_size: 44
    .language:       OpenCL C
    .language_version:
      - 2
      - 0
    .max_flat_workgroup_size: 256
    .name:           _ZN7rocprim6detail18single_scan_kernelILb0ENS0_19wrapped_scan_configINS_14default_configEsEEN6hipcub22TransformInputIteratorIsNS5_6CastOpIsEEPslEEPfNS5_3MaxEssEEvT1_mT4_T2_T3_
    .private_segment_fixed_size: 0
    .sgpr_count:     30
    .sgpr_spill_count: 0
    .symbol:         _ZN7rocprim6detail18single_scan_kernelILb0ENS0_19wrapped_scan_configINS_14default_configEsEEN6hipcub22TransformInputIteratorIsNS5_6CastOpIsEEPslEEPfNS5_3MaxEssEEvT1_mT4_T2_T3_.kd
    .uniform_work_group_size: 1
    .uses_dynamic_stack: false
    .vgpr_count:     22
    .vgpr_spill_count: 0
    .wavefront_size: 64
  - .agpr_count:     0
    .args:
      - .address_space:  global
        .offset:         0
        .size:           8
        .value_kind:     global_buffer
      - .offset:         8
        .size:           4
        .value_kind:     by_value
      - .offset:         12
        .size:           4
        .value_kind:     by_value
      - .address_space:  global
        .offset:         16
        .size:           8
        .value_kind:     global_buffer
      - .offset:         24
        .size:           4
        .value_kind:     hidden_block_count_x
      - .offset:         28
        .size:           4
        .value_kind:     hidden_block_count_y
      - .offset:         32
        .size:           4
        .value_kind:     hidden_block_count_z
      - .offset:         36
        .size:           2
        .value_kind:     hidden_group_size_x
      - .offset:         38
        .size:           2
        .value_kind:     hidden_group_size_y
      - .offset:         40
        .size:           2
        .value_kind:     hidden_group_size_z
      - .offset:         42
        .size:           2
        .value_kind:     hidden_remainder_x
      - .offset:         44
        .size:           2
        .value_kind:     hidden_remainder_y
      - .offset:         46
        .size:           2
        .value_kind:     hidden_remainder_z
      - .offset:         64
        .size:           8
        .value_kind:     hidden_global_offset_x
      - .offset:         72
        .size:           8
        .value_kind:     hidden_global_offset_y
      - .offset:         80
        .size:           8
        .value_kind:     hidden_global_offset_z
      - .offset:         88
        .size:           2
        .value_kind:     hidden_grid_dims
    .group_segment_fixed_size: 0
    .kernarg_segment_align: 8
    .kernarg_segment_size: 280
    .language:       OpenCL C
    .language_version:
      - 2
      - 0
    .max_flat_workgroup_size: 256
    .name:           _ZN7rocprim6detail31init_lookback_scan_state_kernelINS0_19lookback_scan_stateImLb1ELb1EEEEEvT_jjPNS4_10value_typeE
    .private_segment_fixed_size: 0
    .sgpr_count:     18
    .sgpr_spill_count: 0
    .symbol:         _ZN7rocprim6detail31init_lookback_scan_state_kernelINS0_19lookback_scan_stateImLb1ELb1EEEEEvT_jjPNS4_10value_typeE.kd
    .uniform_work_group_size: 1
    .uses_dynamic_stack: false
    .vgpr_count:     10
    .vgpr_spill_count: 0
    .wavefront_size: 64
  - .agpr_count:     0
    .args:
      - .address_space:  global
        .offset:         0
        .size:           8
        .value_kind:     global_buffer
      - .offset:         8
        .size:           4
        .value_kind:     by_value
      - .offset:         12
        .size:           4
        .value_kind:     by_value
      - .address_space:  global
        .offset:         16
        .size:           8
        .value_kind:     global_buffer
      - .offset:         24
        .size:           4
        .value_kind:     hidden_block_count_x
      - .offset:         28
        .size:           4
        .value_kind:     hidden_block_count_y
      - .offset:         32
        .size:           4
        .value_kind:     hidden_block_count_z
      - .offset:         36
        .size:           2
        .value_kind:     hidden_group_size_x
      - .offset:         38
        .size:           2
        .value_kind:     hidden_group_size_y
      - .offset:         40
        .size:           2
        .value_kind:     hidden_group_size_z
      - .offset:         42
        .size:           2
        .value_kind:     hidden_remainder_x
      - .offset:         44
        .size:           2
        .value_kind:     hidden_remainder_y
      - .offset:         46
        .size:           2
        .value_kind:     hidden_remainder_z
      - .offset:         64
        .size:           8
        .value_kind:     hidden_global_offset_x
      - .offset:         72
        .size:           8
        .value_kind:     hidden_global_offset_y
      - .offset:         80
        .size:           8
        .value_kind:     hidden_global_offset_z
      - .offset:         88
        .size:           2
        .value_kind:     hidden_grid_dims
    .group_segment_fixed_size: 0
    .kernarg_segment_align: 8
    .kernarg_segment_size: 280
    .language:       OpenCL C
    .language_version:
      - 2
      - 0
    .max_flat_workgroup_size: 256
    .name:           _ZN7rocprim6detail31init_lookback_scan_state_kernelINS0_19lookback_scan_stateImLb0ELb1EEEEEvT_jjPNS4_10value_typeE
    .private_segment_fixed_size: 0
    .sgpr_count:     18
    .sgpr_spill_count: 0
    .symbol:         _ZN7rocprim6detail31init_lookback_scan_state_kernelINS0_19lookback_scan_stateImLb0ELb1EEEEEvT_jjPNS4_10value_typeE.kd
    .uniform_work_group_size: 1
    .uses_dynamic_stack: false
    .vgpr_count:     10
    .vgpr_spill_count: 0
    .wavefront_size: 64
  - .agpr_count:     0
    .args:
      - .address_space:  global
        .offset:         0
        .size:           8
        .value_kind:     global_buffer
      - .address_space:  global
        .offset:         8
        .size:           8
        .value_kind:     global_buffer
      - .offset:         16
        .size:           8
        .value_kind:     by_value
      - .offset:         24
        .size:           8
        .value_kind:     by_value
      - .offset:         32
        .size:           1
        .value_kind:     by_value
      - .address_space:  global
        .offset:         40
        .size:           8
        .value_kind:     global_buffer
      - .offset:         48
        .size:           4
        .value_kind:     by_value
      - .address_space:  global
        .offset:         56
        .size:           8
        .value_kind:     global_buffer
      - .address_space:  global
        .offset:         64
        .size:           8
        .value_kind:     global_buffer
      - .offset:         72
        .size:           1
        .value_kind:     by_value
      - .offset:         73
        .size:           1
        .value_kind:     by_value
    .group_segment_fixed_size: 0
    .kernarg_segment_align: 8
    .kernarg_segment_size: 76
    .language:       OpenCL C
    .language_version:
      - 2
      - 0
    .max_flat_workgroup_size: 64
    .name:           _ZN7rocprim6detail20lookback_scan_kernelILNS0_25lookback_scan_determinismE0ELb0ENS0_19wrapped_scan_configINS_14default_configEmEEPmS6_N6hipcub3SumEmmNS0_19lookback_scan_stateImLb1ELb1EEEEEvT2_T3_mT5_T4_T7_jPT6_SH_bb
    .private_segment_fixed_size: 0
    .sgpr_count:     4
    .sgpr_spill_count: 0
    .symbol:         _ZN7rocprim6detail20lookback_scan_kernelILNS0_25lookback_scan_determinismE0ELb0ENS0_19wrapped_scan_configINS_14default_configEmEEPmS6_N6hipcub3SumEmmNS0_19lookback_scan_stateImLb1ELb1EEEEEvT2_T3_mT5_T4_T7_jPT6_SH_bb.kd
    .uniform_work_group_size: 1
    .uses_dynamic_stack: false
    .vgpr_count:     0
    .vgpr_spill_count: 0
    .wavefront_size: 64
  - .agpr_count:     0
    .args:
      - .address_space:  global
        .offset:         0
        .size:           8
        .value_kind:     global_buffer
      - .address_space:  global
        .offset:         8
        .size:           8
        .value_kind:     global_buffer
      - .offset:         16
        .size:           8
        .value_kind:     by_value
      - .offset:         24
        .size:           8
        .value_kind:     by_value
      - .offset:         32
        .size:           1
        .value_kind:     by_value
      - .address_space:  global
        .offset:         40
        .size:           8
        .value_kind:     global_buffer
      - .offset:         48
        .size:           4
        .value_kind:     by_value
      - .address_space:  global
        .offset:         56
        .size:           8
        .value_kind:     global_buffer
      - .address_space:  global
        .offset:         64
        .size:           8
        .value_kind:     global_buffer
      - .offset:         72
        .size:           1
        .value_kind:     by_value
      - .offset:         73
        .size:           1
        .value_kind:     by_value
    .group_segment_fixed_size: 10752
    .kernarg_segment_align: 8
    .kernarg_segment_size: 76
    .language:       OpenCL C
    .language_version:
      - 2
      - 0
    .max_flat_workgroup_size: 64
    .name:           _ZN7rocprim6detail20lookback_scan_kernelILNS0_25lookback_scan_determinismE0ELb0ENS0_19wrapped_scan_configINS_14default_configEmEEPmS6_N6hipcub3SumEmmNS0_19lookback_scan_stateImLb0ELb1EEEEEvT2_T3_mT5_T4_T7_jPT6_SH_bb
    .private_segment_fixed_size: 0
    .sgpr_count:     28
    .sgpr_spill_count: 0
    .symbol:         _ZN7rocprim6detail20lookback_scan_kernelILNS0_25lookback_scan_determinismE0ELb0ENS0_19wrapped_scan_configINS_14default_configEmEEPmS6_N6hipcub3SumEmmNS0_19lookback_scan_stateImLb0ELb1EEEEEvT2_T3_mT5_T4_T7_jPT6_SH_bb.kd
    .uniform_work_group_size: 1
    .uses_dynamic_stack: false
    .vgpr_count:     89
    .vgpr_spill_count: 0
    .wavefront_size: 64
  - .agpr_count:     0
    .args:
      - .address_space:  global
        .offset:         0
        .size:           8
        .value_kind:     global_buffer
      - .offset:         8
        .size:           8
        .value_kind:     by_value
      - .address_space:  global
        .offset:         16
        .size:           8
        .value_kind:     global_buffer
      - .offset:         24
        .size:           1
        .value_kind:     by_value
      - .offset:         32
        .size:           4
        .value_kind:     hidden_block_count_x
      - .offset:         36
        .size:           4
        .value_kind:     hidden_block_count_y
      - .offset:         40
        .size:           4
        .value_kind:     hidden_block_count_z
      - .offset:         44
        .size:           2
        .value_kind:     hidden_group_size_x
      - .offset:         46
        .size:           2
        .value_kind:     hidden_group_size_y
      - .offset:         48
        .size:           2
        .value_kind:     hidden_group_size_z
      - .offset:         50
        .size:           2
        .value_kind:     hidden_remainder_x
      - .offset:         52
        .size:           2
        .value_kind:     hidden_remainder_y
      - .offset:         54
        .size:           2
        .value_kind:     hidden_remainder_z
      - .offset:         72
        .size:           8
        .value_kind:     hidden_global_offset_x
      - .offset:         80
        .size:           8
        .value_kind:     hidden_global_offset_y
      - .offset:         88
        .size:           8
        .value_kind:     hidden_global_offset_z
      - .offset:         96
        .size:           2
        .value_kind:     hidden_grid_dims
    .group_segment_fixed_size: 0
    .kernarg_segment_align: 8
    .kernarg_segment_size: 288
    .language:       OpenCL C
    .language_version:
      - 2
      - 0
    .max_flat_workgroup_size: 256
    .name:           _ZN7rocprim6detail16transform_kernelINS0_24wrapped_transform_configINS_14default_configEmEEmPmS5_NS_8identityImEEEEvT1_mT2_T3_
    .private_segment_fixed_size: 0
    .sgpr_count:     16
    .sgpr_spill_count: 0
    .symbol:         _ZN7rocprim6detail16transform_kernelINS0_24wrapped_transform_configINS_14default_configEmEEmPmS5_NS_8identityImEEEEvT1_mT2_T3_.kd
    .uniform_work_group_size: 1
    .uses_dynamic_stack: false
    .vgpr_count:     8
    .vgpr_spill_count: 0
    .wavefront_size: 64
  - .agpr_count:     0
    .args:
      - .address_space:  global
        .offset:         0
        .size:           8
        .value_kind:     global_buffer
      - .offset:         8
        .size:           8
        .value_kind:     by_value
      - .offset:         16
        .size:           8
        .value_kind:     by_value
      - .address_space:  global
        .offset:         24
        .size:           8
        .value_kind:     global_buffer
      - .offset:         32
        .size:           1
        .value_kind:     by_value
    .group_segment_fixed_size: 10752
    .kernarg_segment_align: 8
    .kernarg_segment_size: 36
    .language:       OpenCL C
    .language_version:
      - 2
      - 0
    .max_flat_workgroup_size: 64
    .name:           _ZN7rocprim6detail18single_scan_kernelILb0ENS0_19wrapped_scan_configINS_14default_configEmEEPmS5_N6hipcub3SumEmmEEvT1_mT4_T2_T3_
    .private_segment_fixed_size: 0
    .sgpr_count:     54
    .sgpr_spill_count: 0
    .symbol:         _ZN7rocprim6detail18single_scan_kernelILb0ENS0_19wrapped_scan_configINS_14default_configEmEEPmS5_N6hipcub3SumEmmEEvT1_mT4_T2_T3_.kd
    .uniform_work_group_size: 1
    .uses_dynamic_stack: false
    .vgpr_count:     54
    .vgpr_spill_count: 0
    .wavefront_size: 64
  - .agpr_count:     0
    .args:
      - .address_space:  global
        .offset:         0
        .size:           8
        .value_kind:     global_buffer
      - .offset:         8
        .size:           4
        .value_kind:     by_value
      - .offset:         12
        .size:           4
        .value_kind:     by_value
      - .address_space:  global
        .offset:         16
        .size:           8
        .value_kind:     global_buffer
      - .offset:         24
        .size:           4
        .value_kind:     hidden_block_count_x
      - .offset:         28
        .size:           4
        .value_kind:     hidden_block_count_y
      - .offset:         32
        .size:           4
        .value_kind:     hidden_block_count_z
      - .offset:         36
        .size:           2
        .value_kind:     hidden_group_size_x
      - .offset:         38
        .size:           2
        .value_kind:     hidden_group_size_y
      - .offset:         40
        .size:           2
        .value_kind:     hidden_group_size_z
      - .offset:         42
        .size:           2
        .value_kind:     hidden_remainder_x
      - .offset:         44
        .size:           2
        .value_kind:     hidden_remainder_y
      - .offset:         46
        .size:           2
        .value_kind:     hidden_remainder_z
      - .offset:         64
        .size:           8
        .value_kind:     hidden_global_offset_x
      - .offset:         72
        .size:           8
        .value_kind:     hidden_global_offset_y
      - .offset:         80
        .size:           8
        .value_kind:     hidden_global_offset_z
      - .offset:         88
        .size:           2
        .value_kind:     hidden_grid_dims
    .group_segment_fixed_size: 0
    .kernarg_segment_align: 8
    .kernarg_segment_size: 280
    .language:       OpenCL C
    .language_version:
      - 2
      - 0
    .max_flat_workgroup_size: 256
    .name:           _ZN7rocprim6detail31init_lookback_scan_state_kernelINS0_19lookback_scan_stateIyLb1ELb1EEEEEvT_jjPNS4_10value_typeE
    .private_segment_fixed_size: 0
    .sgpr_count:     18
    .sgpr_spill_count: 0
    .symbol:         _ZN7rocprim6detail31init_lookback_scan_state_kernelINS0_19lookback_scan_stateIyLb1ELb1EEEEEvT_jjPNS4_10value_typeE.kd
    .uniform_work_group_size: 1
    .uses_dynamic_stack: false
    .vgpr_count:     10
    .vgpr_spill_count: 0
    .wavefront_size: 64
  - .agpr_count:     0
    .args:
      - .address_space:  global
        .offset:         0
        .size:           8
        .value_kind:     global_buffer
      - .offset:         8
        .size:           4
        .value_kind:     by_value
      - .offset:         12
        .size:           4
        .value_kind:     by_value
      - .address_space:  global
        .offset:         16
        .size:           8
        .value_kind:     global_buffer
      - .offset:         24
        .size:           4
        .value_kind:     hidden_block_count_x
      - .offset:         28
        .size:           4
        .value_kind:     hidden_block_count_y
      - .offset:         32
        .size:           4
        .value_kind:     hidden_block_count_z
      - .offset:         36
        .size:           2
        .value_kind:     hidden_group_size_x
      - .offset:         38
        .size:           2
        .value_kind:     hidden_group_size_y
      - .offset:         40
        .size:           2
        .value_kind:     hidden_group_size_z
      - .offset:         42
        .size:           2
        .value_kind:     hidden_remainder_x
      - .offset:         44
        .size:           2
        .value_kind:     hidden_remainder_y
      - .offset:         46
        .size:           2
        .value_kind:     hidden_remainder_z
      - .offset:         64
        .size:           8
        .value_kind:     hidden_global_offset_x
      - .offset:         72
        .size:           8
        .value_kind:     hidden_global_offset_y
      - .offset:         80
        .size:           8
        .value_kind:     hidden_global_offset_z
      - .offset:         88
        .size:           2
        .value_kind:     hidden_grid_dims
    .group_segment_fixed_size: 0
    .kernarg_segment_align: 8
    .kernarg_segment_size: 280
    .language:       OpenCL C
    .language_version:
      - 2
      - 0
    .max_flat_workgroup_size: 256
    .name:           _ZN7rocprim6detail31init_lookback_scan_state_kernelINS0_19lookback_scan_stateIyLb0ELb1EEEEEvT_jjPNS4_10value_typeE
    .private_segment_fixed_size: 0
    .sgpr_count:     18
    .sgpr_spill_count: 0
    .symbol:         _ZN7rocprim6detail31init_lookback_scan_state_kernelINS0_19lookback_scan_stateIyLb0ELb1EEEEEvT_jjPNS4_10value_typeE.kd
    .uniform_work_group_size: 1
    .uses_dynamic_stack: false
    .vgpr_count:     10
    .vgpr_spill_count: 0
    .wavefront_size: 64
  - .agpr_count:     0
    .args:
      - .address_space:  global
        .offset:         0
        .size:           8
        .value_kind:     global_buffer
      - .address_space:  global
        .offset:         8
        .size:           8
        .value_kind:     global_buffer
      - .offset:         16
        .size:           8
        .value_kind:     by_value
      - .offset:         24
        .size:           8
        .value_kind:     by_value
      - .offset:         32
        .size:           1
        .value_kind:     by_value
      - .address_space:  global
        .offset:         40
        .size:           8
        .value_kind:     global_buffer
      - .offset:         48
        .size:           4
        .value_kind:     by_value
      - .address_space:  global
        .offset:         56
        .size:           8
        .value_kind:     global_buffer
      - .address_space:  global
        .offset:         64
        .size:           8
        .value_kind:     global_buffer
      - .offset:         72
        .size:           1
        .value_kind:     by_value
      - .offset:         73
        .size:           1
        .value_kind:     by_value
    .group_segment_fixed_size: 0
    .kernarg_segment_align: 8
    .kernarg_segment_size: 76
    .language:       OpenCL C
    .language_version:
      - 2
      - 0
    .max_flat_workgroup_size: 64
    .name:           _ZN7rocprim6detail20lookback_scan_kernelILNS0_25lookback_scan_determinismE0ELb0ENS0_19wrapped_scan_configINS_14default_configEyEEPyS6_N6hipcub3MinEyyNS0_19lookback_scan_stateIyLb1ELb1EEEEEvT2_T3_mT5_T4_T7_jPT6_SH_bb
    .private_segment_fixed_size: 0
    .sgpr_count:     4
    .sgpr_spill_count: 0
    .symbol:         _ZN7rocprim6detail20lookback_scan_kernelILNS0_25lookback_scan_determinismE0ELb0ENS0_19wrapped_scan_configINS_14default_configEyEEPyS6_N6hipcub3MinEyyNS0_19lookback_scan_stateIyLb1ELb1EEEEEvT2_T3_mT5_T4_T7_jPT6_SH_bb.kd
    .uniform_work_group_size: 1
    .uses_dynamic_stack: false
    .vgpr_count:     0
    .vgpr_spill_count: 0
    .wavefront_size: 64
  - .agpr_count:     0
    .args:
      - .address_space:  global
        .offset:         0
        .size:           8
        .value_kind:     global_buffer
      - .address_space:  global
        .offset:         8
        .size:           8
        .value_kind:     global_buffer
      - .offset:         16
        .size:           8
        .value_kind:     by_value
      - .offset:         24
        .size:           8
        .value_kind:     by_value
      - .offset:         32
        .size:           1
        .value_kind:     by_value
      - .address_space:  global
        .offset:         40
        .size:           8
        .value_kind:     global_buffer
      - .offset:         48
        .size:           4
        .value_kind:     by_value
      - .address_space:  global
        .offset:         56
        .size:           8
        .value_kind:     global_buffer
      - .address_space:  global
        .offset:         64
        .size:           8
        .value_kind:     global_buffer
      - .offset:         72
        .size:           1
        .value_kind:     by_value
      - .offset:         73
        .size:           1
        .value_kind:     by_value
    .group_segment_fixed_size: 10752
    .kernarg_segment_align: 8
    .kernarg_segment_size: 76
    .language:       OpenCL C
    .language_version:
      - 2
      - 0
    .max_flat_workgroup_size: 64
    .name:           _ZN7rocprim6detail20lookback_scan_kernelILNS0_25lookback_scan_determinismE0ELb0ENS0_19wrapped_scan_configINS_14default_configEyEEPyS6_N6hipcub3MinEyyNS0_19lookback_scan_stateIyLb0ELb1EEEEEvT2_T3_mT5_T4_T7_jPT6_SH_bb
    .private_segment_fixed_size: 0
    .sgpr_count:     28
    .sgpr_spill_count: 0
    .symbol:         _ZN7rocprim6detail20lookback_scan_kernelILNS0_25lookback_scan_determinismE0ELb0ENS0_19wrapped_scan_configINS_14default_configEyEEPyS6_N6hipcub3MinEyyNS0_19lookback_scan_stateIyLb0ELb1EEEEEvT2_T3_mT5_T4_T7_jPT6_SH_bb.kd
    .uniform_work_group_size: 1
    .uses_dynamic_stack: false
    .vgpr_count:     91
    .vgpr_spill_count: 0
    .wavefront_size: 64
  - .agpr_count:     0
    .args:
      - .address_space:  global
        .offset:         0
        .size:           8
        .value_kind:     global_buffer
      - .offset:         8
        .size:           8
        .value_kind:     by_value
      - .address_space:  global
        .offset:         16
        .size:           8
        .value_kind:     global_buffer
      - .offset:         24
        .size:           1
        .value_kind:     by_value
      - .offset:         32
        .size:           4
        .value_kind:     hidden_block_count_x
      - .offset:         36
        .size:           4
        .value_kind:     hidden_block_count_y
      - .offset:         40
        .size:           4
        .value_kind:     hidden_block_count_z
      - .offset:         44
        .size:           2
        .value_kind:     hidden_group_size_x
      - .offset:         46
        .size:           2
        .value_kind:     hidden_group_size_y
      - .offset:         48
        .size:           2
        .value_kind:     hidden_group_size_z
      - .offset:         50
        .size:           2
        .value_kind:     hidden_remainder_x
      - .offset:         52
        .size:           2
        .value_kind:     hidden_remainder_y
      - .offset:         54
        .size:           2
        .value_kind:     hidden_remainder_z
      - .offset:         72
        .size:           8
        .value_kind:     hidden_global_offset_x
      - .offset:         80
        .size:           8
        .value_kind:     hidden_global_offset_y
      - .offset:         88
        .size:           8
        .value_kind:     hidden_global_offset_z
      - .offset:         96
        .size:           2
        .value_kind:     hidden_grid_dims
    .group_segment_fixed_size: 0
    .kernarg_segment_align: 8
    .kernarg_segment_size: 288
    .language:       OpenCL C
    .language_version:
      - 2
      - 0
    .max_flat_workgroup_size: 256
    .name:           _ZN7rocprim6detail16transform_kernelINS0_24wrapped_transform_configINS_14default_configEyEEyPyS5_NS_8identityIyEEEEvT1_mT2_T3_
    .private_segment_fixed_size: 0
    .sgpr_count:     16
    .sgpr_spill_count: 0
    .symbol:         _ZN7rocprim6detail16transform_kernelINS0_24wrapped_transform_configINS_14default_configEyEEyPyS5_NS_8identityIyEEEEvT1_mT2_T3_.kd
    .uniform_work_group_size: 1
    .uses_dynamic_stack: false
    .vgpr_count:     8
    .vgpr_spill_count: 0
    .wavefront_size: 64
  - .agpr_count:     0
    .args:
      - .address_space:  global
        .offset:         0
        .size:           8
        .value_kind:     global_buffer
      - .offset:         8
        .size:           8
        .value_kind:     by_value
      - .offset:         16
        .size:           8
        .value_kind:     by_value
      - .address_space:  global
        .offset:         24
        .size:           8
        .value_kind:     global_buffer
      - .offset:         32
        .size:           1
        .value_kind:     by_value
    .group_segment_fixed_size: 10752
    .kernarg_segment_align: 8
    .kernarg_segment_size: 36
    .language:       OpenCL C
    .language_version:
      - 2
      - 0
    .max_flat_workgroup_size: 64
    .name:           _ZN7rocprim6detail18single_scan_kernelILb0ENS0_19wrapped_scan_configINS_14default_configEyEEPyS5_N6hipcub3MinEyyEEvT1_mT4_T2_T3_
    .private_segment_fixed_size: 0
    .sgpr_count:     54
    .sgpr_spill_count: 0
    .symbol:         _ZN7rocprim6detail18single_scan_kernelILb0ENS0_19wrapped_scan_configINS_14default_configEyEEPyS5_N6hipcub3MinEyyEEvT1_mT4_T2_T3_.kd
    .uniform_work_group_size: 1
    .uses_dynamic_stack: false
    .vgpr_count:     55
    .vgpr_spill_count: 0
    .wavefront_size: 64
  - .agpr_count:     0
    .args:
      - .address_space:  global
        .offset:         0
        .size:           8
        .value_kind:     global_buffer
      - .offset:         8
        .size:           4
        .value_kind:     by_value
      - .offset:         12
        .size:           4
        .value_kind:     by_value
      - .address_space:  global
        .offset:         16
        .size:           8
        .value_kind:     global_buffer
      - .offset:         24
        .size:           4
        .value_kind:     hidden_block_count_x
      - .offset:         28
        .size:           4
        .value_kind:     hidden_block_count_y
      - .offset:         32
        .size:           4
        .value_kind:     hidden_block_count_z
      - .offset:         36
        .size:           2
        .value_kind:     hidden_group_size_x
      - .offset:         38
        .size:           2
        .value_kind:     hidden_group_size_y
      - .offset:         40
        .size:           2
        .value_kind:     hidden_group_size_z
      - .offset:         42
        .size:           2
        .value_kind:     hidden_remainder_x
      - .offset:         44
        .size:           2
        .value_kind:     hidden_remainder_y
      - .offset:         46
        .size:           2
        .value_kind:     hidden_remainder_z
      - .offset:         64
        .size:           8
        .value_kind:     hidden_global_offset_x
      - .offset:         72
        .size:           8
        .value_kind:     hidden_global_offset_y
      - .offset:         80
        .size:           8
        .value_kind:     hidden_global_offset_z
      - .offset:         88
        .size:           2
        .value_kind:     hidden_grid_dims
    .group_segment_fixed_size: 0
    .kernarg_segment_align: 8
    .kernarg_segment_size: 280
    .language:       OpenCL C
    .language_version:
      - 2
      - 0
    .max_flat_workgroup_size: 256
    .name:           _ZN7rocprim6detail31init_lookback_scan_state_kernelINS0_19lookback_scan_stateINS_5tupleIJibEEELb1ELb1EEEEEvT_jjPNS6_10value_typeE
    .private_segment_fixed_size: 0
    .sgpr_count:     18
    .sgpr_spill_count: 0
    .symbol:         _ZN7rocprim6detail31init_lookback_scan_state_kernelINS0_19lookback_scan_stateINS_5tupleIJibEEELb1ELb1EEEEEvT_jjPNS6_10value_typeE.kd
    .uniform_work_group_size: 1
    .uses_dynamic_stack: false
    .vgpr_count:     10
    .vgpr_spill_count: 0
    .wavefront_size: 64
  - .agpr_count:     0
    .args:
      - .address_space:  global
        .offset:         0
        .size:           8
        .value_kind:     global_buffer
      - .offset:         8
        .size:           4
        .value_kind:     by_value
      - .offset:         12
        .size:           4
        .value_kind:     by_value
      - .address_space:  global
        .offset:         16
        .size:           8
        .value_kind:     global_buffer
      - .offset:         24
        .size:           4
        .value_kind:     hidden_block_count_x
      - .offset:         28
        .size:           4
        .value_kind:     hidden_block_count_y
      - .offset:         32
        .size:           4
        .value_kind:     hidden_block_count_z
      - .offset:         36
        .size:           2
        .value_kind:     hidden_group_size_x
      - .offset:         38
        .size:           2
        .value_kind:     hidden_group_size_y
      - .offset:         40
        .size:           2
        .value_kind:     hidden_group_size_z
      - .offset:         42
        .size:           2
        .value_kind:     hidden_remainder_x
      - .offset:         44
        .size:           2
        .value_kind:     hidden_remainder_y
      - .offset:         46
        .size:           2
        .value_kind:     hidden_remainder_z
      - .offset:         64
        .size:           8
        .value_kind:     hidden_global_offset_x
      - .offset:         72
        .size:           8
        .value_kind:     hidden_global_offset_y
      - .offset:         80
        .size:           8
        .value_kind:     hidden_global_offset_z
      - .offset:         88
        .size:           2
        .value_kind:     hidden_grid_dims
    .group_segment_fixed_size: 0
    .kernarg_segment_align: 8
    .kernarg_segment_size: 280
    .language:       OpenCL C
    .language_version:
      - 2
      - 0
    .max_flat_workgroup_size: 256
    .name:           _ZN7rocprim6detail31init_lookback_scan_state_kernelINS0_19lookback_scan_stateINS_5tupleIJibEEELb0ELb1EEEEEvT_jjPNS6_10value_typeE
    .private_segment_fixed_size: 0
    .sgpr_count:     18
    .sgpr_spill_count: 0
    .symbol:         _ZN7rocprim6detail31init_lookback_scan_state_kernelINS0_19lookback_scan_stateINS_5tupleIJibEEELb0ELb1EEEEEvT_jjPNS6_10value_typeE.kd
    .uniform_work_group_size: 1
    .uses_dynamic_stack: false
    .vgpr_count:     10
    .vgpr_spill_count: 0
    .wavefront_size: 64
  - .agpr_count:     0
    .args:
      - .address_space:  global
        .offset:         0
        .size:           8
        .value_kind:     global_buffer
      - .offset:         8
        .size:           16
        .value_kind:     by_value
      - .address_space:  global
        .offset:         24
        .size:           8
        .value_kind:     global_buffer
      - .offset:         32
        .size:           4
        .value_kind:     by_value
      - .offset:         36
        .size:           1
        .value_kind:     by_value
      - .offset:         37
        .size:           1
        .value_kind:     by_value
      - .address_space:  global
        .offset:         40
        .size:           8
        .value_kind:     global_buffer
      - .offset:         48
        .size:           8
        .value_kind:     by_value
      - .offset:         56
        .size:           8
        .value_kind:     by_value
      - .offset:         64
        .size:           8
        .value_kind:     by_value
      - .address_space:  global
        .offset:         72
        .size:           8
        .value_kind:     global_buffer
    .group_segment_fixed_size: 0
    .kernarg_segment_align: 8
    .kernarg_segment_size: 80
    .language:       OpenCL C
    .language_version:
      - 2
      - 0
    .max_flat_workgroup_size: 256
    .name:           _ZN7rocprim6detail25device_scan_by_key_kernelILNS0_25lookback_scan_determinismE0ELb0ENS0_26wrapped_scan_by_key_configINS_14default_configEiiEEPiN6hipcub22TransformInputIteratorIiNS7_6CastOpIiEES6_lEEPliNS7_8EqualityENS7_3SumENS0_19lookback_scan_stateINS_5tupleIJibEEELb1ELb1EEEiEEvT2_T3_T4_T5_T6_T7_T8_mmmPKNSG_IJT9_bEEE
    .private_segment_fixed_size: 0
    .sgpr_count:     4
    .sgpr_spill_count: 0
    .symbol:         _ZN7rocprim6detail25device_scan_by_key_kernelILNS0_25lookback_scan_determinismE0ELb0ENS0_26wrapped_scan_by_key_configINS_14default_configEiiEEPiN6hipcub22TransformInputIteratorIiNS7_6CastOpIiEES6_lEEPliNS7_8EqualityENS7_3SumENS0_19lookback_scan_stateINS_5tupleIJibEEELb1ELb1EEEiEEvT2_T3_T4_T5_T6_T7_T8_mmmPKNSG_IJT9_bEEE.kd
    .uniform_work_group_size: 1
    .uses_dynamic_stack: false
    .vgpr_count:     0
    .vgpr_spill_count: 0
    .wavefront_size: 64
  - .agpr_count:     0
    .args:
      - .address_space:  global
        .offset:         0
        .size:           8
        .value_kind:     global_buffer
      - .offset:         8
        .size:           16
        .value_kind:     by_value
      - .address_space:  global
        .offset:         24
        .size:           8
        .value_kind:     global_buffer
      - .offset:         32
        .size:           4
        .value_kind:     by_value
      - .offset:         36
        .size:           1
        .value_kind:     by_value
      - .offset:         37
        .size:           1
        .value_kind:     by_value
      - .address_space:  global
        .offset:         40
        .size:           8
        .value_kind:     global_buffer
      - .offset:         48
        .size:           8
        .value_kind:     by_value
      - .offset:         56
        .size:           8
        .value_kind:     by_value
      - .offset:         64
        .size:           8
        .value_kind:     by_value
      - .address_space:  global
        .offset:         72
        .size:           8
        .value_kind:     global_buffer
    .group_segment_fixed_size: 16384
    .kernarg_segment_align: 8
    .kernarg_segment_size: 80
    .language:       OpenCL C
    .language_version:
      - 2
      - 0
    .max_flat_workgroup_size: 256
    .name:           _ZN7rocprim6detail25device_scan_by_key_kernelILNS0_25lookback_scan_determinismE0ELb0ENS0_26wrapped_scan_by_key_configINS_14default_configEiiEEPiN6hipcub22TransformInputIteratorIiNS7_6CastOpIiEES6_lEEPliNS7_8EqualityENS7_3SumENS0_19lookback_scan_stateINS_5tupleIJibEEELb0ELb1EEEiEEvT2_T3_T4_T5_T6_T7_T8_mmmPKNSG_IJT9_bEEE
    .private_segment_fixed_size: 0
    .sgpr_count:     60
    .sgpr_spill_count: 0
    .symbol:         _ZN7rocprim6detail25device_scan_by_key_kernelILNS0_25lookback_scan_determinismE0ELb0ENS0_26wrapped_scan_by_key_configINS_14default_configEiiEEPiN6hipcub22TransformInputIteratorIiNS7_6CastOpIiEES6_lEEPliNS7_8EqualityENS7_3SumENS0_19lookback_scan_stateINS_5tupleIJibEEELb0ELb1EEEiEEvT2_T3_T4_T5_T6_T7_T8_mmmPKNSG_IJT9_bEEE.kd
    .uniform_work_group_size: 1
    .uses_dynamic_stack: false
    .vgpr_count:     62
    .vgpr_spill_count: 0
    .wavefront_size: 64
  - .agpr_count:     0
    .args:
      - .address_space:  global
        .offset:         0
        .size:           8
        .value_kind:     global_buffer
      - .offset:         8
        .size:           4
        .value_kind:     by_value
      - .offset:         12
        .size:           4
        .value_kind:     by_value
      - .address_space:  global
        .offset:         16
        .size:           8
        .value_kind:     global_buffer
      - .offset:         24
        .size:           4
        .value_kind:     hidden_block_count_x
      - .offset:         28
        .size:           4
        .value_kind:     hidden_block_count_y
      - .offset:         32
        .size:           4
        .value_kind:     hidden_block_count_z
      - .offset:         36
        .size:           2
        .value_kind:     hidden_group_size_x
      - .offset:         38
        .size:           2
        .value_kind:     hidden_group_size_y
      - .offset:         40
        .size:           2
        .value_kind:     hidden_group_size_z
      - .offset:         42
        .size:           2
        .value_kind:     hidden_remainder_x
      - .offset:         44
        .size:           2
        .value_kind:     hidden_remainder_y
      - .offset:         46
        .size:           2
        .value_kind:     hidden_remainder_z
      - .offset:         64
        .size:           8
        .value_kind:     hidden_global_offset_x
      - .offset:         72
        .size:           8
        .value_kind:     hidden_global_offset_y
      - .offset:         80
        .size:           8
        .value_kind:     hidden_global_offset_z
      - .offset:         88
        .size:           2
        .value_kind:     hidden_grid_dims
    .group_segment_fixed_size: 0
    .kernarg_segment_align: 8
    .kernarg_segment_size: 280
    .language:       OpenCL C
    .language_version:
      - 2
      - 0
    .max_flat_workgroup_size: 256
    .name:           _ZN7rocprim6detail31init_lookback_scan_state_kernelINS0_19lookback_scan_stateINS_5tupleIJ6__halfbEEELb1ELb1EEEEEvT_jjPNS7_10value_typeE
    .private_segment_fixed_size: 0
    .sgpr_count:     16
    .sgpr_spill_count: 0
    .symbol:         _ZN7rocprim6detail31init_lookback_scan_state_kernelINS0_19lookback_scan_stateINS_5tupleIJ6__halfbEEELb1ELb1EEEEEvT_jjPNS7_10value_typeE.kd
    .uniform_work_group_size: 1
    .uses_dynamic_stack: false
    .vgpr_count:     6
    .vgpr_spill_count: 0
    .wavefront_size: 64
  - .agpr_count:     0
    .args:
      - .address_space:  global
        .offset:         0
        .size:           8
        .value_kind:     global_buffer
      - .offset:         8
        .size:           4
        .value_kind:     by_value
      - .offset:         12
        .size:           4
        .value_kind:     by_value
      - .address_space:  global
        .offset:         16
        .size:           8
        .value_kind:     global_buffer
      - .offset:         24
        .size:           4
        .value_kind:     hidden_block_count_x
      - .offset:         28
        .size:           4
        .value_kind:     hidden_block_count_y
      - .offset:         32
        .size:           4
        .value_kind:     hidden_block_count_z
      - .offset:         36
        .size:           2
        .value_kind:     hidden_group_size_x
      - .offset:         38
        .size:           2
        .value_kind:     hidden_group_size_y
      - .offset:         40
        .size:           2
        .value_kind:     hidden_group_size_z
      - .offset:         42
        .size:           2
        .value_kind:     hidden_remainder_x
      - .offset:         44
        .size:           2
        .value_kind:     hidden_remainder_y
      - .offset:         46
        .size:           2
        .value_kind:     hidden_remainder_z
      - .offset:         64
        .size:           8
        .value_kind:     hidden_global_offset_x
      - .offset:         72
        .size:           8
        .value_kind:     hidden_global_offset_y
      - .offset:         80
        .size:           8
        .value_kind:     hidden_global_offset_z
      - .offset:         88
        .size:           2
        .value_kind:     hidden_grid_dims
    .group_segment_fixed_size: 0
    .kernarg_segment_align: 8
    .kernarg_segment_size: 280
    .language:       OpenCL C
    .language_version:
      - 2
      - 0
    .max_flat_workgroup_size: 256
    .name:           _ZN7rocprim6detail31init_lookback_scan_state_kernelINS0_19lookback_scan_stateINS_5tupleIJ6__halfbEEELb0ELb1EEEEEvT_jjPNS7_10value_typeE
    .private_segment_fixed_size: 0
    .sgpr_count:     14
    .sgpr_spill_count: 0
    .symbol:         _ZN7rocprim6detail31init_lookback_scan_state_kernelINS0_19lookback_scan_stateINS_5tupleIJ6__halfbEEELb0ELb1EEEEEvT_jjPNS7_10value_typeE.kd
    .uniform_work_group_size: 1
    .uses_dynamic_stack: false
    .vgpr_count:     6
    .vgpr_spill_count: 0
    .wavefront_size: 64
  - .agpr_count:     0
    .args:
      - .address_space:  global
        .offset:         0
        .size:           8
        .value_kind:     global_buffer
      - .offset:         8
        .size:           16
        .value_kind:     by_value
      - .address_space:  global
        .offset:         24
        .size:           8
        .value_kind:     global_buffer
      - .offset:         32
        .size:           2
        .value_kind:     by_value
      - .offset:         34
        .size:           1
        .value_kind:     by_value
      - .offset:         35
        .size:           1
        .value_kind:     by_value
      - .address_space:  global
        .offset:         40
        .size:           8
        .value_kind:     global_buffer
      - .offset:         48
        .size:           8
        .value_kind:     by_value
      - .offset:         56
        .size:           8
        .value_kind:     by_value
      - .offset:         64
        .size:           8
        .value_kind:     by_value
      - .address_space:  global
        .offset:         72
        .size:           8
        .value_kind:     global_buffer
    .group_segment_fixed_size: 0
    .kernarg_segment_align: 8
    .kernarg_segment_size: 80
    .language:       OpenCL C
    .language_version:
      - 2
      - 0
    .max_flat_workgroup_size: 64
    .name:           _ZN7rocprim6detail25device_scan_by_key_kernelILNS0_25lookback_scan_determinismE0ELb0ENS0_26wrapped_scan_by_key_configINS_14default_configEi6__halfEEPiN6hipcub22TransformInputIteratorIS5_NS8_6CastOpIS5_EEPS5_lEESC_S5_NS8_8EqualityENS8_3SumENS0_19lookback_scan_stateINS_5tupleIJS5_bEEELb1ELb1EEES5_EEvT2_T3_T4_T5_T6_T7_T8_mmmPKNSH_IJT9_bEEE
    .private_segment_fixed_size: 0
    .sgpr_count:     4
    .sgpr_spill_count: 0
    .symbol:         _ZN7rocprim6detail25device_scan_by_key_kernelILNS0_25lookback_scan_determinismE0ELb0ENS0_26wrapped_scan_by_key_configINS_14default_configEi6__halfEEPiN6hipcub22TransformInputIteratorIS5_NS8_6CastOpIS5_EEPS5_lEESC_S5_NS8_8EqualityENS8_3SumENS0_19lookback_scan_stateINS_5tupleIJS5_bEEELb1ELb1EEES5_EEvT2_T3_T4_T5_T6_T7_T8_mmmPKNSH_IJT9_bEEE.kd
    .uniform_work_group_size: 1
    .uses_dynamic_stack: false
    .vgpr_count:     0
    .vgpr_spill_count: 0
    .wavefront_size: 64
  - .agpr_count:     0
    .args:
      - .address_space:  global
        .offset:         0
        .size:           8
        .value_kind:     global_buffer
      - .offset:         8
        .size:           16
        .value_kind:     by_value
      - .address_space:  global
        .offset:         24
        .size:           8
        .value_kind:     global_buffer
      - .offset:         32
        .size:           2
        .value_kind:     by_value
      - .offset:         34
        .size:           1
        .value_kind:     by_value
      - .offset:         35
        .size:           1
        .value_kind:     by_value
      - .address_space:  global
        .offset:         40
        .size:           8
        .value_kind:     global_buffer
      - .offset:         48
        .size:           8
        .value_kind:     by_value
      - .offset:         56
        .size:           8
        .value_kind:     by_value
      - .offset:         64
        .size:           8
        .value_kind:     by_value
      - .address_space:  global
        .offset:         72
        .size:           8
        .value_kind:     global_buffer
    .group_segment_fixed_size: 6656
    .kernarg_segment_align: 8
    .kernarg_segment_size: 80
    .language:       OpenCL C
    .language_version:
      - 2
      - 0
    .max_flat_workgroup_size: 64
    .name:           _ZN7rocprim6detail25device_scan_by_key_kernelILNS0_25lookback_scan_determinismE0ELb0ENS0_26wrapped_scan_by_key_configINS_14default_configEi6__halfEEPiN6hipcub22TransformInputIteratorIS5_NS8_6CastOpIS5_EEPS5_lEESC_S5_NS8_8EqualityENS8_3SumENS0_19lookback_scan_stateINS_5tupleIJS5_bEEELb0ELb1EEES5_EEvT2_T3_T4_T5_T6_T7_T8_mmmPKNSH_IJT9_bEEE
    .private_segment_fixed_size: 0
    .sgpr_count:     100
    .sgpr_spill_count: 0
    .symbol:         _ZN7rocprim6detail25device_scan_by_key_kernelILNS0_25lookback_scan_determinismE0ELb0ENS0_26wrapped_scan_by_key_configINS_14default_configEi6__halfEEPiN6hipcub22TransformInputIteratorIS5_NS8_6CastOpIS5_EEPS5_lEESC_S5_NS8_8EqualityENS8_3SumENS0_19lookback_scan_stateINS_5tupleIJS5_bEEELb0ELb1EEES5_EEvT2_T3_T4_T5_T6_T7_T8_mmmPKNSH_IJT9_bEEE.kd
    .uniform_work_group_size: 1
    .uses_dynamic_stack: false
    .vgpr_count:     74
    .vgpr_spill_count: 0
    .wavefront_size: 64
  - .agpr_count:     0
    .args:
      - .address_space:  global
        .offset:         0
        .size:           8
        .value_kind:     global_buffer
      - .offset:         8
        .size:           16
        .value_kind:     by_value
      - .address_space:  global
        .offset:         24
        .size:           8
        .value_kind:     global_buffer
      - .offset:         32
        .size:           2
        .value_kind:     by_value
      - .offset:         34
        .size:           1
        .value_kind:     by_value
      - .offset:         35
        .size:           1
        .value_kind:     by_value
      - .address_space:  global
        .offset:         40
        .size:           8
        .value_kind:     global_buffer
      - .offset:         48
        .size:           8
        .value_kind:     by_value
      - .offset:         56
        .size:           8
        .value_kind:     by_value
      - .offset:         64
        .size:           8
        .value_kind:     by_value
      - .address_space:  global
        .offset:         72
        .size:           8
        .value_kind:     global_buffer
    .group_segment_fixed_size: 0
    .kernarg_segment_align: 8
    .kernarg_segment_size: 80
    .language:       OpenCL C
    .language_version:
      - 2
      - 0
    .max_flat_workgroup_size: 64
    .name:           _ZN7rocprim6detail25device_scan_by_key_kernelILNS0_25lookback_scan_determinismE0ELb0ENS0_26wrapped_scan_by_key_configINS_14default_configEi6__halfEEPiN6hipcub22TransformInputIteratorIS5_NS8_6CastOpIS5_EEPS5_lEESC_S5_NS8_8EqualityENS8_3MaxENS0_19lookback_scan_stateINS_5tupleIJS5_bEEELb1ELb1EEES5_EEvT2_T3_T4_T5_T6_T7_T8_mmmPKNSH_IJT9_bEEE
    .private_segment_fixed_size: 0
    .sgpr_count:     4
    .sgpr_spill_count: 0
    .symbol:         _ZN7rocprim6detail25device_scan_by_key_kernelILNS0_25lookback_scan_determinismE0ELb0ENS0_26wrapped_scan_by_key_configINS_14default_configEi6__halfEEPiN6hipcub22TransformInputIteratorIS5_NS8_6CastOpIS5_EEPS5_lEESC_S5_NS8_8EqualityENS8_3MaxENS0_19lookback_scan_stateINS_5tupleIJS5_bEEELb1ELb1EEES5_EEvT2_T3_T4_T5_T6_T7_T8_mmmPKNSH_IJT9_bEEE.kd
    .uniform_work_group_size: 1
    .uses_dynamic_stack: false
    .vgpr_count:     0
    .vgpr_spill_count: 0
    .wavefront_size: 64
  - .agpr_count:     0
    .args:
      - .address_space:  global
        .offset:         0
        .size:           8
        .value_kind:     global_buffer
      - .offset:         8
        .size:           16
        .value_kind:     by_value
      - .address_space:  global
        .offset:         24
        .size:           8
        .value_kind:     global_buffer
      - .offset:         32
        .size:           2
        .value_kind:     by_value
      - .offset:         34
        .size:           1
        .value_kind:     by_value
      - .offset:         35
        .size:           1
        .value_kind:     by_value
      - .address_space:  global
        .offset:         40
        .size:           8
        .value_kind:     global_buffer
      - .offset:         48
        .size:           8
        .value_kind:     by_value
      - .offset:         56
        .size:           8
        .value_kind:     by_value
      - .offset:         64
        .size:           8
        .value_kind:     by_value
      - .address_space:  global
        .offset:         72
        .size:           8
        .value_kind:     global_buffer
    .group_segment_fixed_size: 6656
    .kernarg_segment_align: 8
    .kernarg_segment_size: 80
    .language:       OpenCL C
    .language_version:
      - 2
      - 0
    .max_flat_workgroup_size: 64
    .name:           _ZN7rocprim6detail25device_scan_by_key_kernelILNS0_25lookback_scan_determinismE0ELb0ENS0_26wrapped_scan_by_key_configINS_14default_configEi6__halfEEPiN6hipcub22TransformInputIteratorIS5_NS8_6CastOpIS5_EEPS5_lEESC_S5_NS8_8EqualityENS8_3MaxENS0_19lookback_scan_stateINS_5tupleIJS5_bEEELb0ELb1EEES5_EEvT2_T3_T4_T5_T6_T7_T8_mmmPKNSH_IJT9_bEEE
    .private_segment_fixed_size: 0
    .sgpr_count:     98
    .sgpr_spill_count: 0
    .symbol:         _ZN7rocprim6detail25device_scan_by_key_kernelILNS0_25lookback_scan_determinismE0ELb0ENS0_26wrapped_scan_by_key_configINS_14default_configEi6__halfEEPiN6hipcub22TransformInputIteratorIS5_NS8_6CastOpIS5_EEPS5_lEESC_S5_NS8_8EqualityENS8_3MaxENS0_19lookback_scan_stateINS_5tupleIJS5_bEEELb0ELb1EEES5_EEvT2_T3_T4_T5_T6_T7_T8_mmmPKNSH_IJT9_bEEE.kd
    .uniform_work_group_size: 1
    .uses_dynamic_stack: false
    .vgpr_count:     75
    .vgpr_spill_count: 0
    .wavefront_size: 64
  - .agpr_count:     0
    .args:
      - .address_space:  global
        .offset:         0
        .size:           8
        .value_kind:     global_buffer
      - .offset:         8
        .size:           4
        .value_kind:     by_value
      - .offset:         12
        .size:           4
        .value_kind:     by_value
      - .address_space:  global
        .offset:         16
        .size:           8
        .value_kind:     global_buffer
      - .offset:         24
        .size:           4
        .value_kind:     hidden_block_count_x
      - .offset:         28
        .size:           4
        .value_kind:     hidden_block_count_y
      - .offset:         32
        .size:           4
        .value_kind:     hidden_block_count_z
      - .offset:         36
        .size:           2
        .value_kind:     hidden_group_size_x
      - .offset:         38
        .size:           2
        .value_kind:     hidden_group_size_y
      - .offset:         40
        .size:           2
        .value_kind:     hidden_group_size_z
      - .offset:         42
        .size:           2
        .value_kind:     hidden_remainder_x
      - .offset:         44
        .size:           2
        .value_kind:     hidden_remainder_y
      - .offset:         46
        .size:           2
        .value_kind:     hidden_remainder_z
      - .offset:         64
        .size:           8
        .value_kind:     hidden_global_offset_x
      - .offset:         72
        .size:           8
        .value_kind:     hidden_global_offset_y
      - .offset:         80
        .size:           8
        .value_kind:     hidden_global_offset_z
      - .offset:         88
        .size:           2
        .value_kind:     hidden_grid_dims
    .group_segment_fixed_size: 0
    .kernarg_segment_align: 8
    .kernarg_segment_size: 280
    .language:       OpenCL C
    .language_version:
      - 2
      - 0
    .max_flat_workgroup_size: 256
    .name:           _ZN7rocprim6detail31init_lookback_scan_state_kernelINS0_19lookback_scan_stateINS_5tupleIJ12hip_bfloat16bEEELb1ELb1EEEEEvT_jjPNS7_10value_typeE
    .private_segment_fixed_size: 0
    .sgpr_count:     16
    .sgpr_spill_count: 0
    .symbol:         _ZN7rocprim6detail31init_lookback_scan_state_kernelINS0_19lookback_scan_stateINS_5tupleIJ12hip_bfloat16bEEELb1ELb1EEEEEvT_jjPNS7_10value_typeE.kd
    .uniform_work_group_size: 1
    .uses_dynamic_stack: false
    .vgpr_count:     6
    .vgpr_spill_count: 0
    .wavefront_size: 64
  - .agpr_count:     0
    .args:
      - .address_space:  global
        .offset:         0
        .size:           8
        .value_kind:     global_buffer
      - .offset:         8
        .size:           4
        .value_kind:     by_value
      - .offset:         12
        .size:           4
        .value_kind:     by_value
      - .address_space:  global
        .offset:         16
        .size:           8
        .value_kind:     global_buffer
      - .offset:         24
        .size:           4
        .value_kind:     hidden_block_count_x
      - .offset:         28
        .size:           4
        .value_kind:     hidden_block_count_y
      - .offset:         32
        .size:           4
        .value_kind:     hidden_block_count_z
      - .offset:         36
        .size:           2
        .value_kind:     hidden_group_size_x
      - .offset:         38
        .size:           2
        .value_kind:     hidden_group_size_y
      - .offset:         40
        .size:           2
        .value_kind:     hidden_group_size_z
      - .offset:         42
        .size:           2
        .value_kind:     hidden_remainder_x
      - .offset:         44
        .size:           2
        .value_kind:     hidden_remainder_y
      - .offset:         46
        .size:           2
        .value_kind:     hidden_remainder_z
      - .offset:         64
        .size:           8
        .value_kind:     hidden_global_offset_x
      - .offset:         72
        .size:           8
        .value_kind:     hidden_global_offset_y
      - .offset:         80
        .size:           8
        .value_kind:     hidden_global_offset_z
      - .offset:         88
        .size:           2
        .value_kind:     hidden_grid_dims
    .group_segment_fixed_size: 0
    .kernarg_segment_align: 8
    .kernarg_segment_size: 280
    .language:       OpenCL C
    .language_version:
      - 2
      - 0
    .max_flat_workgroup_size: 256
    .name:           _ZN7rocprim6detail31init_lookback_scan_state_kernelINS0_19lookback_scan_stateINS_5tupleIJ12hip_bfloat16bEEELb0ELb1EEEEEvT_jjPNS7_10value_typeE
    .private_segment_fixed_size: 0
    .sgpr_count:     14
    .sgpr_spill_count: 0
    .symbol:         _ZN7rocprim6detail31init_lookback_scan_state_kernelINS0_19lookback_scan_stateINS_5tupleIJ12hip_bfloat16bEEELb0ELb1EEEEEvT_jjPNS7_10value_typeE.kd
    .uniform_work_group_size: 1
    .uses_dynamic_stack: false
    .vgpr_count:     6
    .vgpr_spill_count: 0
    .wavefront_size: 64
  - .agpr_count:     0
    .args:
      - .address_space:  global
        .offset:         0
        .size:           8
        .value_kind:     global_buffer
      - .offset:         8
        .size:           16
        .value_kind:     by_value
      - .address_space:  global
        .offset:         24
        .size:           8
        .value_kind:     global_buffer
      - .offset:         32
        .size:           2
        .value_kind:     by_value
      - .offset:         34
        .size:           1
        .value_kind:     by_value
      - .offset:         35
        .size:           1
        .value_kind:     by_value
      - .address_space:  global
        .offset:         40
        .size:           8
        .value_kind:     global_buffer
      - .offset:         48
        .size:           8
        .value_kind:     by_value
      - .offset:         56
        .size:           8
        .value_kind:     by_value
      - .offset:         64
        .size:           8
        .value_kind:     by_value
      - .address_space:  global
        .offset:         72
        .size:           8
        .value_kind:     global_buffer
    .group_segment_fixed_size: 0
    .kernarg_segment_align: 8
    .kernarg_segment_size: 80
    .language:       OpenCL C
    .language_version:
      - 2
      - 0
    .max_flat_workgroup_size: 64
    .name:           _ZN7rocprim6detail25device_scan_by_key_kernelILNS0_25lookback_scan_determinismE0ELb0ENS0_26wrapped_scan_by_key_configINS_14default_configEi12hip_bfloat16EEPiN6hipcub22TransformInputIteratorIS5_NS8_6CastOpIS5_EEPS5_lEESC_S5_NS8_8EqualityENS8_3SumENS0_19lookback_scan_stateINS_5tupleIJS5_bEEELb1ELb1EEES5_EEvT2_T3_T4_T5_T6_T7_T8_mmmPKNSH_IJT9_bEEE
    .private_segment_fixed_size: 0
    .sgpr_count:     4
    .sgpr_spill_count: 0
    .symbol:         _ZN7rocprim6detail25device_scan_by_key_kernelILNS0_25lookback_scan_determinismE0ELb0ENS0_26wrapped_scan_by_key_configINS_14default_configEi12hip_bfloat16EEPiN6hipcub22TransformInputIteratorIS5_NS8_6CastOpIS5_EEPS5_lEESC_S5_NS8_8EqualityENS8_3SumENS0_19lookback_scan_stateINS_5tupleIJS5_bEEELb1ELb1EEES5_EEvT2_T3_T4_T5_T6_T7_T8_mmmPKNSH_IJT9_bEEE.kd
    .uniform_work_group_size: 1
    .uses_dynamic_stack: false
    .vgpr_count:     0
    .vgpr_spill_count: 0
    .wavefront_size: 64
  - .agpr_count:     0
    .args:
      - .address_space:  global
        .offset:         0
        .size:           8
        .value_kind:     global_buffer
      - .offset:         8
        .size:           16
        .value_kind:     by_value
      - .address_space:  global
        .offset:         24
        .size:           8
        .value_kind:     global_buffer
      - .offset:         32
        .size:           2
        .value_kind:     by_value
      - .offset:         34
        .size:           1
        .value_kind:     by_value
      - .offset:         35
        .size:           1
        .value_kind:     by_value
      - .address_space:  global
        .offset:         40
        .size:           8
        .value_kind:     global_buffer
      - .offset:         48
        .size:           8
        .value_kind:     by_value
      - .offset:         56
        .size:           8
        .value_kind:     by_value
      - .offset:         64
        .size:           8
        .value_kind:     by_value
      - .address_space:  global
        .offset:         72
        .size:           8
        .value_kind:     global_buffer
    .group_segment_fixed_size: 6656
    .kernarg_segment_align: 8
    .kernarg_segment_size: 80
    .language:       OpenCL C
    .language_version:
      - 2
      - 0
    .max_flat_workgroup_size: 64
    .name:           _ZN7rocprim6detail25device_scan_by_key_kernelILNS0_25lookback_scan_determinismE0ELb0ENS0_26wrapped_scan_by_key_configINS_14default_configEi12hip_bfloat16EEPiN6hipcub22TransformInputIteratorIS5_NS8_6CastOpIS5_EEPS5_lEESC_S5_NS8_8EqualityENS8_3SumENS0_19lookback_scan_stateINS_5tupleIJS5_bEEELb0ELb1EEES5_EEvT2_T3_T4_T5_T6_T7_T8_mmmPKNSH_IJT9_bEEE
    .private_segment_fixed_size: 0
    .sgpr_count:     80
    .sgpr_spill_count: 0
    .symbol:         _ZN7rocprim6detail25device_scan_by_key_kernelILNS0_25lookback_scan_determinismE0ELb0ENS0_26wrapped_scan_by_key_configINS_14default_configEi12hip_bfloat16EEPiN6hipcub22TransformInputIteratorIS5_NS8_6CastOpIS5_EEPS5_lEESC_S5_NS8_8EqualityENS8_3SumENS0_19lookback_scan_stateINS_5tupleIJS5_bEEELb0ELb1EEES5_EEvT2_T3_T4_T5_T6_T7_T8_mmmPKNSH_IJT9_bEEE.kd
    .uniform_work_group_size: 1
    .uses_dynamic_stack: false
    .vgpr_count:     76
    .vgpr_spill_count: 0
    .wavefront_size: 64
  - .agpr_count:     0
    .args:
      - .address_space:  global
        .offset:         0
        .size:           8
        .value_kind:     global_buffer
      - .offset:         8
        .size:           16
        .value_kind:     by_value
      - .address_space:  global
        .offset:         24
        .size:           8
        .value_kind:     global_buffer
      - .offset:         32
        .size:           2
        .value_kind:     by_value
      - .offset:         34
        .size:           1
        .value_kind:     by_value
      - .offset:         35
        .size:           1
        .value_kind:     by_value
      - .address_space:  global
        .offset:         40
        .size:           8
        .value_kind:     global_buffer
      - .offset:         48
        .size:           8
        .value_kind:     by_value
      - .offset:         56
        .size:           8
        .value_kind:     by_value
      - .offset:         64
        .size:           8
        .value_kind:     by_value
      - .address_space:  global
        .offset:         72
        .size:           8
        .value_kind:     global_buffer
    .group_segment_fixed_size: 0
    .kernarg_segment_align: 8
    .kernarg_segment_size: 80
    .language:       OpenCL C
    .language_version:
      - 2
      - 0
    .max_flat_workgroup_size: 64
    .name:           _ZN7rocprim6detail25device_scan_by_key_kernelILNS0_25lookback_scan_determinismE0ELb0ENS0_26wrapped_scan_by_key_configINS_14default_configEi12hip_bfloat16EEPiN6hipcub22TransformInputIteratorIS5_NS8_6CastOpIS5_EEPS5_lEESC_S5_NS8_8EqualityENS8_3MaxENS0_19lookback_scan_stateINS_5tupleIJS5_bEEELb1ELb1EEES5_EEvT2_T3_T4_T5_T6_T7_T8_mmmPKNSH_IJT9_bEEE
    .private_segment_fixed_size: 0
    .sgpr_count:     4
    .sgpr_spill_count: 0
    .symbol:         _ZN7rocprim6detail25device_scan_by_key_kernelILNS0_25lookback_scan_determinismE0ELb0ENS0_26wrapped_scan_by_key_configINS_14default_configEi12hip_bfloat16EEPiN6hipcub22TransformInputIteratorIS5_NS8_6CastOpIS5_EEPS5_lEESC_S5_NS8_8EqualityENS8_3MaxENS0_19lookback_scan_stateINS_5tupleIJS5_bEEELb1ELb1EEES5_EEvT2_T3_T4_T5_T6_T7_T8_mmmPKNSH_IJT9_bEEE.kd
    .uniform_work_group_size: 1
    .uses_dynamic_stack: false
    .vgpr_count:     0
    .vgpr_spill_count: 0
    .wavefront_size: 64
  - .agpr_count:     0
    .args:
      - .address_space:  global
        .offset:         0
        .size:           8
        .value_kind:     global_buffer
      - .offset:         8
        .size:           16
        .value_kind:     by_value
      - .address_space:  global
        .offset:         24
        .size:           8
        .value_kind:     global_buffer
      - .offset:         32
        .size:           2
        .value_kind:     by_value
      - .offset:         34
        .size:           1
        .value_kind:     by_value
      - .offset:         35
        .size:           1
        .value_kind:     by_value
      - .address_space:  global
        .offset:         40
        .size:           8
        .value_kind:     global_buffer
      - .offset:         48
        .size:           8
        .value_kind:     by_value
      - .offset:         56
        .size:           8
        .value_kind:     by_value
      - .offset:         64
        .size:           8
        .value_kind:     by_value
      - .address_space:  global
        .offset:         72
        .size:           8
        .value_kind:     global_buffer
    .group_segment_fixed_size: 6656
    .kernarg_segment_align: 8
    .kernarg_segment_size: 80
    .language:       OpenCL C
    .language_version:
      - 2
      - 0
    .max_flat_workgroup_size: 64
    .name:           _ZN7rocprim6detail25device_scan_by_key_kernelILNS0_25lookback_scan_determinismE0ELb0ENS0_26wrapped_scan_by_key_configINS_14default_configEi12hip_bfloat16EEPiN6hipcub22TransformInputIteratorIS5_NS8_6CastOpIS5_EEPS5_lEESC_S5_NS8_8EqualityENS8_3MaxENS0_19lookback_scan_stateINS_5tupleIJS5_bEEELb0ELb1EEES5_EEvT2_T3_T4_T5_T6_T7_T8_mmmPKNSH_IJT9_bEEE
    .private_segment_fixed_size: 0
    .sgpr_count:     80
    .sgpr_spill_count: 0
    .symbol:         _ZN7rocprim6detail25device_scan_by_key_kernelILNS0_25lookback_scan_determinismE0ELb0ENS0_26wrapped_scan_by_key_configINS_14default_configEi12hip_bfloat16EEPiN6hipcub22TransformInputIteratorIS5_NS8_6CastOpIS5_EEPS5_lEESC_S5_NS8_8EqualityENS8_3MaxENS0_19lookback_scan_stateINS_5tupleIJS5_bEEELb0ELb1EEES5_EEvT2_T3_T4_T5_T6_T7_T8_mmmPKNSH_IJT9_bEEE.kd
    .uniform_work_group_size: 1
    .uses_dynamic_stack: false
    .vgpr_count:     79
    .vgpr_spill_count: 0
    .wavefront_size: 64
  - .agpr_count:     0
    .args:
      - .address_space:  global
        .offset:         0
        .size:           8
        .value_kind:     global_buffer
      - .offset:         8
        .size:           16
        .value_kind:     by_value
      - .address_space:  global
        .offset:         24
        .size:           8
        .value_kind:     global_buffer
      - .offset:         32
        .size:           4
        .value_kind:     by_value
      - .offset:         36
        .size:           1
        .value_kind:     by_value
      - .offset:         37
        .size:           1
        .value_kind:     by_value
      - .address_space:  global
        .offset:         40
        .size:           8
        .value_kind:     global_buffer
      - .offset:         48
        .size:           8
        .value_kind:     by_value
      - .offset:         56
        .size:           8
        .value_kind:     by_value
      - .offset:         64
        .size:           8
        .value_kind:     by_value
      - .address_space:  global
        .offset:         72
        .size:           8
        .value_kind:     global_buffer
    .group_segment_fixed_size: 0
    .kernarg_segment_align: 8
    .kernarg_segment_size: 80
    .language:       OpenCL C
    .language_version:
      - 2
      - 0
    .max_flat_workgroup_size: 256
    .name:           _ZN7rocprim6detail25device_scan_by_key_kernelILNS0_25lookback_scan_determinismE0ELb0ENS0_26wrapped_scan_by_key_configINS_14default_configEiiEEPiN6hipcub22TransformInputIteratorIiNS7_6CastOpIiEES6_lEEPdiNS7_8EqualityENS7_3SumENS0_19lookback_scan_stateINS_5tupleIJibEEELb1ELb1EEEiEEvT2_T3_T4_T5_T6_T7_T8_mmmPKNSG_IJT9_bEEE
    .private_segment_fixed_size: 0
    .sgpr_count:     4
    .sgpr_spill_count: 0
    .symbol:         _ZN7rocprim6detail25device_scan_by_key_kernelILNS0_25lookback_scan_determinismE0ELb0ENS0_26wrapped_scan_by_key_configINS_14default_configEiiEEPiN6hipcub22TransformInputIteratorIiNS7_6CastOpIiEES6_lEEPdiNS7_8EqualityENS7_3SumENS0_19lookback_scan_stateINS_5tupleIJibEEELb1ELb1EEEiEEvT2_T3_T4_T5_T6_T7_T8_mmmPKNSG_IJT9_bEEE.kd
    .uniform_work_group_size: 1
    .uses_dynamic_stack: false
    .vgpr_count:     0
    .vgpr_spill_count: 0
    .wavefront_size: 64
  - .agpr_count:     0
    .args:
      - .address_space:  global
        .offset:         0
        .size:           8
        .value_kind:     global_buffer
      - .offset:         8
        .size:           16
        .value_kind:     by_value
      - .address_space:  global
        .offset:         24
        .size:           8
        .value_kind:     global_buffer
      - .offset:         32
        .size:           4
        .value_kind:     by_value
      - .offset:         36
        .size:           1
        .value_kind:     by_value
      - .offset:         37
        .size:           1
        .value_kind:     by_value
      - .address_space:  global
        .offset:         40
        .size:           8
        .value_kind:     global_buffer
      - .offset:         48
        .size:           8
        .value_kind:     by_value
      - .offset:         56
        .size:           8
        .value_kind:     by_value
      - .offset:         64
        .size:           8
        .value_kind:     by_value
      - .address_space:  global
        .offset:         72
        .size:           8
        .value_kind:     global_buffer
    .group_segment_fixed_size: 16384
    .kernarg_segment_align: 8
    .kernarg_segment_size: 80
    .language:       OpenCL C
    .language_version:
      - 2
      - 0
    .max_flat_workgroup_size: 256
    .name:           _ZN7rocprim6detail25device_scan_by_key_kernelILNS0_25lookback_scan_determinismE0ELb0ENS0_26wrapped_scan_by_key_configINS_14default_configEiiEEPiN6hipcub22TransformInputIteratorIiNS7_6CastOpIiEES6_lEEPdiNS7_8EqualityENS7_3SumENS0_19lookback_scan_stateINS_5tupleIJibEEELb0ELb1EEEiEEvT2_T3_T4_T5_T6_T7_T8_mmmPKNSG_IJT9_bEEE
    .private_segment_fixed_size: 0
    .sgpr_count:     60
    .sgpr_spill_count: 0
    .symbol:         _ZN7rocprim6detail25device_scan_by_key_kernelILNS0_25lookback_scan_determinismE0ELb0ENS0_26wrapped_scan_by_key_configINS_14default_configEiiEEPiN6hipcub22TransformInputIteratorIiNS7_6CastOpIiEES6_lEEPdiNS7_8EqualityENS7_3SumENS0_19lookback_scan_stateINS_5tupleIJibEEELb0ELb1EEEiEEvT2_T3_T4_T5_T6_T7_T8_mmmPKNSG_IJT9_bEEE.kd
    .uniform_work_group_size: 1
    .uses_dynamic_stack: false
    .vgpr_count:     62
    .vgpr_spill_count: 0
    .wavefront_size: 64
  - .agpr_count:     0
    .args:
      - .address_space:  global
        .offset:         0
        .size:           8
        .value_kind:     global_buffer
      - .offset:         8
        .size:           16
        .value_kind:     by_value
      - .address_space:  global
        .offset:         24
        .size:           8
        .value_kind:     global_buffer
      - .offset:         32
        .size:           2
        .value_kind:     by_value
      - .offset:         34
        .size:           1
        .value_kind:     by_value
      - .offset:         35
        .size:           1
        .value_kind:     by_value
      - .address_space:  global
        .offset:         40
        .size:           8
        .value_kind:     global_buffer
      - .offset:         48
        .size:           8
        .value_kind:     by_value
      - .offset:         56
        .size:           8
        .value_kind:     by_value
      - .offset:         64
        .size:           8
        .value_kind:     by_value
      - .address_space:  global
        .offset:         72
        .size:           8
        .value_kind:     global_buffer
    .group_segment_fixed_size: 0
    .kernarg_segment_align: 8
    .kernarg_segment_size: 80
    .language:       OpenCL C
    .language_version:
      - 2
      - 0
    .max_flat_workgroup_size: 256
    .name:           _ZN7rocprim6detail25device_scan_by_key_kernelILNS0_25lookback_scan_determinismE0ELb0ENS0_26wrapped_scan_by_key_configINS_14default_configEiiEEPiN6hipcub22TransformInputIteratorIsNS7_6CastOpIsEEPslEEPfsNS7_8EqualityENS7_3SumENS0_19lookback_scan_stateINS_5tupleIJibEEELb1ELb1EEEiEEvT2_T3_T4_T5_T6_T7_T8_mmmPKNSH_IJT9_bEEE
    .private_segment_fixed_size: 0
    .sgpr_count:     4
    .sgpr_spill_count: 0
    .symbol:         _ZN7rocprim6detail25device_scan_by_key_kernelILNS0_25lookback_scan_determinismE0ELb0ENS0_26wrapped_scan_by_key_configINS_14default_configEiiEEPiN6hipcub22TransformInputIteratorIsNS7_6CastOpIsEEPslEEPfsNS7_8EqualityENS7_3SumENS0_19lookback_scan_stateINS_5tupleIJibEEELb1ELb1EEEiEEvT2_T3_T4_T5_T6_T7_T8_mmmPKNSH_IJT9_bEEE.kd
    .uniform_work_group_size: 1
    .uses_dynamic_stack: false
    .vgpr_count:     0
    .vgpr_spill_count: 0
    .wavefront_size: 64
  - .agpr_count:     0
    .args:
      - .address_space:  global
        .offset:         0
        .size:           8
        .value_kind:     global_buffer
      - .offset:         8
        .size:           16
        .value_kind:     by_value
      - .address_space:  global
        .offset:         24
        .size:           8
        .value_kind:     global_buffer
      - .offset:         32
        .size:           2
        .value_kind:     by_value
      - .offset:         34
        .size:           1
        .value_kind:     by_value
      - .offset:         35
        .size:           1
        .value_kind:     by_value
      - .address_space:  global
        .offset:         40
        .size:           8
        .value_kind:     global_buffer
      - .offset:         48
        .size:           8
        .value_kind:     by_value
      - .offset:         56
        .size:           8
        .value_kind:     by_value
      - .offset:         64
        .size:           8
        .value_kind:     by_value
      - .address_space:  global
        .offset:         72
        .size:           8
        .value_kind:     global_buffer
    .group_segment_fixed_size: 16384
    .kernarg_segment_align: 8
    .kernarg_segment_size: 80
    .language:       OpenCL C
    .language_version:
      - 2
      - 0
    .max_flat_workgroup_size: 256
    .name:           _ZN7rocprim6detail25device_scan_by_key_kernelILNS0_25lookback_scan_determinismE0ELb0ENS0_26wrapped_scan_by_key_configINS_14default_configEiiEEPiN6hipcub22TransformInputIteratorIsNS7_6CastOpIsEEPslEEPfsNS7_8EqualityENS7_3SumENS0_19lookback_scan_stateINS_5tupleIJibEEELb0ELb1EEEiEEvT2_T3_T4_T5_T6_T7_T8_mmmPKNSH_IJT9_bEEE
    .private_segment_fixed_size: 0
    .sgpr_count:     60
    .sgpr_spill_count: 0
    .symbol:         _ZN7rocprim6detail25device_scan_by_key_kernelILNS0_25lookback_scan_determinismE0ELb0ENS0_26wrapped_scan_by_key_configINS_14default_configEiiEEPiN6hipcub22TransformInputIteratorIsNS7_6CastOpIsEEPslEEPfsNS7_8EqualityENS7_3SumENS0_19lookback_scan_stateINS_5tupleIJibEEELb0ELb1EEEiEEvT2_T3_T4_T5_T6_T7_T8_mmmPKNSH_IJT9_bEEE.kd
    .uniform_work_group_size: 1
    .uses_dynamic_stack: false
    .vgpr_count:     63
    .vgpr_spill_count: 0
    .wavefront_size: 64
  - .agpr_count:     0
    .args:
      - .address_space:  global
        .offset:         0
        .size:           8
        .value_kind:     global_buffer
      - .offset:         8
        .size:           4
        .value_kind:     by_value
      - .offset:         12
        .size:           4
        .value_kind:     by_value
      - .address_space:  global
        .offset:         16
        .size:           8
        .value_kind:     global_buffer
      - .offset:         24
        .size:           4
        .value_kind:     hidden_block_count_x
      - .offset:         28
        .size:           4
        .value_kind:     hidden_block_count_y
      - .offset:         32
        .size:           4
        .value_kind:     hidden_block_count_z
      - .offset:         36
        .size:           2
        .value_kind:     hidden_group_size_x
      - .offset:         38
        .size:           2
        .value_kind:     hidden_group_size_y
      - .offset:         40
        .size:           2
        .value_kind:     hidden_group_size_z
      - .offset:         42
        .size:           2
        .value_kind:     hidden_remainder_x
      - .offset:         44
        .size:           2
        .value_kind:     hidden_remainder_y
      - .offset:         46
        .size:           2
        .value_kind:     hidden_remainder_z
      - .offset:         64
        .size:           8
        .value_kind:     hidden_global_offset_x
      - .offset:         72
        .size:           8
        .value_kind:     hidden_global_offset_y
      - .offset:         80
        .size:           8
        .value_kind:     hidden_global_offset_z
      - .offset:         88
        .size:           2
        .value_kind:     hidden_grid_dims
    .group_segment_fixed_size: 0
    .kernarg_segment_align: 8
    .kernarg_segment_size: 280
    .language:       OpenCL C
    .language_version:
      - 2
      - 0
    .max_flat_workgroup_size: 256
    .name:           _ZN7rocprim6detail31init_lookback_scan_state_kernelINS0_19lookback_scan_stateINS_5tupleIJsbEEELb1ELb1EEEEEvT_jjPNS6_10value_typeE
    .private_segment_fixed_size: 0
    .sgpr_count:     16
    .sgpr_spill_count: 0
    .symbol:         _ZN7rocprim6detail31init_lookback_scan_state_kernelINS0_19lookback_scan_stateINS_5tupleIJsbEEELb1ELb1EEEEEvT_jjPNS6_10value_typeE.kd
    .uniform_work_group_size: 1
    .uses_dynamic_stack: false
    .vgpr_count:     6
    .vgpr_spill_count: 0
    .wavefront_size: 64
  - .agpr_count:     0
    .args:
      - .address_space:  global
        .offset:         0
        .size:           8
        .value_kind:     global_buffer
      - .offset:         8
        .size:           4
        .value_kind:     by_value
      - .offset:         12
        .size:           4
        .value_kind:     by_value
      - .address_space:  global
        .offset:         16
        .size:           8
        .value_kind:     global_buffer
      - .offset:         24
        .size:           4
        .value_kind:     hidden_block_count_x
      - .offset:         28
        .size:           4
        .value_kind:     hidden_block_count_y
      - .offset:         32
        .size:           4
        .value_kind:     hidden_block_count_z
      - .offset:         36
        .size:           2
        .value_kind:     hidden_group_size_x
      - .offset:         38
        .size:           2
        .value_kind:     hidden_group_size_y
      - .offset:         40
        .size:           2
        .value_kind:     hidden_group_size_z
      - .offset:         42
        .size:           2
        .value_kind:     hidden_remainder_x
      - .offset:         44
        .size:           2
        .value_kind:     hidden_remainder_y
      - .offset:         46
        .size:           2
        .value_kind:     hidden_remainder_z
      - .offset:         64
        .size:           8
        .value_kind:     hidden_global_offset_x
      - .offset:         72
        .size:           8
        .value_kind:     hidden_global_offset_y
      - .offset:         80
        .size:           8
        .value_kind:     hidden_global_offset_z
      - .offset:         88
        .size:           2
        .value_kind:     hidden_grid_dims
    .group_segment_fixed_size: 0
    .kernarg_segment_align: 8
    .kernarg_segment_size: 280
    .language:       OpenCL C
    .language_version:
      - 2
      - 0
    .max_flat_workgroup_size: 256
    .name:           _ZN7rocprim6detail31init_lookback_scan_state_kernelINS0_19lookback_scan_stateINS_5tupleIJsbEEELb0ELb1EEEEEvT_jjPNS6_10value_typeE
    .private_segment_fixed_size: 0
    .sgpr_count:     14
    .sgpr_spill_count: 0
    .symbol:         _ZN7rocprim6detail31init_lookback_scan_state_kernelINS0_19lookback_scan_stateINS_5tupleIJsbEEELb0ELb1EEEEEvT_jjPNS6_10value_typeE.kd
    .uniform_work_group_size: 1
    .uses_dynamic_stack: false
    .vgpr_count:     6
    .vgpr_spill_count: 0
    .wavefront_size: 64
  - .agpr_count:     0
    .args:
      - .address_space:  global
        .offset:         0
        .size:           8
        .value_kind:     global_buffer
      - .offset:         8
        .size:           16
        .value_kind:     by_value
      - .address_space:  global
        .offset:         24
        .size:           8
        .value_kind:     global_buffer
      - .offset:         32
        .size:           2
        .value_kind:     by_value
      - .offset:         34
        .size:           1
        .value_kind:     by_value
      - .offset:         35
        .size:           1
        .value_kind:     by_value
      - .address_space:  global
        .offset:         40
        .size:           8
        .value_kind:     global_buffer
      - .offset:         48
        .size:           8
        .value_kind:     by_value
      - .offset:         56
        .size:           8
        .value_kind:     by_value
      - .offset:         64
        .size:           8
        .value_kind:     by_value
      - .address_space:  global
        .offset:         72
        .size:           8
        .value_kind:     global_buffer
    .group_segment_fixed_size: 0
    .kernarg_segment_align: 8
    .kernarg_segment_size: 80
    .language:       OpenCL C
    .language_version:
      - 2
      - 0
    .max_flat_workgroup_size: 64
    .name:           _ZN7rocprim6detail25device_scan_by_key_kernelILNS0_25lookback_scan_determinismE0ELb0ENS0_26wrapped_scan_by_key_configINS_14default_configEisEEPiN6hipcub22TransformInputIteratorIsNS7_6CastOpIsEEPslEEPfsNS7_8EqualityENS7_3MaxENS0_19lookback_scan_stateINS_5tupleIJsbEEELb1ELb1EEEsEEvT2_T3_T4_T5_T6_T7_T8_mmmPKNSH_IJT9_bEEE
    .private_segment_fixed_size: 0
    .sgpr_count:     4
    .sgpr_spill_count: 0
    .symbol:         _ZN7rocprim6detail25device_scan_by_key_kernelILNS0_25lookback_scan_determinismE0ELb0ENS0_26wrapped_scan_by_key_configINS_14default_configEisEEPiN6hipcub22TransformInputIteratorIsNS7_6CastOpIsEEPslEEPfsNS7_8EqualityENS7_3MaxENS0_19lookback_scan_stateINS_5tupleIJsbEEELb1ELb1EEEsEEvT2_T3_T4_T5_T6_T7_T8_mmmPKNSH_IJT9_bEEE.kd
    .uniform_work_group_size: 1
    .uses_dynamic_stack: false
    .vgpr_count:     0
    .vgpr_spill_count: 0
    .wavefront_size: 64
  - .agpr_count:     0
    .args:
      - .address_space:  global
        .offset:         0
        .size:           8
        .value_kind:     global_buffer
      - .offset:         8
        .size:           16
        .value_kind:     by_value
      - .address_space:  global
        .offset:         24
        .size:           8
        .value_kind:     global_buffer
      - .offset:         32
        .size:           2
        .value_kind:     by_value
      - .offset:         34
        .size:           1
        .value_kind:     by_value
      - .offset:         35
        .size:           1
        .value_kind:     by_value
      - .address_space:  global
        .offset:         40
        .size:           8
        .value_kind:     global_buffer
      - .offset:         48
        .size:           8
        .value_kind:     by_value
      - .offset:         56
        .size:           8
        .value_kind:     by_value
      - .offset:         64
        .size:           8
        .value_kind:     by_value
      - .address_space:  global
        .offset:         72
        .size:           8
        .value_kind:     global_buffer
    .group_segment_fixed_size: 6656
    .kernarg_segment_align: 8
    .kernarg_segment_size: 80
    .language:       OpenCL C
    .language_version:
      - 2
      - 0
    .max_flat_workgroup_size: 64
    .name:           _ZN7rocprim6detail25device_scan_by_key_kernelILNS0_25lookback_scan_determinismE0ELb0ENS0_26wrapped_scan_by_key_configINS_14default_configEisEEPiN6hipcub22TransformInputIteratorIsNS7_6CastOpIsEEPslEEPfsNS7_8EqualityENS7_3MaxENS0_19lookback_scan_stateINS_5tupleIJsbEEELb0ELb1EEEsEEvT2_T3_T4_T5_T6_T7_T8_mmmPKNSH_IJT9_bEEE
    .private_segment_fixed_size: 0
    .sgpr_count:     80
    .sgpr_spill_count: 0
    .symbol:         _ZN7rocprim6detail25device_scan_by_key_kernelILNS0_25lookback_scan_determinismE0ELb0ENS0_26wrapped_scan_by_key_configINS_14default_configEisEEPiN6hipcub22TransformInputIteratorIsNS7_6CastOpIsEEPslEEPfsNS7_8EqualityENS7_3MaxENS0_19lookback_scan_stateINS_5tupleIJsbEEELb0ELb1EEEsEEvT2_T3_T4_T5_T6_T7_T8_mmmPKNSH_IJT9_bEEE.kd
    .uniform_work_group_size: 1
    .uses_dynamic_stack: false
    .vgpr_count:     58
    .vgpr_spill_count: 0
    .wavefront_size: 64
  - .agpr_count:     0
    .args:
      - .offset:         0
        .size:           24
        .value_kind:     by_value
      - .offset:         24
        .size:           4
        .value_kind:     by_value
      - .offset:         28
        .size:           4
        .value_kind:     by_value
      - .address_space:  global
        .offset:         32
        .size:           8
        .value_kind:     global_buffer
      - .offset:         40
        .size:           4
        .value_kind:     hidden_block_count_x
      - .offset:         44
        .size:           4
        .value_kind:     hidden_block_count_y
      - .offset:         48
        .size:           4
        .value_kind:     hidden_block_count_z
      - .offset:         52
        .size:           2
        .value_kind:     hidden_group_size_x
      - .offset:         54
        .size:           2
        .value_kind:     hidden_group_size_y
      - .offset:         56
        .size:           2
        .value_kind:     hidden_group_size_z
      - .offset:         58
        .size:           2
        .value_kind:     hidden_remainder_x
      - .offset:         60
        .size:           2
        .value_kind:     hidden_remainder_y
      - .offset:         62
        .size:           2
        .value_kind:     hidden_remainder_z
      - .offset:         80
        .size:           8
        .value_kind:     hidden_global_offset_x
      - .offset:         88
        .size:           8
        .value_kind:     hidden_global_offset_y
      - .offset:         96
        .size:           8
        .value_kind:     hidden_global_offset_z
      - .offset:         104
        .size:           2
        .value_kind:     hidden_grid_dims
    .group_segment_fixed_size: 0
    .kernarg_segment_align: 8
    .kernarg_segment_size: 296
    .language:       OpenCL C
    .language_version:
      - 2
      - 0
    .max_flat_workgroup_size: 256
    .name:           _ZN7rocprim6detail31init_lookback_scan_state_kernelINS0_19lookback_scan_stateINS_5tupleIJmbEEELb1ELb0EEEEEvT_jjPNS6_10value_typeE
    .private_segment_fixed_size: 0
    .sgpr_count:     22
    .sgpr_spill_count: 0
    .symbol:         _ZN7rocprim6detail31init_lookback_scan_state_kernelINS0_19lookback_scan_stateINS_5tupleIJmbEEELb1ELb0EEEEEvT_jjPNS6_10value_typeE.kd
    .uniform_work_group_size: 1
    .uses_dynamic_stack: false
    .vgpr_count:     5
    .vgpr_spill_count: 0
    .wavefront_size: 64
  - .agpr_count:     0
    .args:
      - .offset:         0
        .size:           24
        .value_kind:     by_value
      - .offset:         24
        .size:           4
        .value_kind:     by_value
      - .offset:         28
        .size:           4
        .value_kind:     by_value
      - .address_space:  global
        .offset:         32
        .size:           8
        .value_kind:     global_buffer
      - .offset:         40
        .size:           4
        .value_kind:     hidden_block_count_x
      - .offset:         44
        .size:           4
        .value_kind:     hidden_block_count_y
      - .offset:         48
        .size:           4
        .value_kind:     hidden_block_count_z
      - .offset:         52
        .size:           2
        .value_kind:     hidden_group_size_x
      - .offset:         54
        .size:           2
        .value_kind:     hidden_group_size_y
      - .offset:         56
        .size:           2
        .value_kind:     hidden_group_size_z
      - .offset:         58
        .size:           2
        .value_kind:     hidden_remainder_x
      - .offset:         60
        .size:           2
        .value_kind:     hidden_remainder_y
      - .offset:         62
        .size:           2
        .value_kind:     hidden_remainder_z
      - .offset:         80
        .size:           8
        .value_kind:     hidden_global_offset_x
      - .offset:         88
        .size:           8
        .value_kind:     hidden_global_offset_y
      - .offset:         96
        .size:           8
        .value_kind:     hidden_global_offset_z
      - .offset:         104
        .size:           2
        .value_kind:     hidden_grid_dims
    .group_segment_fixed_size: 0
    .kernarg_segment_align: 8
    .kernarg_segment_size: 296
    .language:       OpenCL C
    .language_version:
      - 2
      - 0
    .max_flat_workgroup_size: 256
    .name:           _ZN7rocprim6detail31init_lookback_scan_state_kernelINS0_19lookback_scan_stateINS_5tupleIJmbEEELb0ELb0EEEEEvT_jjPNS6_10value_typeE
    .private_segment_fixed_size: 0
    .sgpr_count:     20
    .sgpr_spill_count: 0
    .symbol:         _ZN7rocprim6detail31init_lookback_scan_state_kernelINS0_19lookback_scan_stateINS_5tupleIJmbEEELb0ELb0EEEEEvT_jjPNS6_10value_typeE.kd
    .uniform_work_group_size: 1
    .uses_dynamic_stack: false
    .vgpr_count:     5
    .vgpr_spill_count: 0
    .wavefront_size: 64
  - .agpr_count:     0
    .args:
      - .address_space:  global
        .offset:         0
        .size:           8
        .value_kind:     global_buffer
      - .offset:         8
        .size:           16
        .value_kind:     by_value
      - .address_space:  global
        .offset:         24
        .size:           8
        .value_kind:     global_buffer
      - .offset:         32
        .size:           8
        .value_kind:     by_value
      - .offset:         40
        .size:           1
        .value_kind:     by_value
      - .offset:         41
        .size:           1
        .value_kind:     by_value
      - .offset:         48
        .size:           24
        .value_kind:     by_value
      - .offset:         72
        .size:           8
        .value_kind:     by_value
      - .offset:         80
        .size:           8
        .value_kind:     by_value
      - .offset:         88
        .size:           8
        .value_kind:     by_value
      - .address_space:  global
        .offset:         96
        .size:           8
        .value_kind:     global_buffer
    .group_segment_fixed_size: 0
    .kernarg_segment_align: 8
    .kernarg_segment_size: 104
    .language:       OpenCL C
    .language_version:
      - 2
      - 0
    .max_flat_workgroup_size: 64
    .name:           _ZN7rocprim6detail25device_scan_by_key_kernelILNS0_25lookback_scan_determinismE0ELb0ENS0_26wrapped_scan_by_key_configINS_14default_configEimEEPiN6hipcub22TransformInputIteratorImNS7_6CastOpImEEPmlEESB_mNS7_8EqualityENS7_3SumENS0_19lookback_scan_stateINS_5tupleIJmbEEELb1ELb0EEEmEEvT2_T3_T4_T5_T6_T7_T8_mmmPKNSG_IJT9_bEEE
    .private_segment_fixed_size: 0
    .sgpr_count:     4
    .sgpr_spill_count: 0
    .symbol:         _ZN7rocprim6detail25device_scan_by_key_kernelILNS0_25lookback_scan_determinismE0ELb0ENS0_26wrapped_scan_by_key_configINS_14default_configEimEEPiN6hipcub22TransformInputIteratorImNS7_6CastOpImEEPmlEESB_mNS7_8EqualityENS7_3SumENS0_19lookback_scan_stateINS_5tupleIJmbEEELb1ELb0EEEmEEvT2_T3_T4_T5_T6_T7_T8_mmmPKNSG_IJT9_bEEE.kd
    .uniform_work_group_size: 1
    .uses_dynamic_stack: false
    .vgpr_count:     0
    .vgpr_spill_count: 0
    .wavefront_size: 64
  - .agpr_count:     0
    .args:
      - .address_space:  global
        .offset:         0
        .size:           8
        .value_kind:     global_buffer
      - .offset:         8
        .size:           16
        .value_kind:     by_value
      - .address_space:  global
        .offset:         24
        .size:           8
        .value_kind:     global_buffer
      - .offset:         32
        .size:           8
        .value_kind:     by_value
      - .offset:         40
        .size:           1
        .value_kind:     by_value
      - .offset:         41
        .size:           1
        .value_kind:     by_value
      - .offset:         48
        .size:           24
        .value_kind:     by_value
      - .offset:         72
        .size:           8
        .value_kind:     by_value
      - .offset:         80
        .size:           8
        .value_kind:     by_value
      - .offset:         88
        .size:           8
        .value_kind:     by_value
      - .address_space:  global
        .offset:         96
        .size:           8
        .value_kind:     global_buffer
    .group_segment_fixed_size: 10752
    .kernarg_segment_align: 8
    .kernarg_segment_size: 104
    .language:       OpenCL C
    .language_version:
      - 2
      - 0
    .max_flat_workgroup_size: 64
    .name:           _ZN7rocprim6detail25device_scan_by_key_kernelILNS0_25lookback_scan_determinismE0ELb0ENS0_26wrapped_scan_by_key_configINS_14default_configEimEEPiN6hipcub22TransformInputIteratorImNS7_6CastOpImEEPmlEESB_mNS7_8EqualityENS7_3SumENS0_19lookback_scan_stateINS_5tupleIJmbEEELb0ELb0EEEmEEvT2_T3_T4_T5_T6_T7_T8_mmmPKNSG_IJT9_bEEE
    .private_segment_fixed_size: 0
    .sgpr_count:     98
    .sgpr_spill_count: 0
    .symbol:         _ZN7rocprim6detail25device_scan_by_key_kernelILNS0_25lookback_scan_determinismE0ELb0ENS0_26wrapped_scan_by_key_configINS_14default_configEimEEPiN6hipcub22TransformInputIteratorImNS7_6CastOpImEEPmlEESB_mNS7_8EqualityENS7_3SumENS0_19lookback_scan_stateINS_5tupleIJmbEEELb0ELb0EEEmEEvT2_T3_T4_T5_T6_T7_T8_mmmPKNSG_IJT9_bEEE.kd
    .uniform_work_group_size: 1
    .uses_dynamic_stack: false
    .vgpr_count:     133
    .vgpr_spill_count: 0
    .wavefront_size: 64
  - .agpr_count:     0
    .args:
      - .offset:         0
        .size:           24
        .value_kind:     by_value
      - .offset:         24
        .size:           4
        .value_kind:     by_value
      - .offset:         28
        .size:           4
        .value_kind:     by_value
      - .address_space:  global
        .offset:         32
        .size:           8
        .value_kind:     global_buffer
      - .offset:         40
        .size:           4
        .value_kind:     hidden_block_count_x
      - .offset:         44
        .size:           4
        .value_kind:     hidden_block_count_y
      - .offset:         48
        .size:           4
        .value_kind:     hidden_block_count_z
      - .offset:         52
        .size:           2
        .value_kind:     hidden_group_size_x
      - .offset:         54
        .size:           2
        .value_kind:     hidden_group_size_y
      - .offset:         56
        .size:           2
        .value_kind:     hidden_group_size_z
      - .offset:         58
        .size:           2
        .value_kind:     hidden_remainder_x
      - .offset:         60
        .size:           2
        .value_kind:     hidden_remainder_y
      - .offset:         62
        .size:           2
        .value_kind:     hidden_remainder_z
      - .offset:         80
        .size:           8
        .value_kind:     hidden_global_offset_x
      - .offset:         88
        .size:           8
        .value_kind:     hidden_global_offset_y
      - .offset:         96
        .size:           8
        .value_kind:     hidden_global_offset_z
      - .offset:         104
        .size:           2
        .value_kind:     hidden_grid_dims
    .group_segment_fixed_size: 0
    .kernarg_segment_align: 8
    .kernarg_segment_size: 296
    .language:       OpenCL C
    .language_version:
      - 2
      - 0
    .max_flat_workgroup_size: 256
    .name:           _ZN7rocprim6detail31init_lookback_scan_state_kernelINS0_19lookback_scan_stateINS_5tupleIJybEEELb1ELb0EEEEEvT_jjPNS6_10value_typeE
    .private_segment_fixed_size: 0
    .sgpr_count:     22
    .sgpr_spill_count: 0
    .symbol:         _ZN7rocprim6detail31init_lookback_scan_state_kernelINS0_19lookback_scan_stateINS_5tupleIJybEEELb1ELb0EEEEEvT_jjPNS6_10value_typeE.kd
    .uniform_work_group_size: 1
    .uses_dynamic_stack: false
    .vgpr_count:     5
    .vgpr_spill_count: 0
    .wavefront_size: 64
  - .agpr_count:     0
    .args:
      - .offset:         0
        .size:           24
        .value_kind:     by_value
      - .offset:         24
        .size:           4
        .value_kind:     by_value
      - .offset:         28
        .size:           4
        .value_kind:     by_value
      - .address_space:  global
        .offset:         32
        .size:           8
        .value_kind:     global_buffer
      - .offset:         40
        .size:           4
        .value_kind:     hidden_block_count_x
      - .offset:         44
        .size:           4
        .value_kind:     hidden_block_count_y
      - .offset:         48
        .size:           4
        .value_kind:     hidden_block_count_z
      - .offset:         52
        .size:           2
        .value_kind:     hidden_group_size_x
      - .offset:         54
        .size:           2
        .value_kind:     hidden_group_size_y
      - .offset:         56
        .size:           2
        .value_kind:     hidden_group_size_z
      - .offset:         58
        .size:           2
        .value_kind:     hidden_remainder_x
      - .offset:         60
        .size:           2
        .value_kind:     hidden_remainder_y
      - .offset:         62
        .size:           2
        .value_kind:     hidden_remainder_z
      - .offset:         80
        .size:           8
        .value_kind:     hidden_global_offset_x
      - .offset:         88
        .size:           8
        .value_kind:     hidden_global_offset_y
      - .offset:         96
        .size:           8
        .value_kind:     hidden_global_offset_z
      - .offset:         104
        .size:           2
        .value_kind:     hidden_grid_dims
    .group_segment_fixed_size: 0
    .kernarg_segment_align: 8
    .kernarg_segment_size: 296
    .language:       OpenCL C
    .language_version:
      - 2
      - 0
    .max_flat_workgroup_size: 256
    .name:           _ZN7rocprim6detail31init_lookback_scan_state_kernelINS0_19lookback_scan_stateINS_5tupleIJybEEELb0ELb0EEEEEvT_jjPNS6_10value_typeE
    .private_segment_fixed_size: 0
    .sgpr_count:     20
    .sgpr_spill_count: 0
    .symbol:         _ZN7rocprim6detail31init_lookback_scan_state_kernelINS0_19lookback_scan_stateINS_5tupleIJybEEELb0ELb0EEEEEvT_jjPNS6_10value_typeE.kd
    .uniform_work_group_size: 1
    .uses_dynamic_stack: false
    .vgpr_count:     5
    .vgpr_spill_count: 0
    .wavefront_size: 64
  - .agpr_count:     0
    .args:
      - .address_space:  global
        .offset:         0
        .size:           8
        .value_kind:     global_buffer
      - .offset:         8
        .size:           16
        .value_kind:     by_value
      - .address_space:  global
        .offset:         24
        .size:           8
        .value_kind:     global_buffer
      - .offset:         32
        .size:           8
        .value_kind:     by_value
      - .offset:         40
        .size:           1
        .value_kind:     by_value
      - .offset:         41
        .size:           1
        .value_kind:     by_value
      - .offset:         48
        .size:           24
        .value_kind:     by_value
      - .offset:         72
        .size:           8
        .value_kind:     by_value
      - .offset:         80
        .size:           8
        .value_kind:     by_value
      - .offset:         88
        .size:           8
        .value_kind:     by_value
      - .address_space:  global
        .offset:         96
        .size:           8
        .value_kind:     global_buffer
    .group_segment_fixed_size: 0
    .kernarg_segment_align: 8
    .kernarg_segment_size: 104
    .language:       OpenCL C
    .language_version:
      - 2
      - 0
    .max_flat_workgroup_size: 64
    .name:           _ZN7rocprim6detail25device_scan_by_key_kernelILNS0_25lookback_scan_determinismE0ELb0ENS0_26wrapped_scan_by_key_configINS_14default_configEiyEEPiN6hipcub22TransformInputIteratorIyNS7_6CastOpIyEEPylEESB_yNS7_8EqualityENS7_3SumENS0_19lookback_scan_stateINS_5tupleIJybEEELb1ELb0EEEyEEvT2_T3_T4_T5_T6_T7_T8_mmmPKNSG_IJT9_bEEE
    .private_segment_fixed_size: 0
    .sgpr_count:     4
    .sgpr_spill_count: 0
    .symbol:         _ZN7rocprim6detail25device_scan_by_key_kernelILNS0_25lookback_scan_determinismE0ELb0ENS0_26wrapped_scan_by_key_configINS_14default_configEiyEEPiN6hipcub22TransformInputIteratorIyNS7_6CastOpIyEEPylEESB_yNS7_8EqualityENS7_3SumENS0_19lookback_scan_stateINS_5tupleIJybEEELb1ELb0EEEyEEvT2_T3_T4_T5_T6_T7_T8_mmmPKNSG_IJT9_bEEE.kd
    .uniform_work_group_size: 1
    .uses_dynamic_stack: false
    .vgpr_count:     0
    .vgpr_spill_count: 0
    .wavefront_size: 64
  - .agpr_count:     0
    .args:
      - .address_space:  global
        .offset:         0
        .size:           8
        .value_kind:     global_buffer
      - .offset:         8
        .size:           16
        .value_kind:     by_value
      - .address_space:  global
        .offset:         24
        .size:           8
        .value_kind:     global_buffer
      - .offset:         32
        .size:           8
        .value_kind:     by_value
      - .offset:         40
        .size:           1
        .value_kind:     by_value
      - .offset:         41
        .size:           1
        .value_kind:     by_value
      - .offset:         48
        .size:           24
        .value_kind:     by_value
      - .offset:         72
        .size:           8
        .value_kind:     by_value
      - .offset:         80
        .size:           8
        .value_kind:     by_value
      - .offset:         88
        .size:           8
        .value_kind:     by_value
      - .address_space:  global
        .offset:         96
        .size:           8
        .value_kind:     global_buffer
    .group_segment_fixed_size: 10752
    .kernarg_segment_align: 8
    .kernarg_segment_size: 104
    .language:       OpenCL C
    .language_version:
      - 2
      - 0
    .max_flat_workgroup_size: 64
    .name:           _ZN7rocprim6detail25device_scan_by_key_kernelILNS0_25lookback_scan_determinismE0ELb0ENS0_26wrapped_scan_by_key_configINS_14default_configEiyEEPiN6hipcub22TransformInputIteratorIyNS7_6CastOpIyEEPylEESB_yNS7_8EqualityENS7_3SumENS0_19lookback_scan_stateINS_5tupleIJybEEELb0ELb0EEEyEEvT2_T3_T4_T5_T6_T7_T8_mmmPKNSG_IJT9_bEEE
    .private_segment_fixed_size: 0
    .sgpr_count:     98
    .sgpr_spill_count: 0
    .symbol:         _ZN7rocprim6detail25device_scan_by_key_kernelILNS0_25lookback_scan_determinismE0ELb0ENS0_26wrapped_scan_by_key_configINS_14default_configEiyEEPiN6hipcub22TransformInputIteratorIyNS7_6CastOpIyEEPylEESB_yNS7_8EqualityENS7_3SumENS0_19lookback_scan_stateINS_5tupleIJybEEELb0ELb0EEEyEEvT2_T3_T4_T5_T6_T7_T8_mmmPKNSG_IJT9_bEEE.kd
    .uniform_work_group_size: 1
    .uses_dynamic_stack: false
    .vgpr_count:     133
    .vgpr_spill_count: 0
    .wavefront_size: 64
  - .agpr_count:     0
    .args:
      - .address_space:  global
        .offset:         0
        .size:           8
        .value_kind:     global_buffer
      - .offset:         8
        .size:           16
        .value_kind:     by_value
      - .address_space:  global
        .offset:         24
        .size:           8
        .value_kind:     global_buffer
      - .offset:         32
        .size:           8
        .value_kind:     by_value
      - .offset:         40
        .size:           1
        .value_kind:     by_value
      - .offset:         41
        .size:           1
        .value_kind:     by_value
      - .offset:         48
        .size:           24
        .value_kind:     by_value
      - .offset:         72
        .size:           8
        .value_kind:     by_value
      - .offset:         80
        .size:           8
        .value_kind:     by_value
      - .offset:         88
        .size:           8
        .value_kind:     by_value
      - .address_space:  global
        .offset:         96
        .size:           8
        .value_kind:     global_buffer
    .group_segment_fixed_size: 0
    .kernarg_segment_align: 8
    .kernarg_segment_size: 104
    .language:       OpenCL C
    .language_version:
      - 2
      - 0
    .max_flat_workgroup_size: 64
    .name:           _ZN7rocprim6detail25device_scan_by_key_kernelILNS0_25lookback_scan_determinismE0ELb0ENS0_26wrapped_scan_by_key_configINS_14default_configEiyEEPiN6hipcub22TransformInputIteratorIyNS7_6CastOpIyEEPylEESB_yNS7_8EqualityENS7_3MinENS0_19lookback_scan_stateINS_5tupleIJybEEELb1ELb0EEEyEEvT2_T3_T4_T5_T6_T7_T8_mmmPKNSG_IJT9_bEEE
    .private_segment_fixed_size: 0
    .sgpr_count:     4
    .sgpr_spill_count: 0
    .symbol:         _ZN7rocprim6detail25device_scan_by_key_kernelILNS0_25lookback_scan_determinismE0ELb0ENS0_26wrapped_scan_by_key_configINS_14default_configEiyEEPiN6hipcub22TransformInputIteratorIyNS7_6CastOpIyEEPylEESB_yNS7_8EqualityENS7_3MinENS0_19lookback_scan_stateINS_5tupleIJybEEELb1ELb0EEEyEEvT2_T3_T4_T5_T6_T7_T8_mmmPKNSG_IJT9_bEEE.kd
    .uniform_work_group_size: 1
    .uses_dynamic_stack: false
    .vgpr_count:     0
    .vgpr_spill_count: 0
    .wavefront_size: 64
  - .agpr_count:     0
    .args:
      - .address_space:  global
        .offset:         0
        .size:           8
        .value_kind:     global_buffer
      - .offset:         8
        .size:           16
        .value_kind:     by_value
      - .address_space:  global
        .offset:         24
        .size:           8
        .value_kind:     global_buffer
      - .offset:         32
        .size:           8
        .value_kind:     by_value
      - .offset:         40
        .size:           1
        .value_kind:     by_value
      - .offset:         41
        .size:           1
        .value_kind:     by_value
      - .offset:         48
        .size:           24
        .value_kind:     by_value
      - .offset:         72
        .size:           8
        .value_kind:     by_value
      - .offset:         80
        .size:           8
        .value_kind:     by_value
      - .offset:         88
        .size:           8
        .value_kind:     by_value
      - .address_space:  global
        .offset:         96
        .size:           8
        .value_kind:     global_buffer
    .group_segment_fixed_size: 10752
    .kernarg_segment_align: 8
    .kernarg_segment_size: 104
    .language:       OpenCL C
    .language_version:
      - 2
      - 0
    .max_flat_workgroup_size: 64
    .name:           _ZN7rocprim6detail25device_scan_by_key_kernelILNS0_25lookback_scan_determinismE0ELb0ENS0_26wrapped_scan_by_key_configINS_14default_configEiyEEPiN6hipcub22TransformInputIteratorIyNS7_6CastOpIyEEPylEESB_yNS7_8EqualityENS7_3MinENS0_19lookback_scan_stateINS_5tupleIJybEEELb0ELb0EEEyEEvT2_T3_T4_T5_T6_T7_T8_mmmPKNSG_IJT9_bEEE
    .private_segment_fixed_size: 0
    .sgpr_count:     98
    .sgpr_spill_count: 0
    .symbol:         _ZN7rocprim6detail25device_scan_by_key_kernelILNS0_25lookback_scan_determinismE0ELb0ENS0_26wrapped_scan_by_key_configINS_14default_configEiyEEPiN6hipcub22TransformInputIteratorIyNS7_6CastOpIyEEPylEESB_yNS7_8EqualityENS7_3MinENS0_19lookback_scan_stateINS_5tupleIJybEEELb0ELb0EEEyEEvT2_T3_T4_T5_T6_T7_T8_mmmPKNSG_IJT9_bEEE.kd
    .uniform_work_group_size: 1
    .uses_dynamic_stack: false
    .vgpr_count:     137
    .vgpr_spill_count: 0
    .wavefront_size: 64
  - .agpr_count:     0
    .args:
      - .offset:         0
        .size:           16
        .value_kind:     by_value
      - .address_space:  global
        .offset:         16
        .size:           8
        .value_kind:     global_buffer
      - .offset:         24
        .size:           8
        .value_kind:     by_value
      - .offset:         32
        .size:           4
        .value_kind:     by_value
      - .offset:         36
        .size:           1
        .value_kind:     by_value
      - .address_space:  global
        .offset:         40
        .size:           8
        .value_kind:     global_buffer
      - .offset:         48
        .size:           4
        .value_kind:     by_value
      - .address_space:  global
        .offset:         56
        .size:           8
        .value_kind:     global_buffer
      - .address_space:  global
        .offset:         64
        .size:           8
        .value_kind:     global_buffer
      - .offset:         72
        .size:           1
        .value_kind:     by_value
      - .offset:         73
        .size:           1
        .value_kind:     by_value
    .group_segment_fixed_size: 0
    .kernarg_segment_align: 8
    .kernarg_segment_size: 76
    .language:       OpenCL C
    .language_version:
      - 2
      - 0
    .max_flat_workgroup_size: 128
    .name:           _ZN7rocprim6detail20lookback_scan_kernelILNS0_25lookback_scan_determinismE0ELb1ENS0_19wrapped_scan_configINS_14default_configEiEEN6hipcub22TransformInputIteratorIiNS6_6CastOpIiEEPilEEPlNS6_3SumEiiNS0_19lookback_scan_stateIiLb1ELb1EEEEEvT2_T3_mT5_T4_T7_jPT6_SM_bb
    .private_segment_fixed_size: 0
    .sgpr_count:     4
    .sgpr_spill_count: 0
    .symbol:         _ZN7rocprim6detail20lookback_scan_kernelILNS0_25lookback_scan_determinismE0ELb1ENS0_19wrapped_scan_configINS_14default_configEiEEN6hipcub22TransformInputIteratorIiNS6_6CastOpIiEEPilEEPlNS6_3SumEiiNS0_19lookback_scan_stateIiLb1ELb1EEEEEvT2_T3_mT5_T4_T7_jPT6_SM_bb.kd
    .uniform_work_group_size: 1
    .uses_dynamic_stack: false
    .vgpr_count:     0
    .vgpr_spill_count: 0
    .wavefront_size: 64
  - .agpr_count:     0
    .args:
      - .offset:         0
        .size:           16
        .value_kind:     by_value
      - .address_space:  global
        .offset:         16
        .size:           8
        .value_kind:     global_buffer
      - .offset:         24
        .size:           8
        .value_kind:     by_value
      - .offset:         32
        .size:           4
        .value_kind:     by_value
      - .offset:         36
        .size:           1
        .value_kind:     by_value
      - .address_space:  global
        .offset:         40
        .size:           8
        .value_kind:     global_buffer
      - .offset:         48
        .size:           4
        .value_kind:     by_value
      - .address_space:  global
        .offset:         56
        .size:           8
        .value_kind:     global_buffer
      - .address_space:  global
        .offset:         64
        .size:           8
        .value_kind:     global_buffer
      - .offset:         72
        .size:           1
        .value_kind:     by_value
      - .offset:         73
        .size:           1
        .value_kind:     by_value
    .group_segment_fixed_size: 5120
    .kernarg_segment_align: 8
    .kernarg_segment_size: 76
    .language:       OpenCL C
    .language_version:
      - 2
      - 0
    .max_flat_workgroup_size: 128
    .name:           _ZN7rocprim6detail20lookback_scan_kernelILNS0_25lookback_scan_determinismE0ELb1ENS0_19wrapped_scan_configINS_14default_configEiEEN6hipcub22TransformInputIteratorIiNS6_6CastOpIiEEPilEEPlNS6_3SumEiiNS0_19lookback_scan_stateIiLb0ELb1EEEEEvT2_T3_mT5_T4_T7_jPT6_SM_bb
    .private_segment_fixed_size: 0
    .sgpr_count:     32
    .sgpr_spill_count: 0
    .symbol:         _ZN7rocprim6detail20lookback_scan_kernelILNS0_25lookback_scan_determinismE0ELb1ENS0_19wrapped_scan_configINS_14default_configEiEEN6hipcub22TransformInputIteratorIiNS6_6CastOpIiEEPilEEPlNS6_3SumEiiNS0_19lookback_scan_stateIiLb0ELb1EEEEEvT2_T3_mT5_T4_T7_jPT6_SM_bb.kd
    .uniform_work_group_size: 1
    .uses_dynamic_stack: false
    .vgpr_count:     41
    .vgpr_spill_count: 0
    .wavefront_size: 64
  - .agpr_count:     0
    .args:
      - .offset:         0
        .size:           16
        .value_kind:     by_value
      - .offset:         16
        .size:           8
        .value_kind:     by_value
      - .offset:         24
        .size:           4
        .value_kind:     by_value
      - .address_space:  global
        .offset:         32
        .size:           8
        .value_kind:     global_buffer
      - .offset:         40
        .size:           1
        .value_kind:     by_value
    .group_segment_fixed_size: 5120
    .kernarg_segment_align: 8
    .kernarg_segment_size: 44
    .language:       OpenCL C
    .language_version:
      - 2
      - 0
    .max_flat_workgroup_size: 128
    .name:           _ZN7rocprim6detail18single_scan_kernelILb1ENS0_19wrapped_scan_configINS_14default_configEiEEN6hipcub22TransformInputIteratorIiNS5_6CastOpIiEEPilEEPlNS5_3SumEiiEEvT1_mT4_T2_T3_
    .private_segment_fixed_size: 0
    .sgpr_count:     29
    .sgpr_spill_count: 0
    .symbol:         _ZN7rocprim6detail18single_scan_kernelILb1ENS0_19wrapped_scan_configINS_14default_configEiEEN6hipcub22TransformInputIteratorIiNS5_6CastOpIiEEPilEEPlNS5_3SumEiiEEvT1_mT4_T2_T3_.kd
    .uniform_work_group_size: 1
    .uses_dynamic_stack: false
    .vgpr_count:     19
    .vgpr_spill_count: 0
    .wavefront_size: 64
  - .agpr_count:     0
    .args:
      - .address_space:  global
        .offset:         0
        .size:           8
        .value_kind:     global_buffer
      - .address_space:  global
        .offset:         8
        .size:           8
        .value_kind:     global_buffer
      - .offset:         16
        .size:           8
        .value_kind:     by_value
      - .offset:         24
        .size:           2
        .value_kind:     by_value
      - .offset:         26
        .size:           1
        .value_kind:     by_value
      - .address_space:  global
        .offset:         32
        .size:           8
        .value_kind:     global_buffer
      - .offset:         40
        .size:           4
        .value_kind:     by_value
      - .address_space:  global
        .offset:         48
        .size:           8
        .value_kind:     global_buffer
      - .address_space:  global
        .offset:         56
        .size:           8
        .value_kind:     global_buffer
      - .offset:         64
        .size:           1
        .value_kind:     by_value
      - .offset:         65
        .size:           1
        .value_kind:     by_value
    .group_segment_fixed_size: 0
    .kernarg_segment_align: 8
    .kernarg_segment_size: 68
    .language:       OpenCL C
    .language_version:
      - 2
      - 0
    .max_flat_workgroup_size: 64
    .name:           _ZN7rocprim6detail20lookback_scan_kernelILNS0_25lookback_scan_determinismE0ELb1ENS0_19wrapped_scan_configINS_14default_configE6__halfEEPS5_S7_N6hipcub3MaxES5_S5_NS0_19lookback_scan_stateIS5_Lb1ELb1EEEEEvT2_T3_mT5_T4_T7_jPT6_SI_bb
    .private_segment_fixed_size: 0
    .sgpr_count:     4
    .sgpr_spill_count: 0
    .symbol:         _ZN7rocprim6detail20lookback_scan_kernelILNS0_25lookback_scan_determinismE0ELb1ENS0_19wrapped_scan_configINS_14default_configE6__halfEEPS5_S7_N6hipcub3MaxES5_S5_NS0_19lookback_scan_stateIS5_Lb1ELb1EEEEEvT2_T3_mT5_T4_T7_jPT6_SI_bb.kd
    .uniform_work_group_size: 1
    .uses_dynamic_stack: false
    .vgpr_count:     0
    .vgpr_spill_count: 0
    .wavefront_size: 64
  - .agpr_count:     0
    .args:
      - .address_space:  global
        .offset:         0
        .size:           8
        .value_kind:     global_buffer
      - .address_space:  global
        .offset:         8
        .size:           8
        .value_kind:     global_buffer
      - .offset:         16
        .size:           8
        .value_kind:     by_value
      - .offset:         24
        .size:           2
        .value_kind:     by_value
      - .offset:         26
        .size:           1
        .value_kind:     by_value
      - .address_space:  global
        .offset:         32
        .size:           8
        .value_kind:     global_buffer
      - .offset:         40
        .size:           4
        .value_kind:     by_value
      - .address_space:  global
        .offset:         48
        .size:           8
        .value_kind:     global_buffer
      - .address_space:  global
        .offset:         56
        .size:           8
        .value_kind:     global_buffer
      - .offset:         64
        .size:           1
        .value_kind:     by_value
      - .offset:         65
        .size:           1
        .value_kind:     by_value
    .group_segment_fixed_size: 3072
    .kernarg_segment_align: 8
    .kernarg_segment_size: 68
    .language:       OpenCL C
    .language_version:
      - 2
      - 0
    .max_flat_workgroup_size: 64
    .name:           _ZN7rocprim6detail20lookback_scan_kernelILNS0_25lookback_scan_determinismE0ELb1ENS0_19wrapped_scan_configINS_14default_configE6__halfEEPS5_S7_N6hipcub3MaxES5_S5_NS0_19lookback_scan_stateIS5_Lb0ELb1EEEEEvT2_T3_mT5_T4_T7_jPT6_SI_bb
    .private_segment_fixed_size: 0
    .sgpr_count:     36
    .sgpr_spill_count: 0
    .symbol:         _ZN7rocprim6detail20lookback_scan_kernelILNS0_25lookback_scan_determinismE0ELb1ENS0_19wrapped_scan_configINS_14default_configE6__halfEEPS5_S7_N6hipcub3MaxES5_S5_NS0_19lookback_scan_stateIS5_Lb0ELb1EEEEEvT2_T3_mT5_T4_T7_jPT6_SI_bb.kd
    .uniform_work_group_size: 1
    .uses_dynamic_stack: false
    .vgpr_count:     56
    .vgpr_spill_count: 0
    .wavefront_size: 64
  - .agpr_count:     0
    .args:
      - .address_space:  global
        .offset:         0
        .size:           8
        .value_kind:     global_buffer
      - .offset:         8
        .size:           8
        .value_kind:     by_value
      - .offset:         16
        .size:           2
        .value_kind:     by_value
      - .address_space:  global
        .offset:         24
        .size:           8
        .value_kind:     global_buffer
      - .offset:         32
        .size:           1
        .value_kind:     by_value
    .group_segment_fixed_size: 3072
    .kernarg_segment_align: 8
    .kernarg_segment_size: 36
    .language:       OpenCL C
    .language_version:
      - 2
      - 0
    .max_flat_workgroup_size: 64
    .name:           _ZN7rocprim6detail18single_scan_kernelILb1ENS0_19wrapped_scan_configINS_14default_configE6__halfEEPS4_S6_N6hipcub3MaxES4_S4_EEvT1_mT4_T2_T3_
    .private_segment_fixed_size: 0
    .sgpr_count:     58
    .sgpr_spill_count: 0
    .symbol:         _ZN7rocprim6detail18single_scan_kernelILb1ENS0_19wrapped_scan_configINS_14default_configE6__halfEEPS4_S6_N6hipcub3MaxES4_S4_EEvT1_mT4_T2_T3_.kd
    .uniform_work_group_size: 1
    .uses_dynamic_stack: false
    .vgpr_count:     31
    .vgpr_spill_count: 0
    .wavefront_size: 64
  - .agpr_count:     0
    .args:
      - .address_space:  global
        .offset:         0
        .size:           8
        .value_kind:     global_buffer
      - .address_space:  global
        .offset:         8
        .size:           8
        .value_kind:     global_buffer
      - .offset:         16
        .size:           8
        .value_kind:     by_value
      - .offset:         24
        .size:           2
        .value_kind:     by_value
      - .offset:         26
        .size:           1
        .value_kind:     by_value
      - .address_space:  global
        .offset:         32
        .size:           8
        .value_kind:     global_buffer
      - .offset:         40
        .size:           4
        .value_kind:     by_value
      - .address_space:  global
        .offset:         48
        .size:           8
        .value_kind:     global_buffer
      - .address_space:  global
        .offset:         56
        .size:           8
        .value_kind:     global_buffer
      - .offset:         64
        .size:           1
        .value_kind:     by_value
      - .offset:         65
        .size:           1
        .value_kind:     by_value
    .group_segment_fixed_size: 0
    .kernarg_segment_align: 8
    .kernarg_segment_size: 68
    .language:       OpenCL C
    .language_version:
      - 2
      - 0
    .max_flat_workgroup_size: 64
    .name:           _ZN7rocprim6detail20lookback_scan_kernelILNS0_25lookback_scan_determinismE0ELb1ENS0_19wrapped_scan_configINS_14default_configE12hip_bfloat16EEPS5_S7_N6hipcub3MaxES5_S5_NS0_19lookback_scan_stateIS5_Lb1ELb1EEEEEvT2_T3_mT5_T4_T7_jPT6_SI_bb
    .private_segment_fixed_size: 0
    .sgpr_count:     4
    .sgpr_spill_count: 0
    .symbol:         _ZN7rocprim6detail20lookback_scan_kernelILNS0_25lookback_scan_determinismE0ELb1ENS0_19wrapped_scan_configINS_14default_configE12hip_bfloat16EEPS5_S7_N6hipcub3MaxES5_S5_NS0_19lookback_scan_stateIS5_Lb1ELb1EEEEEvT2_T3_mT5_T4_T7_jPT6_SI_bb.kd
    .uniform_work_group_size: 1
    .uses_dynamic_stack: false
    .vgpr_count:     0
    .vgpr_spill_count: 0
    .wavefront_size: 64
  - .agpr_count:     0
    .args:
      - .address_space:  global
        .offset:         0
        .size:           8
        .value_kind:     global_buffer
      - .address_space:  global
        .offset:         8
        .size:           8
        .value_kind:     global_buffer
      - .offset:         16
        .size:           8
        .value_kind:     by_value
      - .offset:         24
        .size:           2
        .value_kind:     by_value
      - .offset:         26
        .size:           1
        .value_kind:     by_value
      - .address_space:  global
        .offset:         32
        .size:           8
        .value_kind:     global_buffer
      - .offset:         40
        .size:           4
        .value_kind:     by_value
      - .address_space:  global
        .offset:         48
        .size:           8
        .value_kind:     global_buffer
      - .address_space:  global
        .offset:         56
        .size:           8
        .value_kind:     global_buffer
      - .offset:         64
        .size:           1
        .value_kind:     by_value
      - .offset:         65
        .size:           1
        .value_kind:     by_value
    .group_segment_fixed_size: 3072
    .kernarg_segment_align: 8
    .kernarg_segment_size: 68
    .language:       OpenCL C
    .language_version:
      - 2
      - 0
    .max_flat_workgroup_size: 64
    .name:           _ZN7rocprim6detail20lookback_scan_kernelILNS0_25lookback_scan_determinismE0ELb1ENS0_19wrapped_scan_configINS_14default_configE12hip_bfloat16EEPS5_S7_N6hipcub3MaxES5_S5_NS0_19lookback_scan_stateIS5_Lb0ELb1EEEEEvT2_T3_mT5_T4_T7_jPT6_SI_bb
    .private_segment_fixed_size: 0
    .sgpr_count:     36
    .sgpr_spill_count: 0
    .symbol:         _ZN7rocprim6detail20lookback_scan_kernelILNS0_25lookback_scan_determinismE0ELb1ENS0_19wrapped_scan_configINS_14default_configE12hip_bfloat16EEPS5_S7_N6hipcub3MaxES5_S5_NS0_19lookback_scan_stateIS5_Lb0ELb1EEEEEvT2_T3_mT5_T4_T7_jPT6_SI_bb.kd
    .uniform_work_group_size: 1
    .uses_dynamic_stack: false
    .vgpr_count:     81
    .vgpr_spill_count: 0
    .wavefront_size: 64
  - .agpr_count:     0
    .args:
      - .address_space:  global
        .offset:         0
        .size:           8
        .value_kind:     global_buffer
      - .offset:         8
        .size:           8
        .value_kind:     by_value
      - .offset:         16
        .size:           2
        .value_kind:     by_value
      - .address_space:  global
        .offset:         24
        .size:           8
        .value_kind:     global_buffer
      - .offset:         32
        .size:           1
        .value_kind:     by_value
    .group_segment_fixed_size: 3072
    .kernarg_segment_align: 8
    .kernarg_segment_size: 36
    .language:       OpenCL C
    .language_version:
      - 2
      - 0
    .max_flat_workgroup_size: 64
    .name:           _ZN7rocprim6detail18single_scan_kernelILb1ENS0_19wrapped_scan_configINS_14default_configE12hip_bfloat16EEPS4_S6_N6hipcub3MaxES4_S4_EEvT1_mT4_T2_T3_
    .private_segment_fixed_size: 0
    .sgpr_count:     58
    .sgpr_spill_count: 0
    .symbol:         _ZN7rocprim6detail18single_scan_kernelILb1ENS0_19wrapped_scan_configINS_14default_configE12hip_bfloat16EEPS4_S6_N6hipcub3MaxES4_S4_EEvT1_mT4_T2_T3_.kd
    .uniform_work_group_size: 1
    .uses_dynamic_stack: false
    .vgpr_count:     56
    .vgpr_spill_count: 0
    .wavefront_size: 64
  - .agpr_count:     0
    .args:
      - .offset:         0
        .size:           16
        .value_kind:     by_value
      - .address_space:  global
        .offset:         16
        .size:           8
        .value_kind:     global_buffer
      - .offset:         24
        .size:           8
        .value_kind:     by_value
      - .offset:         32
        .size:           4
        .value_kind:     by_value
      - .offset:         36
        .size:           1
        .value_kind:     by_value
      - .address_space:  global
        .offset:         40
        .size:           8
        .value_kind:     global_buffer
      - .offset:         48
        .size:           4
        .value_kind:     by_value
      - .address_space:  global
        .offset:         56
        .size:           8
        .value_kind:     global_buffer
      - .address_space:  global
        .offset:         64
        .size:           8
        .value_kind:     global_buffer
      - .offset:         72
        .size:           1
        .value_kind:     by_value
      - .offset:         73
        .size:           1
        .value_kind:     by_value
    .group_segment_fixed_size: 0
    .kernarg_segment_align: 8
    .kernarg_segment_size: 76
    .language:       OpenCL C
    .language_version:
      - 2
      - 0
    .max_flat_workgroup_size: 128
    .name:           _ZN7rocprim6detail20lookback_scan_kernelILNS0_25lookback_scan_determinismE0ELb1ENS0_19wrapped_scan_configINS_14default_configEiEEN6hipcub22TransformInputIteratorIiNS6_6CastOpIiEEPilEEPdNS6_3SumEiiNS0_19lookback_scan_stateIiLb1ELb1EEEEEvT2_T3_mT5_T4_T7_jPT6_SM_bb
    .private_segment_fixed_size: 0
    .sgpr_count:     4
    .sgpr_spill_count: 0
    .symbol:         _ZN7rocprim6detail20lookback_scan_kernelILNS0_25lookback_scan_determinismE0ELb1ENS0_19wrapped_scan_configINS_14default_configEiEEN6hipcub22TransformInputIteratorIiNS6_6CastOpIiEEPilEEPdNS6_3SumEiiNS0_19lookback_scan_stateIiLb1ELb1EEEEEvT2_T3_mT5_T4_T7_jPT6_SM_bb.kd
    .uniform_work_group_size: 1
    .uses_dynamic_stack: false
    .vgpr_count:     0
    .vgpr_spill_count: 0
    .wavefront_size: 64
  - .agpr_count:     0
    .args:
      - .offset:         0
        .size:           16
        .value_kind:     by_value
      - .address_space:  global
        .offset:         16
        .size:           8
        .value_kind:     global_buffer
      - .offset:         24
        .size:           8
        .value_kind:     by_value
      - .offset:         32
        .size:           4
        .value_kind:     by_value
      - .offset:         36
        .size:           1
        .value_kind:     by_value
      - .address_space:  global
        .offset:         40
        .size:           8
        .value_kind:     global_buffer
      - .offset:         48
        .size:           4
        .value_kind:     by_value
      - .address_space:  global
        .offset:         56
        .size:           8
        .value_kind:     global_buffer
      - .address_space:  global
        .offset:         64
        .size:           8
        .value_kind:     global_buffer
      - .offset:         72
        .size:           1
        .value_kind:     by_value
      - .offset:         73
        .size:           1
        .value_kind:     by_value
    .group_segment_fixed_size: 5120
    .kernarg_segment_align: 8
    .kernarg_segment_size: 76
    .language:       OpenCL C
    .language_version:
      - 2
      - 0
    .max_flat_workgroup_size: 128
    .name:           _ZN7rocprim6detail20lookback_scan_kernelILNS0_25lookback_scan_determinismE0ELb1ENS0_19wrapped_scan_configINS_14default_configEiEEN6hipcub22TransformInputIteratorIiNS6_6CastOpIiEEPilEEPdNS6_3SumEiiNS0_19lookback_scan_stateIiLb0ELb1EEEEEvT2_T3_mT5_T4_T7_jPT6_SM_bb
    .private_segment_fixed_size: 0
    .sgpr_count:     32
    .sgpr_spill_count: 0
    .symbol:         _ZN7rocprim6detail20lookback_scan_kernelILNS0_25lookback_scan_determinismE0ELb1ENS0_19wrapped_scan_configINS_14default_configEiEEN6hipcub22TransformInputIteratorIiNS6_6CastOpIiEEPilEEPdNS6_3SumEiiNS0_19lookback_scan_stateIiLb0ELb1EEEEEvT2_T3_mT5_T4_T7_jPT6_SM_bb.kd
    .uniform_work_group_size: 1
    .uses_dynamic_stack: false
    .vgpr_count:     41
    .vgpr_spill_count: 0
    .wavefront_size: 64
  - .agpr_count:     0
    .args:
      - .offset:         0
        .size:           16
        .value_kind:     by_value
      - .offset:         16
        .size:           8
        .value_kind:     by_value
      - .offset:         24
        .size:           4
        .value_kind:     by_value
      - .address_space:  global
        .offset:         32
        .size:           8
        .value_kind:     global_buffer
      - .offset:         40
        .size:           1
        .value_kind:     by_value
    .group_segment_fixed_size: 5120
    .kernarg_segment_align: 8
    .kernarg_segment_size: 44
    .language:       OpenCL C
    .language_version:
      - 2
      - 0
    .max_flat_workgroup_size: 128
    .name:           _ZN7rocprim6detail18single_scan_kernelILb1ENS0_19wrapped_scan_configINS_14default_configEiEEN6hipcub22TransformInputIteratorIiNS5_6CastOpIiEEPilEEPdNS5_3SumEiiEEvT1_mT4_T2_T3_
    .private_segment_fixed_size: 0
    .sgpr_count:     29
    .sgpr_spill_count: 0
    .symbol:         _ZN7rocprim6detail18single_scan_kernelILb1ENS0_19wrapped_scan_configINS_14default_configEiEEN6hipcub22TransformInputIteratorIiNS5_6CastOpIiEEPilEEPdNS5_3SumEiiEEvT1_mT4_T2_T3_.kd
    .uniform_work_group_size: 1
    .uses_dynamic_stack: false
    .vgpr_count:     19
    .vgpr_spill_count: 0
    .wavefront_size: 64
  - .agpr_count:     0
    .args:
      - .offset:         0
        .size:           16
        .value_kind:     by_value
      - .address_space:  global
        .offset:         16
        .size:           8
        .value_kind:     global_buffer
      - .offset:         24
        .size:           8
        .value_kind:     by_value
      - .offset:         32
        .size:           2
        .value_kind:     by_value
      - .offset:         34
        .size:           1
        .value_kind:     by_value
      - .address_space:  global
        .offset:         40
        .size:           8
        .value_kind:     global_buffer
      - .offset:         48
        .size:           4
        .value_kind:     by_value
      - .address_space:  global
        .offset:         56
        .size:           8
        .value_kind:     global_buffer
      - .address_space:  global
        .offset:         64
        .size:           8
        .value_kind:     global_buffer
      - .offset:         72
        .size:           1
        .value_kind:     by_value
      - .offset:         73
        .size:           1
        .value_kind:     by_value
    .group_segment_fixed_size: 0
    .kernarg_segment_align: 8
    .kernarg_segment_size: 76
    .language:       OpenCL C
    .language_version:
      - 2
      - 0
    .max_flat_workgroup_size: 256
    .name:           _ZN7rocprim6detail20lookback_scan_kernelILNS0_25lookback_scan_determinismE0ELb1ENS0_19wrapped_scan_configINS_14default_configEsEEN6hipcub22TransformInputIteratorIsNS6_6CastOpIsEEPslEEPfNS6_3MaxEssNS0_19lookback_scan_stateIsLb1ELb1EEEEEvT2_T3_mT5_T4_T7_jPT6_SM_bb
    .private_segment_fixed_size: 0
    .sgpr_count:     4
    .sgpr_spill_count: 0
    .symbol:         _ZN7rocprim6detail20lookback_scan_kernelILNS0_25lookback_scan_determinismE0ELb1ENS0_19wrapped_scan_configINS_14default_configEsEEN6hipcub22TransformInputIteratorIsNS6_6CastOpIsEEPslEEPfNS6_3MaxEssNS0_19lookback_scan_stateIsLb1ELb1EEEEEvT2_T3_mT5_T4_T7_jPT6_SM_bb.kd
    .uniform_work_group_size: 1
    .uses_dynamic_stack: false
    .vgpr_count:     0
    .vgpr_spill_count: 0
    .wavefront_size: 64
  - .agpr_count:     0
    .args:
      - .offset:         0
        .size:           16
        .value_kind:     by_value
      - .address_space:  global
        .offset:         16
        .size:           8
        .value_kind:     global_buffer
      - .offset:         24
        .size:           8
        .value_kind:     by_value
      - .offset:         32
        .size:           2
        .value_kind:     by_value
      - .offset:         34
        .size:           1
        .value_kind:     by_value
      - .address_space:  global
        .offset:         40
        .size:           8
        .value_kind:     global_buffer
      - .offset:         48
        .size:           4
        .value_kind:     by_value
      - .address_space:  global
        .offset:         56
        .size:           8
        .value_kind:     global_buffer
      - .address_space:  global
        .offset:         64
        .size:           8
        .value_kind:     global_buffer
      - .offset:         72
        .size:           1
        .value_kind:     by_value
      - .offset:         73
        .size:           1
        .value_kind:     by_value
    .group_segment_fixed_size: 5120
    .kernarg_segment_align: 8
    .kernarg_segment_size: 76
    .language:       OpenCL C
    .language_version:
      - 2
      - 0
    .max_flat_workgroup_size: 256
    .name:           _ZN7rocprim6detail20lookback_scan_kernelILNS0_25lookback_scan_determinismE0ELb1ENS0_19wrapped_scan_configINS_14default_configEsEEN6hipcub22TransformInputIteratorIsNS6_6CastOpIsEEPslEEPfNS6_3MaxEssNS0_19lookback_scan_stateIsLb0ELb1EEEEEvT2_T3_mT5_T4_T7_jPT6_SM_bb
    .private_segment_fixed_size: 0
    .sgpr_count:     32
    .sgpr_spill_count: 0
    .symbol:         _ZN7rocprim6detail20lookback_scan_kernelILNS0_25lookback_scan_determinismE0ELb1ENS0_19wrapped_scan_configINS_14default_configEsEEN6hipcub22TransformInputIteratorIsNS6_6CastOpIsEEPslEEPfNS6_3MaxEssNS0_19lookback_scan_stateIsLb0ELb1EEEEEvT2_T3_mT5_T4_T7_jPT6_SM_bb.kd
    .uniform_work_group_size: 1
    .uses_dynamic_stack: false
    .vgpr_count:     41
    .vgpr_spill_count: 0
    .wavefront_size: 64
  - .agpr_count:     0
    .args:
      - .offset:         0
        .size:           16
        .value_kind:     by_value
      - .offset:         16
        .size:           8
        .value_kind:     by_value
      - .offset:         24
        .size:           2
        .value_kind:     by_value
      - .address_space:  global
        .offset:         32
        .size:           8
        .value_kind:     global_buffer
      - .offset:         40
        .size:           1
        .value_kind:     by_value
    .group_segment_fixed_size: 5120
    .kernarg_segment_align: 8
    .kernarg_segment_size: 44
    .language:       OpenCL C
    .language_version:
      - 2
      - 0
    .max_flat_workgroup_size: 256
    .name:           _ZN7rocprim6detail18single_scan_kernelILb1ENS0_19wrapped_scan_configINS_14default_configEsEEN6hipcub22TransformInputIteratorIsNS5_6CastOpIsEEPslEEPfNS5_3MaxEssEEvT1_mT4_T2_T3_
    .private_segment_fixed_size: 0
    .sgpr_count:     29
    .sgpr_spill_count: 0
    .symbol:         _ZN7rocprim6detail18single_scan_kernelILb1ENS0_19wrapped_scan_configINS_14default_configEsEEN6hipcub22TransformInputIteratorIsNS5_6CastOpIsEEPslEEPfNS5_3MaxEssEEvT1_mT4_T2_T3_.kd
    .uniform_work_group_size: 1
    .uses_dynamic_stack: false
    .vgpr_count:     21
    .vgpr_spill_count: 0
    .wavefront_size: 64
  - .agpr_count:     0
    .args:
      - .address_space:  global
        .offset:         0
        .size:           8
        .value_kind:     global_buffer
      - .address_space:  global
        .offset:         8
        .size:           8
        .value_kind:     global_buffer
      - .offset:         16
        .size:           8
        .value_kind:     by_value
      - .offset:         24
        .size:           8
        .value_kind:     by_value
      - .offset:         32
        .size:           1
        .value_kind:     by_value
      - .address_space:  global
        .offset:         40
        .size:           8
        .value_kind:     global_buffer
      - .offset:         48
        .size:           4
        .value_kind:     by_value
      - .address_space:  global
        .offset:         56
        .size:           8
        .value_kind:     global_buffer
      - .address_space:  global
        .offset:         64
        .size:           8
        .value_kind:     global_buffer
      - .offset:         72
        .size:           1
        .value_kind:     by_value
      - .offset:         73
        .size:           1
        .value_kind:     by_value
    .group_segment_fixed_size: 0
    .kernarg_segment_align: 8
    .kernarg_segment_size: 76
    .language:       OpenCL C
    .language_version:
      - 2
      - 0
    .max_flat_workgroup_size: 64
    .name:           _ZN7rocprim6detail20lookback_scan_kernelILNS0_25lookback_scan_determinismE0ELb1ENS0_19wrapped_scan_configINS_14default_configEmEEPmS6_N6hipcub3SumEmmNS0_19lookback_scan_stateImLb1ELb1EEEEEvT2_T3_mT5_T4_T7_jPT6_SH_bb
    .private_segment_fixed_size: 0
    .sgpr_count:     4
    .sgpr_spill_count: 0
    .symbol:         _ZN7rocprim6detail20lookback_scan_kernelILNS0_25lookback_scan_determinismE0ELb1ENS0_19wrapped_scan_configINS_14default_configEmEEPmS6_N6hipcub3SumEmmNS0_19lookback_scan_stateImLb1ELb1EEEEEvT2_T3_mT5_T4_T7_jPT6_SH_bb.kd
    .uniform_work_group_size: 1
    .uses_dynamic_stack: false
    .vgpr_count:     0
    .vgpr_spill_count: 0
    .wavefront_size: 64
  - .agpr_count:     0
    .args:
      - .address_space:  global
        .offset:         0
        .size:           8
        .value_kind:     global_buffer
      - .address_space:  global
        .offset:         8
        .size:           8
        .value_kind:     global_buffer
      - .offset:         16
        .size:           8
        .value_kind:     by_value
      - .offset:         24
        .size:           8
        .value_kind:     by_value
      - .offset:         32
        .size:           1
        .value_kind:     by_value
      - .address_space:  global
        .offset:         40
        .size:           8
        .value_kind:     global_buffer
      - .offset:         48
        .size:           4
        .value_kind:     by_value
      - .address_space:  global
        .offset:         56
        .size:           8
        .value_kind:     global_buffer
      - .address_space:  global
        .offset:         64
        .size:           8
        .value_kind:     global_buffer
      - .offset:         72
        .size:           1
        .value_kind:     by_value
      - .offset:         73
        .size:           1
        .value_kind:     by_value
    .group_segment_fixed_size: 10752
    .kernarg_segment_align: 8
    .kernarg_segment_size: 76
    .language:       OpenCL C
    .language_version:
      - 2
      - 0
    .max_flat_workgroup_size: 64
    .name:           _ZN7rocprim6detail20lookback_scan_kernelILNS0_25lookback_scan_determinismE0ELb1ENS0_19wrapped_scan_configINS_14default_configEmEEPmS6_N6hipcub3SumEmmNS0_19lookback_scan_stateImLb0ELb1EEEEEvT2_T3_mT5_T4_T7_jPT6_SH_bb
    .private_segment_fixed_size: 0
    .sgpr_count:     32
    .sgpr_spill_count: 0
    .symbol:         _ZN7rocprim6detail20lookback_scan_kernelILNS0_25lookback_scan_determinismE0ELb1ENS0_19wrapped_scan_configINS_14default_configEmEEPmS6_N6hipcub3SumEmmNS0_19lookback_scan_stateImLb0ELb1EEEEEvT2_T3_mT5_T4_T7_jPT6_SH_bb.kd
    .uniform_work_group_size: 1
    .uses_dynamic_stack: false
    .vgpr_count:     89
    .vgpr_spill_count: 0
    .wavefront_size: 64
  - .agpr_count:     0
    .args:
      - .address_space:  global
        .offset:         0
        .size:           8
        .value_kind:     global_buffer
      - .offset:         8
        .size:           8
        .value_kind:     by_value
      - .offset:         16
        .size:           8
        .value_kind:     by_value
      - .address_space:  global
        .offset:         24
        .size:           8
        .value_kind:     global_buffer
      - .offset:         32
        .size:           1
        .value_kind:     by_value
    .group_segment_fixed_size: 10752
    .kernarg_segment_align: 8
    .kernarg_segment_size: 36
    .language:       OpenCL C
    .language_version:
      - 2
      - 0
    .max_flat_workgroup_size: 64
    .name:           _ZN7rocprim6detail18single_scan_kernelILb1ENS0_19wrapped_scan_configINS_14default_configEmEEPmS5_N6hipcub3SumEmmEEvT1_mT4_T2_T3_
    .private_segment_fixed_size: 0
    .sgpr_count:     58
    .sgpr_spill_count: 0
    .symbol:         _ZN7rocprim6detail18single_scan_kernelILb1ENS0_19wrapped_scan_configINS_14default_configEmEEPmS5_N6hipcub3SumEmmEEvT1_mT4_T2_T3_.kd
    .uniform_work_group_size: 1
    .uses_dynamic_stack: false
    .vgpr_count:     52
    .vgpr_spill_count: 0
    .wavefront_size: 64
  - .agpr_count:     0
    .args:
      - .address_space:  global
        .offset:         0
        .size:           8
        .value_kind:     global_buffer
      - .address_space:  global
        .offset:         8
        .size:           8
        .value_kind:     global_buffer
      - .offset:         16
        .size:           8
        .value_kind:     by_value
      - .offset:         24
        .size:           8
        .value_kind:     by_value
      - .offset:         32
        .size:           1
        .value_kind:     by_value
      - .address_space:  global
        .offset:         40
        .size:           8
        .value_kind:     global_buffer
      - .offset:         48
        .size:           4
        .value_kind:     by_value
      - .address_space:  global
        .offset:         56
        .size:           8
        .value_kind:     global_buffer
      - .address_space:  global
        .offset:         64
        .size:           8
        .value_kind:     global_buffer
      - .offset:         72
        .size:           1
        .value_kind:     by_value
      - .offset:         73
        .size:           1
        .value_kind:     by_value
    .group_segment_fixed_size: 0
    .kernarg_segment_align: 8
    .kernarg_segment_size: 76
    .language:       OpenCL C
    .language_version:
      - 2
      - 0
    .max_flat_workgroup_size: 64
    .name:           _ZN7rocprim6detail20lookback_scan_kernelILNS0_25lookback_scan_determinismE0ELb1ENS0_19wrapped_scan_configINS_14default_configEyEEPyS6_N6hipcub3MinEyyNS0_19lookback_scan_stateIyLb1ELb1EEEEEvT2_T3_mT5_T4_T7_jPT6_SH_bb
    .private_segment_fixed_size: 0
    .sgpr_count:     4
    .sgpr_spill_count: 0
    .symbol:         _ZN7rocprim6detail20lookback_scan_kernelILNS0_25lookback_scan_determinismE0ELb1ENS0_19wrapped_scan_configINS_14default_configEyEEPyS6_N6hipcub3MinEyyNS0_19lookback_scan_stateIyLb1ELb1EEEEEvT2_T3_mT5_T4_T7_jPT6_SH_bb.kd
    .uniform_work_group_size: 1
    .uses_dynamic_stack: false
    .vgpr_count:     0
    .vgpr_spill_count: 0
    .wavefront_size: 64
  - .agpr_count:     0
    .args:
      - .address_space:  global
        .offset:         0
        .size:           8
        .value_kind:     global_buffer
      - .address_space:  global
        .offset:         8
        .size:           8
        .value_kind:     global_buffer
      - .offset:         16
        .size:           8
        .value_kind:     by_value
      - .offset:         24
        .size:           8
        .value_kind:     by_value
      - .offset:         32
        .size:           1
        .value_kind:     by_value
      - .address_space:  global
        .offset:         40
        .size:           8
        .value_kind:     global_buffer
      - .offset:         48
        .size:           4
        .value_kind:     by_value
      - .address_space:  global
        .offset:         56
        .size:           8
        .value_kind:     global_buffer
      - .address_space:  global
        .offset:         64
        .size:           8
        .value_kind:     global_buffer
      - .offset:         72
        .size:           1
        .value_kind:     by_value
      - .offset:         73
        .size:           1
        .value_kind:     by_value
    .group_segment_fixed_size: 10752
    .kernarg_segment_align: 8
    .kernarg_segment_size: 76
    .language:       OpenCL C
    .language_version:
      - 2
      - 0
    .max_flat_workgroup_size: 64
    .name:           _ZN7rocprim6detail20lookback_scan_kernelILNS0_25lookback_scan_determinismE0ELb1ENS0_19wrapped_scan_configINS_14default_configEyEEPyS6_N6hipcub3MinEyyNS0_19lookback_scan_stateIyLb0ELb1EEEEEvT2_T3_mT5_T4_T7_jPT6_SH_bb
    .private_segment_fixed_size: 0
    .sgpr_count:     32
    .sgpr_spill_count: 0
    .symbol:         _ZN7rocprim6detail20lookback_scan_kernelILNS0_25lookback_scan_determinismE0ELb1ENS0_19wrapped_scan_configINS_14default_configEyEEPyS6_N6hipcub3MinEyyNS0_19lookback_scan_stateIyLb0ELb1EEEEEvT2_T3_mT5_T4_T7_jPT6_SH_bb.kd
    .uniform_work_group_size: 1
    .uses_dynamic_stack: false
    .vgpr_count:     91
    .vgpr_spill_count: 0
    .wavefront_size: 64
  - .agpr_count:     0
    .args:
      - .address_space:  global
        .offset:         0
        .size:           8
        .value_kind:     global_buffer
      - .offset:         8
        .size:           8
        .value_kind:     by_value
      - .offset:         16
        .size:           8
        .value_kind:     by_value
      - .address_space:  global
        .offset:         24
        .size:           8
        .value_kind:     global_buffer
      - .offset:         32
        .size:           1
        .value_kind:     by_value
    .group_segment_fixed_size: 10752
    .kernarg_segment_align: 8
    .kernarg_segment_size: 36
    .language:       OpenCL C
    .language_version:
      - 2
      - 0
    .max_flat_workgroup_size: 64
    .name:           _ZN7rocprim6detail18single_scan_kernelILb1ENS0_19wrapped_scan_configINS_14default_configEyEEPyS5_N6hipcub3MinEyyEEvT1_mT4_T2_T3_
    .private_segment_fixed_size: 0
    .sgpr_count:     58
    .sgpr_spill_count: 0
    .symbol:         _ZN7rocprim6detail18single_scan_kernelILb1ENS0_19wrapped_scan_configINS_14default_configEyEEPyS5_N6hipcub3MinEyyEEvT1_mT4_T2_T3_.kd
    .uniform_work_group_size: 1
    .uses_dynamic_stack: false
    .vgpr_count:     53
    .vgpr_spill_count: 0
    .wavefront_size: 64
  - .agpr_count:     0
    .args:
      - .address_space:  global
        .offset:         0
        .size:           8
        .value_kind:     global_buffer
      - .offset:         8
        .size:           16
        .value_kind:     by_value
      - .address_space:  global
        .offset:         24
        .size:           8
        .value_kind:     global_buffer
      - .offset:         32
        .size:           4
        .value_kind:     by_value
      - .offset:         36
        .size:           1
        .value_kind:     by_value
      - .offset:         37
        .size:           1
        .value_kind:     by_value
      - .address_space:  global
        .offset:         40
        .size:           8
        .value_kind:     global_buffer
      - .offset:         48
        .size:           8
        .value_kind:     by_value
      - .offset:         56
        .size:           8
        .value_kind:     by_value
      - .offset:         64
        .size:           8
        .value_kind:     by_value
      - .address_space:  global
        .offset:         72
        .size:           8
        .value_kind:     global_buffer
    .group_segment_fixed_size: 0
    .kernarg_segment_align: 8
    .kernarg_segment_size: 80
    .language:       OpenCL C
    .language_version:
      - 2
      - 0
    .max_flat_workgroup_size: 256
    .name:           _ZN7rocprim6detail25device_scan_by_key_kernelILNS0_25lookback_scan_determinismE0ELb1ENS0_26wrapped_scan_by_key_configINS_14default_configEiiEEPiN6hipcub22TransformInputIteratorIiNS7_6CastOpIiEES6_lEEPliNS7_8EqualityENS7_3SumENS0_19lookback_scan_stateINS_5tupleIJibEEELb1ELb1EEEiEEvT2_T3_T4_T5_T6_T7_T8_mmmPKNSG_IJT9_bEEE
    .private_segment_fixed_size: 0
    .sgpr_count:     4
    .sgpr_spill_count: 0
    .symbol:         _ZN7rocprim6detail25device_scan_by_key_kernelILNS0_25lookback_scan_determinismE0ELb1ENS0_26wrapped_scan_by_key_configINS_14default_configEiiEEPiN6hipcub22TransformInputIteratorIiNS7_6CastOpIiEES6_lEEPliNS7_8EqualityENS7_3SumENS0_19lookback_scan_stateINS_5tupleIJibEEELb1ELb1EEEiEEvT2_T3_T4_T5_T6_T7_T8_mmmPKNSG_IJT9_bEEE.kd
    .uniform_work_group_size: 1
    .uses_dynamic_stack: false
    .vgpr_count:     0
    .vgpr_spill_count: 0
    .wavefront_size: 64
  - .agpr_count:     0
    .args:
      - .address_space:  global
        .offset:         0
        .size:           8
        .value_kind:     global_buffer
      - .offset:         8
        .size:           16
        .value_kind:     by_value
      - .address_space:  global
        .offset:         24
        .size:           8
        .value_kind:     global_buffer
      - .offset:         32
        .size:           4
        .value_kind:     by_value
      - .offset:         36
        .size:           1
        .value_kind:     by_value
      - .offset:         37
        .size:           1
        .value_kind:     by_value
      - .address_space:  global
        .offset:         40
        .size:           8
        .value_kind:     global_buffer
      - .offset:         48
        .size:           8
        .value_kind:     by_value
      - .offset:         56
        .size:           8
        .value_kind:     by_value
      - .offset:         64
        .size:           8
        .value_kind:     by_value
      - .address_space:  global
        .offset:         72
        .size:           8
        .value_kind:     global_buffer
    .group_segment_fixed_size: 16384
    .kernarg_segment_align: 8
    .kernarg_segment_size: 80
    .language:       OpenCL C
    .language_version:
      - 2
      - 0
    .max_flat_workgroup_size: 256
    .name:           _ZN7rocprim6detail25device_scan_by_key_kernelILNS0_25lookback_scan_determinismE0ELb1ENS0_26wrapped_scan_by_key_configINS_14default_configEiiEEPiN6hipcub22TransformInputIteratorIiNS7_6CastOpIiEES6_lEEPliNS7_8EqualityENS7_3SumENS0_19lookback_scan_stateINS_5tupleIJibEEELb0ELb1EEEiEEvT2_T3_T4_T5_T6_T7_T8_mmmPKNSG_IJT9_bEEE
    .private_segment_fixed_size: 0
    .sgpr_count:     59
    .sgpr_spill_count: 0
    .symbol:         _ZN7rocprim6detail25device_scan_by_key_kernelILNS0_25lookback_scan_determinismE0ELb1ENS0_26wrapped_scan_by_key_configINS_14default_configEiiEEPiN6hipcub22TransformInputIteratorIiNS7_6CastOpIiEES6_lEEPliNS7_8EqualityENS7_3SumENS0_19lookback_scan_stateINS_5tupleIJibEEELb0ELb1EEEiEEvT2_T3_T4_T5_T6_T7_T8_mmmPKNSG_IJT9_bEEE.kd
    .uniform_work_group_size: 1
    .uses_dynamic_stack: false
    .vgpr_count:     62
    .vgpr_spill_count: 0
    .wavefront_size: 64
  - .agpr_count:     0
    .args:
      - .address_space:  global
        .offset:         0
        .size:           8
        .value_kind:     global_buffer
      - .offset:         8
        .size:           16
        .value_kind:     by_value
      - .address_space:  global
        .offset:         24
        .size:           8
        .value_kind:     global_buffer
      - .offset:         32
        .size:           2
        .value_kind:     by_value
      - .offset:         34
        .size:           1
        .value_kind:     by_value
      - .offset:         35
        .size:           1
        .value_kind:     by_value
      - .address_space:  global
        .offset:         40
        .size:           8
        .value_kind:     global_buffer
      - .offset:         48
        .size:           8
        .value_kind:     by_value
      - .offset:         56
        .size:           8
        .value_kind:     by_value
      - .offset:         64
        .size:           8
        .value_kind:     by_value
      - .address_space:  global
        .offset:         72
        .size:           8
        .value_kind:     global_buffer
    .group_segment_fixed_size: 0
    .kernarg_segment_align: 8
    .kernarg_segment_size: 80
    .language:       OpenCL C
    .language_version:
      - 2
      - 0
    .max_flat_workgroup_size: 64
    .name:           _ZN7rocprim6detail25device_scan_by_key_kernelILNS0_25lookback_scan_determinismE0ELb1ENS0_26wrapped_scan_by_key_configINS_14default_configEi6__halfEEPiN6hipcub22TransformInputIteratorIS5_NS8_6CastOpIS5_EEPS5_lEESC_S5_NS8_8EqualityENS8_3SumENS0_19lookback_scan_stateINS_5tupleIJS5_bEEELb1ELb1EEES5_EEvT2_T3_T4_T5_T6_T7_T8_mmmPKNSH_IJT9_bEEE
    .private_segment_fixed_size: 0
    .sgpr_count:     4
    .sgpr_spill_count: 0
    .symbol:         _ZN7rocprim6detail25device_scan_by_key_kernelILNS0_25lookback_scan_determinismE0ELb1ENS0_26wrapped_scan_by_key_configINS_14default_configEi6__halfEEPiN6hipcub22TransformInputIteratorIS5_NS8_6CastOpIS5_EEPS5_lEESC_S5_NS8_8EqualityENS8_3SumENS0_19lookback_scan_stateINS_5tupleIJS5_bEEELb1ELb1EEES5_EEvT2_T3_T4_T5_T6_T7_T8_mmmPKNSH_IJT9_bEEE.kd
    .uniform_work_group_size: 1
    .uses_dynamic_stack: false
    .vgpr_count:     0
    .vgpr_spill_count: 0
    .wavefront_size: 64
  - .agpr_count:     0
    .args:
      - .address_space:  global
        .offset:         0
        .size:           8
        .value_kind:     global_buffer
      - .offset:         8
        .size:           16
        .value_kind:     by_value
      - .address_space:  global
        .offset:         24
        .size:           8
        .value_kind:     global_buffer
      - .offset:         32
        .size:           2
        .value_kind:     by_value
      - .offset:         34
        .size:           1
        .value_kind:     by_value
      - .offset:         35
        .size:           1
        .value_kind:     by_value
      - .address_space:  global
        .offset:         40
        .size:           8
        .value_kind:     global_buffer
      - .offset:         48
        .size:           8
        .value_kind:     by_value
      - .offset:         56
        .size:           8
        .value_kind:     by_value
      - .offset:         64
        .size:           8
        .value_kind:     by_value
      - .address_space:  global
        .offset:         72
        .size:           8
        .value_kind:     global_buffer
    .group_segment_fixed_size: 6656
    .kernarg_segment_align: 8
    .kernarg_segment_size: 80
    .language:       OpenCL C
    .language_version:
      - 2
      - 0
    .max_flat_workgroup_size: 64
    .name:           _ZN7rocprim6detail25device_scan_by_key_kernelILNS0_25lookback_scan_determinismE0ELb1ENS0_26wrapped_scan_by_key_configINS_14default_configEi6__halfEEPiN6hipcub22TransformInputIteratorIS5_NS8_6CastOpIS5_EEPS5_lEESC_S5_NS8_8EqualityENS8_3SumENS0_19lookback_scan_stateINS_5tupleIJS5_bEEELb0ELb1EEES5_EEvT2_T3_T4_T5_T6_T7_T8_mmmPKNSH_IJT9_bEEE
    .private_segment_fixed_size: 0
    .sgpr_count:     79
    .sgpr_spill_count: 0
    .symbol:         _ZN7rocprim6detail25device_scan_by_key_kernelILNS0_25lookback_scan_determinismE0ELb1ENS0_26wrapped_scan_by_key_configINS_14default_configEi6__halfEEPiN6hipcub22TransformInputIteratorIS5_NS8_6CastOpIS5_EEPS5_lEESC_S5_NS8_8EqualityENS8_3SumENS0_19lookback_scan_stateINS_5tupleIJS5_bEEELb0ELb1EEES5_EEvT2_T3_T4_T5_T6_T7_T8_mmmPKNSH_IJT9_bEEE.kd
    .uniform_work_group_size: 1
    .uses_dynamic_stack: false
    .vgpr_count:     81
    .vgpr_spill_count: 0
    .wavefront_size: 64
  - .agpr_count:     0
    .args:
      - .address_space:  global
        .offset:         0
        .size:           8
        .value_kind:     global_buffer
      - .offset:         8
        .size:           16
        .value_kind:     by_value
      - .address_space:  global
        .offset:         24
        .size:           8
        .value_kind:     global_buffer
      - .offset:         32
        .size:           2
        .value_kind:     by_value
      - .offset:         34
        .size:           1
        .value_kind:     by_value
      - .offset:         35
        .size:           1
        .value_kind:     by_value
      - .address_space:  global
        .offset:         40
        .size:           8
        .value_kind:     global_buffer
      - .offset:         48
        .size:           8
        .value_kind:     by_value
      - .offset:         56
        .size:           8
        .value_kind:     by_value
      - .offset:         64
        .size:           8
        .value_kind:     by_value
      - .address_space:  global
        .offset:         72
        .size:           8
        .value_kind:     global_buffer
    .group_segment_fixed_size: 0
    .kernarg_segment_align: 8
    .kernarg_segment_size: 80
    .language:       OpenCL C
    .language_version:
      - 2
      - 0
    .max_flat_workgroup_size: 64
    .name:           _ZN7rocprim6detail25device_scan_by_key_kernelILNS0_25lookback_scan_determinismE0ELb1ENS0_26wrapped_scan_by_key_configINS_14default_configEi6__halfEEPiN6hipcub22TransformInputIteratorIS5_NS8_6CastOpIS5_EEPS5_lEESC_S5_NS8_8EqualityENS8_3MaxENS0_19lookback_scan_stateINS_5tupleIJS5_bEEELb1ELb1EEES5_EEvT2_T3_T4_T5_T6_T7_T8_mmmPKNSH_IJT9_bEEE
    .private_segment_fixed_size: 0
    .sgpr_count:     4
    .sgpr_spill_count: 0
    .symbol:         _ZN7rocprim6detail25device_scan_by_key_kernelILNS0_25lookback_scan_determinismE0ELb1ENS0_26wrapped_scan_by_key_configINS_14default_configEi6__halfEEPiN6hipcub22TransformInputIteratorIS5_NS8_6CastOpIS5_EEPS5_lEESC_S5_NS8_8EqualityENS8_3MaxENS0_19lookback_scan_stateINS_5tupleIJS5_bEEELb1ELb1EEES5_EEvT2_T3_T4_T5_T6_T7_T8_mmmPKNSH_IJT9_bEEE.kd
    .uniform_work_group_size: 1
    .uses_dynamic_stack: false
    .vgpr_count:     0
    .vgpr_spill_count: 0
    .wavefront_size: 64
  - .agpr_count:     0
    .args:
      - .address_space:  global
        .offset:         0
        .size:           8
        .value_kind:     global_buffer
      - .offset:         8
        .size:           16
        .value_kind:     by_value
      - .address_space:  global
        .offset:         24
        .size:           8
        .value_kind:     global_buffer
      - .offset:         32
        .size:           2
        .value_kind:     by_value
      - .offset:         34
        .size:           1
        .value_kind:     by_value
      - .offset:         35
        .size:           1
        .value_kind:     by_value
      - .address_space:  global
        .offset:         40
        .size:           8
        .value_kind:     global_buffer
      - .offset:         48
        .size:           8
        .value_kind:     by_value
      - .offset:         56
        .size:           8
        .value_kind:     by_value
      - .offset:         64
        .size:           8
        .value_kind:     by_value
      - .address_space:  global
        .offset:         72
        .size:           8
        .value_kind:     global_buffer
    .group_segment_fixed_size: 6656
    .kernarg_segment_align: 8
    .kernarg_segment_size: 80
    .language:       OpenCL C
    .language_version:
      - 2
      - 0
    .max_flat_workgroup_size: 64
    .name:           _ZN7rocprim6detail25device_scan_by_key_kernelILNS0_25lookback_scan_determinismE0ELb1ENS0_26wrapped_scan_by_key_configINS_14default_configEi6__halfEEPiN6hipcub22TransformInputIteratorIS5_NS8_6CastOpIS5_EEPS5_lEESC_S5_NS8_8EqualityENS8_3MaxENS0_19lookback_scan_stateINS_5tupleIJS5_bEEELb0ELb1EEES5_EEvT2_T3_T4_T5_T6_T7_T8_mmmPKNSH_IJT9_bEEE
    .private_segment_fixed_size: 0
    .sgpr_count:     79
    .sgpr_spill_count: 0
    .symbol:         _ZN7rocprim6detail25device_scan_by_key_kernelILNS0_25lookback_scan_determinismE0ELb1ENS0_26wrapped_scan_by_key_configINS_14default_configEi6__halfEEPiN6hipcub22TransformInputIteratorIS5_NS8_6CastOpIS5_EEPS5_lEESC_S5_NS8_8EqualityENS8_3MaxENS0_19lookback_scan_stateINS_5tupleIJS5_bEEELb0ELb1EEES5_EEvT2_T3_T4_T5_T6_T7_T8_mmmPKNSH_IJT9_bEEE.kd
    .uniform_work_group_size: 1
    .uses_dynamic_stack: false
    .vgpr_count:     79
    .vgpr_spill_count: 0
    .wavefront_size: 64
  - .agpr_count:     0
    .args:
      - .address_space:  global
        .offset:         0
        .size:           8
        .value_kind:     global_buffer
      - .offset:         8
        .size:           16
        .value_kind:     by_value
      - .address_space:  global
        .offset:         24
        .size:           8
        .value_kind:     global_buffer
      - .offset:         32
        .size:           2
        .value_kind:     by_value
      - .offset:         34
        .size:           1
        .value_kind:     by_value
      - .offset:         35
        .size:           1
        .value_kind:     by_value
      - .address_space:  global
        .offset:         40
        .size:           8
        .value_kind:     global_buffer
      - .offset:         48
        .size:           8
        .value_kind:     by_value
      - .offset:         56
        .size:           8
        .value_kind:     by_value
      - .offset:         64
        .size:           8
        .value_kind:     by_value
      - .address_space:  global
        .offset:         72
        .size:           8
        .value_kind:     global_buffer
    .group_segment_fixed_size: 0
    .kernarg_segment_align: 8
    .kernarg_segment_size: 80
    .language:       OpenCL C
    .language_version:
      - 2
      - 0
    .max_flat_workgroup_size: 64
    .name:           _ZN7rocprim6detail25device_scan_by_key_kernelILNS0_25lookback_scan_determinismE0ELb1ENS0_26wrapped_scan_by_key_configINS_14default_configEi12hip_bfloat16EEPiN6hipcub22TransformInputIteratorIS5_NS8_6CastOpIS5_EEPS5_lEESC_S5_NS8_8EqualityENS8_3SumENS0_19lookback_scan_stateINS_5tupleIJS5_bEEELb1ELb1EEES5_EEvT2_T3_T4_T5_T6_T7_T8_mmmPKNSH_IJT9_bEEE
    .private_segment_fixed_size: 0
    .sgpr_count:     4
    .sgpr_spill_count: 0
    .symbol:         _ZN7rocprim6detail25device_scan_by_key_kernelILNS0_25lookback_scan_determinismE0ELb1ENS0_26wrapped_scan_by_key_configINS_14default_configEi12hip_bfloat16EEPiN6hipcub22TransformInputIteratorIS5_NS8_6CastOpIS5_EEPS5_lEESC_S5_NS8_8EqualityENS8_3SumENS0_19lookback_scan_stateINS_5tupleIJS5_bEEELb1ELb1EEES5_EEvT2_T3_T4_T5_T6_T7_T8_mmmPKNSH_IJT9_bEEE.kd
    .uniform_work_group_size: 1
    .uses_dynamic_stack: false
    .vgpr_count:     0
    .vgpr_spill_count: 0
    .wavefront_size: 64
  - .agpr_count:     0
    .args:
      - .address_space:  global
        .offset:         0
        .size:           8
        .value_kind:     global_buffer
      - .offset:         8
        .size:           16
        .value_kind:     by_value
      - .address_space:  global
        .offset:         24
        .size:           8
        .value_kind:     global_buffer
      - .offset:         32
        .size:           2
        .value_kind:     by_value
      - .offset:         34
        .size:           1
        .value_kind:     by_value
      - .offset:         35
        .size:           1
        .value_kind:     by_value
      - .address_space:  global
        .offset:         40
        .size:           8
        .value_kind:     global_buffer
      - .offset:         48
        .size:           8
        .value_kind:     by_value
      - .offset:         56
        .size:           8
        .value_kind:     by_value
      - .offset:         64
        .size:           8
        .value_kind:     by_value
      - .address_space:  global
        .offset:         72
        .size:           8
        .value_kind:     global_buffer
    .group_segment_fixed_size: 6656
    .kernarg_segment_align: 8
    .kernarg_segment_size: 80
    .language:       OpenCL C
    .language_version:
      - 2
      - 0
    .max_flat_workgroup_size: 64
    .name:           _ZN7rocprim6detail25device_scan_by_key_kernelILNS0_25lookback_scan_determinismE0ELb1ENS0_26wrapped_scan_by_key_configINS_14default_configEi12hip_bfloat16EEPiN6hipcub22TransformInputIteratorIS5_NS8_6CastOpIS5_EEPS5_lEESC_S5_NS8_8EqualityENS8_3SumENS0_19lookback_scan_stateINS_5tupleIJS5_bEEELb0ELb1EEES5_EEvT2_T3_T4_T5_T6_T7_T8_mmmPKNSH_IJT9_bEEE
    .private_segment_fixed_size: 0
    .sgpr_count:     81
    .sgpr_spill_count: 0
    .symbol:         _ZN7rocprim6detail25device_scan_by_key_kernelILNS0_25lookback_scan_determinismE0ELb1ENS0_26wrapped_scan_by_key_configINS_14default_configEi12hip_bfloat16EEPiN6hipcub22TransformInputIteratorIS5_NS8_6CastOpIS5_EEPS5_lEESC_S5_NS8_8EqualityENS8_3SumENS0_19lookback_scan_stateINS_5tupleIJS5_bEEELb0ELb1EEES5_EEvT2_T3_T4_T5_T6_T7_T8_mmmPKNSH_IJT9_bEEE.kd
    .uniform_work_group_size: 1
    .uses_dynamic_stack: false
    .vgpr_count:     76
    .vgpr_spill_count: 0
    .wavefront_size: 64
  - .agpr_count:     0
    .args:
      - .address_space:  global
        .offset:         0
        .size:           8
        .value_kind:     global_buffer
      - .offset:         8
        .size:           16
        .value_kind:     by_value
      - .address_space:  global
        .offset:         24
        .size:           8
        .value_kind:     global_buffer
      - .offset:         32
        .size:           2
        .value_kind:     by_value
      - .offset:         34
        .size:           1
        .value_kind:     by_value
      - .offset:         35
        .size:           1
        .value_kind:     by_value
      - .address_space:  global
        .offset:         40
        .size:           8
        .value_kind:     global_buffer
      - .offset:         48
        .size:           8
        .value_kind:     by_value
      - .offset:         56
        .size:           8
        .value_kind:     by_value
      - .offset:         64
        .size:           8
        .value_kind:     by_value
      - .address_space:  global
        .offset:         72
        .size:           8
        .value_kind:     global_buffer
    .group_segment_fixed_size: 0
    .kernarg_segment_align: 8
    .kernarg_segment_size: 80
    .language:       OpenCL C
    .language_version:
      - 2
      - 0
    .max_flat_workgroup_size: 64
    .name:           _ZN7rocprim6detail25device_scan_by_key_kernelILNS0_25lookback_scan_determinismE0ELb1ENS0_26wrapped_scan_by_key_configINS_14default_configEi12hip_bfloat16EEPiN6hipcub22TransformInputIteratorIS5_NS8_6CastOpIS5_EEPS5_lEESC_S5_NS8_8EqualityENS8_3MaxENS0_19lookback_scan_stateINS_5tupleIJS5_bEEELb1ELb1EEES5_EEvT2_T3_T4_T5_T6_T7_T8_mmmPKNSH_IJT9_bEEE
    .private_segment_fixed_size: 0
    .sgpr_count:     4
    .sgpr_spill_count: 0
    .symbol:         _ZN7rocprim6detail25device_scan_by_key_kernelILNS0_25lookback_scan_determinismE0ELb1ENS0_26wrapped_scan_by_key_configINS_14default_configEi12hip_bfloat16EEPiN6hipcub22TransformInputIteratorIS5_NS8_6CastOpIS5_EEPS5_lEESC_S5_NS8_8EqualityENS8_3MaxENS0_19lookback_scan_stateINS_5tupleIJS5_bEEELb1ELb1EEES5_EEvT2_T3_T4_T5_T6_T7_T8_mmmPKNSH_IJT9_bEEE.kd
    .uniform_work_group_size: 1
    .uses_dynamic_stack: false
    .vgpr_count:     0
    .vgpr_spill_count: 0
    .wavefront_size: 64
  - .agpr_count:     0
    .args:
      - .address_space:  global
        .offset:         0
        .size:           8
        .value_kind:     global_buffer
      - .offset:         8
        .size:           16
        .value_kind:     by_value
      - .address_space:  global
        .offset:         24
        .size:           8
        .value_kind:     global_buffer
      - .offset:         32
        .size:           2
        .value_kind:     by_value
      - .offset:         34
        .size:           1
        .value_kind:     by_value
      - .offset:         35
        .size:           1
        .value_kind:     by_value
      - .address_space:  global
        .offset:         40
        .size:           8
        .value_kind:     global_buffer
      - .offset:         48
        .size:           8
        .value_kind:     by_value
      - .offset:         56
        .size:           8
        .value_kind:     by_value
      - .offset:         64
        .size:           8
        .value_kind:     by_value
      - .address_space:  global
        .offset:         72
        .size:           8
        .value_kind:     global_buffer
    .group_segment_fixed_size: 6656
    .kernarg_segment_align: 8
    .kernarg_segment_size: 80
    .language:       OpenCL C
    .language_version:
      - 2
      - 0
    .max_flat_workgroup_size: 64
    .name:           _ZN7rocprim6detail25device_scan_by_key_kernelILNS0_25lookback_scan_determinismE0ELb1ENS0_26wrapped_scan_by_key_configINS_14default_configEi12hip_bfloat16EEPiN6hipcub22TransformInputIteratorIS5_NS8_6CastOpIS5_EEPS5_lEESC_S5_NS8_8EqualityENS8_3MaxENS0_19lookback_scan_stateINS_5tupleIJS5_bEEELb0ELb1EEES5_EEvT2_T3_T4_T5_T6_T7_T8_mmmPKNSH_IJT9_bEEE
    .private_segment_fixed_size: 0
    .sgpr_count:     81
    .sgpr_spill_count: 0
    .symbol:         _ZN7rocprim6detail25device_scan_by_key_kernelILNS0_25lookback_scan_determinismE0ELb1ENS0_26wrapped_scan_by_key_configINS_14default_configEi12hip_bfloat16EEPiN6hipcub22TransformInputIteratorIS5_NS8_6CastOpIS5_EEPS5_lEESC_S5_NS8_8EqualityENS8_3MaxENS0_19lookback_scan_stateINS_5tupleIJS5_bEEELb0ELb1EEES5_EEvT2_T3_T4_T5_T6_T7_T8_mmmPKNSH_IJT9_bEEE.kd
    .uniform_work_group_size: 1
    .uses_dynamic_stack: false
    .vgpr_count:     79
    .vgpr_spill_count: 0
    .wavefront_size: 64
  - .agpr_count:     0
    .args:
      - .address_space:  global
        .offset:         0
        .size:           8
        .value_kind:     global_buffer
      - .offset:         8
        .size:           16
        .value_kind:     by_value
      - .address_space:  global
        .offset:         24
        .size:           8
        .value_kind:     global_buffer
      - .offset:         32
        .size:           4
        .value_kind:     by_value
      - .offset:         36
        .size:           1
        .value_kind:     by_value
      - .offset:         37
        .size:           1
        .value_kind:     by_value
      - .address_space:  global
        .offset:         40
        .size:           8
        .value_kind:     global_buffer
      - .offset:         48
        .size:           8
        .value_kind:     by_value
      - .offset:         56
        .size:           8
        .value_kind:     by_value
      - .offset:         64
        .size:           8
        .value_kind:     by_value
      - .address_space:  global
        .offset:         72
        .size:           8
        .value_kind:     global_buffer
    .group_segment_fixed_size: 0
    .kernarg_segment_align: 8
    .kernarg_segment_size: 80
    .language:       OpenCL C
    .language_version:
      - 2
      - 0
    .max_flat_workgroup_size: 256
    .name:           _ZN7rocprim6detail25device_scan_by_key_kernelILNS0_25lookback_scan_determinismE0ELb1ENS0_26wrapped_scan_by_key_configINS_14default_configEiiEEPiN6hipcub22TransformInputIteratorIiNS7_6CastOpIiEES6_lEEPdiNS7_8EqualityENS7_3SumENS0_19lookback_scan_stateINS_5tupleIJibEEELb1ELb1EEEiEEvT2_T3_T4_T5_T6_T7_T8_mmmPKNSG_IJT9_bEEE
    .private_segment_fixed_size: 0
    .sgpr_count:     4
    .sgpr_spill_count: 0
    .symbol:         _ZN7rocprim6detail25device_scan_by_key_kernelILNS0_25lookback_scan_determinismE0ELb1ENS0_26wrapped_scan_by_key_configINS_14default_configEiiEEPiN6hipcub22TransformInputIteratorIiNS7_6CastOpIiEES6_lEEPdiNS7_8EqualityENS7_3SumENS0_19lookback_scan_stateINS_5tupleIJibEEELb1ELb1EEEiEEvT2_T3_T4_T5_T6_T7_T8_mmmPKNSG_IJT9_bEEE.kd
    .uniform_work_group_size: 1
    .uses_dynamic_stack: false
    .vgpr_count:     0
    .vgpr_spill_count: 0
    .wavefront_size: 64
  - .agpr_count:     0
    .args:
      - .address_space:  global
        .offset:         0
        .size:           8
        .value_kind:     global_buffer
      - .offset:         8
        .size:           16
        .value_kind:     by_value
      - .address_space:  global
        .offset:         24
        .size:           8
        .value_kind:     global_buffer
      - .offset:         32
        .size:           4
        .value_kind:     by_value
      - .offset:         36
        .size:           1
        .value_kind:     by_value
      - .offset:         37
        .size:           1
        .value_kind:     by_value
      - .address_space:  global
        .offset:         40
        .size:           8
        .value_kind:     global_buffer
      - .offset:         48
        .size:           8
        .value_kind:     by_value
      - .offset:         56
        .size:           8
        .value_kind:     by_value
      - .offset:         64
        .size:           8
        .value_kind:     by_value
      - .address_space:  global
        .offset:         72
        .size:           8
        .value_kind:     global_buffer
    .group_segment_fixed_size: 16384
    .kernarg_segment_align: 8
    .kernarg_segment_size: 80
    .language:       OpenCL C
    .language_version:
      - 2
      - 0
    .max_flat_workgroup_size: 256
    .name:           _ZN7rocprim6detail25device_scan_by_key_kernelILNS0_25lookback_scan_determinismE0ELb1ENS0_26wrapped_scan_by_key_configINS_14default_configEiiEEPiN6hipcub22TransformInputIteratorIiNS7_6CastOpIiEES6_lEEPdiNS7_8EqualityENS7_3SumENS0_19lookback_scan_stateINS_5tupleIJibEEELb0ELb1EEEiEEvT2_T3_T4_T5_T6_T7_T8_mmmPKNSG_IJT9_bEEE
    .private_segment_fixed_size: 0
    .sgpr_count:     59
    .sgpr_spill_count: 0
    .symbol:         _ZN7rocprim6detail25device_scan_by_key_kernelILNS0_25lookback_scan_determinismE0ELb1ENS0_26wrapped_scan_by_key_configINS_14default_configEiiEEPiN6hipcub22TransformInputIteratorIiNS7_6CastOpIiEES6_lEEPdiNS7_8EqualityENS7_3SumENS0_19lookback_scan_stateINS_5tupleIJibEEELb0ELb1EEEiEEvT2_T3_T4_T5_T6_T7_T8_mmmPKNSG_IJT9_bEEE.kd
    .uniform_work_group_size: 1
    .uses_dynamic_stack: false
    .vgpr_count:     62
    .vgpr_spill_count: 0
    .wavefront_size: 64
  - .agpr_count:     0
    .args:
      - .address_space:  global
        .offset:         0
        .size:           8
        .value_kind:     global_buffer
      - .offset:         8
        .size:           16
        .value_kind:     by_value
      - .address_space:  global
        .offset:         24
        .size:           8
        .value_kind:     global_buffer
      - .offset:         32
        .size:           2
        .value_kind:     by_value
      - .offset:         34
        .size:           1
        .value_kind:     by_value
      - .offset:         35
        .size:           1
        .value_kind:     by_value
      - .address_space:  global
        .offset:         40
        .size:           8
        .value_kind:     global_buffer
      - .offset:         48
        .size:           8
        .value_kind:     by_value
      - .offset:         56
        .size:           8
        .value_kind:     by_value
      - .offset:         64
        .size:           8
        .value_kind:     by_value
      - .address_space:  global
        .offset:         72
        .size:           8
        .value_kind:     global_buffer
    .group_segment_fixed_size: 0
    .kernarg_segment_align: 8
    .kernarg_segment_size: 80
    .language:       OpenCL C
    .language_version:
      - 2
      - 0
    .max_flat_workgroup_size: 256
    .name:           _ZN7rocprim6detail25device_scan_by_key_kernelILNS0_25lookback_scan_determinismE0ELb1ENS0_26wrapped_scan_by_key_configINS_14default_configEiiEEPiN6hipcub22TransformInputIteratorIsNS7_6CastOpIsEEPslEEPfsNS7_8EqualityENS7_3SumENS0_19lookback_scan_stateINS_5tupleIJibEEELb1ELb1EEEiEEvT2_T3_T4_T5_T6_T7_T8_mmmPKNSH_IJT9_bEEE
    .private_segment_fixed_size: 0
    .sgpr_count:     4
    .sgpr_spill_count: 0
    .symbol:         _ZN7rocprim6detail25device_scan_by_key_kernelILNS0_25lookback_scan_determinismE0ELb1ENS0_26wrapped_scan_by_key_configINS_14default_configEiiEEPiN6hipcub22TransformInputIteratorIsNS7_6CastOpIsEEPslEEPfsNS7_8EqualityENS7_3SumENS0_19lookback_scan_stateINS_5tupleIJibEEELb1ELb1EEEiEEvT2_T3_T4_T5_T6_T7_T8_mmmPKNSH_IJT9_bEEE.kd
    .uniform_work_group_size: 1
    .uses_dynamic_stack: false
    .vgpr_count:     0
    .vgpr_spill_count: 0
    .wavefront_size: 64
  - .agpr_count:     0
    .args:
      - .address_space:  global
        .offset:         0
        .size:           8
        .value_kind:     global_buffer
      - .offset:         8
        .size:           16
        .value_kind:     by_value
      - .address_space:  global
        .offset:         24
        .size:           8
        .value_kind:     global_buffer
      - .offset:         32
        .size:           2
        .value_kind:     by_value
      - .offset:         34
        .size:           1
        .value_kind:     by_value
      - .offset:         35
        .size:           1
        .value_kind:     by_value
      - .address_space:  global
        .offset:         40
        .size:           8
        .value_kind:     global_buffer
      - .offset:         48
        .size:           8
        .value_kind:     by_value
      - .offset:         56
        .size:           8
        .value_kind:     by_value
      - .offset:         64
        .size:           8
        .value_kind:     by_value
      - .address_space:  global
        .offset:         72
        .size:           8
        .value_kind:     global_buffer
    .group_segment_fixed_size: 16384
    .kernarg_segment_align: 8
    .kernarg_segment_size: 80
    .language:       OpenCL C
    .language_version:
      - 2
      - 0
    .max_flat_workgroup_size: 256
    .name:           _ZN7rocprim6detail25device_scan_by_key_kernelILNS0_25lookback_scan_determinismE0ELb1ENS0_26wrapped_scan_by_key_configINS_14default_configEiiEEPiN6hipcub22TransformInputIteratorIsNS7_6CastOpIsEEPslEEPfsNS7_8EqualityENS7_3SumENS0_19lookback_scan_stateINS_5tupleIJibEEELb0ELb1EEEiEEvT2_T3_T4_T5_T6_T7_T8_mmmPKNSH_IJT9_bEEE
    .private_segment_fixed_size: 0
    .sgpr_count:     58
    .sgpr_spill_count: 0
    .symbol:         _ZN7rocprim6detail25device_scan_by_key_kernelILNS0_25lookback_scan_determinismE0ELb1ENS0_26wrapped_scan_by_key_configINS_14default_configEiiEEPiN6hipcub22TransformInputIteratorIsNS7_6CastOpIsEEPslEEPfsNS7_8EqualityENS7_3SumENS0_19lookback_scan_stateINS_5tupleIJibEEELb0ELb1EEEiEEvT2_T3_T4_T5_T6_T7_T8_mmmPKNSH_IJT9_bEEE.kd
    .uniform_work_group_size: 1
    .uses_dynamic_stack: false
    .vgpr_count:     63
    .vgpr_spill_count: 0
    .wavefront_size: 64
  - .agpr_count:     0
    .args:
      - .address_space:  global
        .offset:         0
        .size:           8
        .value_kind:     global_buffer
      - .offset:         8
        .size:           16
        .value_kind:     by_value
      - .address_space:  global
        .offset:         24
        .size:           8
        .value_kind:     global_buffer
      - .offset:         32
        .size:           2
        .value_kind:     by_value
      - .offset:         34
        .size:           1
        .value_kind:     by_value
      - .offset:         35
        .size:           1
        .value_kind:     by_value
      - .address_space:  global
        .offset:         40
        .size:           8
        .value_kind:     global_buffer
      - .offset:         48
        .size:           8
        .value_kind:     by_value
      - .offset:         56
        .size:           8
        .value_kind:     by_value
      - .offset:         64
        .size:           8
        .value_kind:     by_value
      - .address_space:  global
        .offset:         72
        .size:           8
        .value_kind:     global_buffer
    .group_segment_fixed_size: 0
    .kernarg_segment_align: 8
    .kernarg_segment_size: 80
    .language:       OpenCL C
    .language_version:
      - 2
      - 0
    .max_flat_workgroup_size: 64
    .name:           _ZN7rocprim6detail25device_scan_by_key_kernelILNS0_25lookback_scan_determinismE0ELb1ENS0_26wrapped_scan_by_key_configINS_14default_configEisEEPiN6hipcub22TransformInputIteratorIsNS7_6CastOpIsEEPslEEPfsNS7_8EqualityENS7_3MaxENS0_19lookback_scan_stateINS_5tupleIJsbEEELb1ELb1EEEsEEvT2_T3_T4_T5_T6_T7_T8_mmmPKNSH_IJT9_bEEE
    .private_segment_fixed_size: 0
    .sgpr_count:     4
    .sgpr_spill_count: 0
    .symbol:         _ZN7rocprim6detail25device_scan_by_key_kernelILNS0_25lookback_scan_determinismE0ELb1ENS0_26wrapped_scan_by_key_configINS_14default_configEisEEPiN6hipcub22TransformInputIteratorIsNS7_6CastOpIsEEPslEEPfsNS7_8EqualityENS7_3MaxENS0_19lookback_scan_stateINS_5tupleIJsbEEELb1ELb1EEEsEEvT2_T3_T4_T5_T6_T7_T8_mmmPKNSH_IJT9_bEEE.kd
    .uniform_work_group_size: 1
    .uses_dynamic_stack: false
    .vgpr_count:     0
    .vgpr_spill_count: 0
    .wavefront_size: 64
  - .agpr_count:     0
    .args:
      - .address_space:  global
        .offset:         0
        .size:           8
        .value_kind:     global_buffer
      - .offset:         8
        .size:           16
        .value_kind:     by_value
      - .address_space:  global
        .offset:         24
        .size:           8
        .value_kind:     global_buffer
      - .offset:         32
        .size:           2
        .value_kind:     by_value
      - .offset:         34
        .size:           1
        .value_kind:     by_value
      - .offset:         35
        .size:           1
        .value_kind:     by_value
      - .address_space:  global
        .offset:         40
        .size:           8
        .value_kind:     global_buffer
      - .offset:         48
        .size:           8
        .value_kind:     by_value
      - .offset:         56
        .size:           8
        .value_kind:     by_value
      - .offset:         64
        .size:           8
        .value_kind:     by_value
      - .address_space:  global
        .offset:         72
        .size:           8
        .value_kind:     global_buffer
    .group_segment_fixed_size: 6656
    .kernarg_segment_align: 8
    .kernarg_segment_size: 80
    .language:       OpenCL C
    .language_version:
      - 2
      - 0
    .max_flat_workgroup_size: 64
    .name:           _ZN7rocprim6detail25device_scan_by_key_kernelILNS0_25lookback_scan_determinismE0ELb1ENS0_26wrapped_scan_by_key_configINS_14default_configEisEEPiN6hipcub22TransformInputIteratorIsNS7_6CastOpIsEEPslEEPfsNS7_8EqualityENS7_3MaxENS0_19lookback_scan_stateINS_5tupleIJsbEEELb0ELb1EEEsEEvT2_T3_T4_T5_T6_T7_T8_mmmPKNSH_IJT9_bEEE
    .private_segment_fixed_size: 0
    .sgpr_count:     80
    .sgpr_spill_count: 0
    .symbol:         _ZN7rocprim6detail25device_scan_by_key_kernelILNS0_25lookback_scan_determinismE0ELb1ENS0_26wrapped_scan_by_key_configINS_14default_configEisEEPiN6hipcub22TransformInputIteratorIsNS7_6CastOpIsEEPslEEPfsNS7_8EqualityENS7_3MaxENS0_19lookback_scan_stateINS_5tupleIJsbEEELb0ELb1EEEsEEvT2_T3_T4_T5_T6_T7_T8_mmmPKNSH_IJT9_bEEE.kd
    .uniform_work_group_size: 1
    .uses_dynamic_stack: false
    .vgpr_count:     57
    .vgpr_spill_count: 0
    .wavefront_size: 64
  - .agpr_count:     0
    .args:
      - .address_space:  global
        .offset:         0
        .size:           8
        .value_kind:     global_buffer
      - .offset:         8
        .size:           16
        .value_kind:     by_value
      - .address_space:  global
        .offset:         24
        .size:           8
        .value_kind:     global_buffer
      - .offset:         32
        .size:           8
        .value_kind:     by_value
      - .offset:         40
        .size:           1
        .value_kind:     by_value
      - .offset:         41
        .size:           1
        .value_kind:     by_value
      - .offset:         48
        .size:           24
        .value_kind:     by_value
      - .offset:         72
        .size:           8
        .value_kind:     by_value
      - .offset:         80
        .size:           8
        .value_kind:     by_value
      - .offset:         88
        .size:           8
        .value_kind:     by_value
      - .address_space:  global
        .offset:         96
        .size:           8
        .value_kind:     global_buffer
    .group_segment_fixed_size: 0
    .kernarg_segment_align: 8
    .kernarg_segment_size: 104
    .language:       OpenCL C
    .language_version:
      - 2
      - 0
    .max_flat_workgroup_size: 64
    .name:           _ZN7rocprim6detail25device_scan_by_key_kernelILNS0_25lookback_scan_determinismE0ELb1ENS0_26wrapped_scan_by_key_configINS_14default_configEimEEPiN6hipcub22TransformInputIteratorImNS7_6CastOpImEEPmlEESB_mNS7_8EqualityENS7_3SumENS0_19lookback_scan_stateINS_5tupleIJmbEEELb1ELb0EEEmEEvT2_T3_T4_T5_T6_T7_T8_mmmPKNSG_IJT9_bEEE
    .private_segment_fixed_size: 0
    .sgpr_count:     4
    .sgpr_spill_count: 0
    .symbol:         _ZN7rocprim6detail25device_scan_by_key_kernelILNS0_25lookback_scan_determinismE0ELb1ENS0_26wrapped_scan_by_key_configINS_14default_configEimEEPiN6hipcub22TransformInputIteratorImNS7_6CastOpImEEPmlEESB_mNS7_8EqualityENS7_3SumENS0_19lookback_scan_stateINS_5tupleIJmbEEELb1ELb0EEEmEEvT2_T3_T4_T5_T6_T7_T8_mmmPKNSG_IJT9_bEEE.kd
    .uniform_work_group_size: 1
    .uses_dynamic_stack: false
    .vgpr_count:     0
    .vgpr_spill_count: 0
    .wavefront_size: 64
  - .agpr_count:     0
    .args:
      - .address_space:  global
        .offset:         0
        .size:           8
        .value_kind:     global_buffer
      - .offset:         8
        .size:           16
        .value_kind:     by_value
      - .address_space:  global
        .offset:         24
        .size:           8
        .value_kind:     global_buffer
      - .offset:         32
        .size:           8
        .value_kind:     by_value
      - .offset:         40
        .size:           1
        .value_kind:     by_value
      - .offset:         41
        .size:           1
        .value_kind:     by_value
      - .offset:         48
        .size:           24
        .value_kind:     by_value
      - .offset:         72
        .size:           8
        .value_kind:     by_value
      - .offset:         80
        .size:           8
        .value_kind:     by_value
      - .offset:         88
        .size:           8
        .value_kind:     by_value
      - .address_space:  global
        .offset:         96
        .size:           8
        .value_kind:     global_buffer
    .group_segment_fixed_size: 10752
    .kernarg_segment_align: 8
    .kernarg_segment_size: 104
    .language:       OpenCL C
    .language_version:
      - 2
      - 0
    .max_flat_workgroup_size: 64
    .name:           _ZN7rocprim6detail25device_scan_by_key_kernelILNS0_25lookback_scan_determinismE0ELb1ENS0_26wrapped_scan_by_key_configINS_14default_configEimEEPiN6hipcub22TransformInputIteratorImNS7_6CastOpImEEPmlEESB_mNS7_8EqualityENS7_3SumENS0_19lookback_scan_stateINS_5tupleIJmbEEELb0ELb0EEEmEEvT2_T3_T4_T5_T6_T7_T8_mmmPKNSG_IJT9_bEEE
    .private_segment_fixed_size: 0
    .sgpr_count:     78
    .sgpr_spill_count: 0
    .symbol:         _ZN7rocprim6detail25device_scan_by_key_kernelILNS0_25lookback_scan_determinismE0ELb1ENS0_26wrapped_scan_by_key_configINS_14default_configEimEEPiN6hipcub22TransformInputIteratorImNS7_6CastOpImEEPmlEESB_mNS7_8EqualityENS7_3SumENS0_19lookback_scan_stateINS_5tupleIJmbEEELb0ELb0EEEmEEvT2_T3_T4_T5_T6_T7_T8_mmmPKNSG_IJT9_bEEE.kd
    .uniform_work_group_size: 1
    .uses_dynamic_stack: false
    .vgpr_count:     128
    .vgpr_spill_count: 0
    .wavefront_size: 64
  - .agpr_count:     0
    .args:
      - .address_space:  global
        .offset:         0
        .size:           8
        .value_kind:     global_buffer
      - .offset:         8
        .size:           16
        .value_kind:     by_value
      - .address_space:  global
        .offset:         24
        .size:           8
        .value_kind:     global_buffer
      - .offset:         32
        .size:           8
        .value_kind:     by_value
      - .offset:         40
        .size:           1
        .value_kind:     by_value
      - .offset:         41
        .size:           1
        .value_kind:     by_value
      - .offset:         48
        .size:           24
        .value_kind:     by_value
      - .offset:         72
        .size:           8
        .value_kind:     by_value
      - .offset:         80
        .size:           8
        .value_kind:     by_value
      - .offset:         88
        .size:           8
        .value_kind:     by_value
      - .address_space:  global
        .offset:         96
        .size:           8
        .value_kind:     global_buffer
    .group_segment_fixed_size: 0
    .kernarg_segment_align: 8
    .kernarg_segment_size: 104
    .language:       OpenCL C
    .language_version:
      - 2
      - 0
    .max_flat_workgroup_size: 64
    .name:           _ZN7rocprim6detail25device_scan_by_key_kernelILNS0_25lookback_scan_determinismE0ELb1ENS0_26wrapped_scan_by_key_configINS_14default_configEiyEEPiN6hipcub22TransformInputIteratorIyNS7_6CastOpIyEEPylEESB_yNS7_8EqualityENS7_3SumENS0_19lookback_scan_stateINS_5tupleIJybEEELb1ELb0EEEyEEvT2_T3_T4_T5_T6_T7_T8_mmmPKNSG_IJT9_bEEE
    .private_segment_fixed_size: 0
    .sgpr_count:     4
    .sgpr_spill_count: 0
    .symbol:         _ZN7rocprim6detail25device_scan_by_key_kernelILNS0_25lookback_scan_determinismE0ELb1ENS0_26wrapped_scan_by_key_configINS_14default_configEiyEEPiN6hipcub22TransformInputIteratorIyNS7_6CastOpIyEEPylEESB_yNS7_8EqualityENS7_3SumENS0_19lookback_scan_stateINS_5tupleIJybEEELb1ELb0EEEyEEvT2_T3_T4_T5_T6_T7_T8_mmmPKNSG_IJT9_bEEE.kd
    .uniform_work_group_size: 1
    .uses_dynamic_stack: false
    .vgpr_count:     0
    .vgpr_spill_count: 0
    .wavefront_size: 64
  - .agpr_count:     0
    .args:
      - .address_space:  global
        .offset:         0
        .size:           8
        .value_kind:     global_buffer
      - .offset:         8
        .size:           16
        .value_kind:     by_value
      - .address_space:  global
        .offset:         24
        .size:           8
        .value_kind:     global_buffer
      - .offset:         32
        .size:           8
        .value_kind:     by_value
      - .offset:         40
        .size:           1
        .value_kind:     by_value
      - .offset:         41
        .size:           1
        .value_kind:     by_value
      - .offset:         48
        .size:           24
        .value_kind:     by_value
      - .offset:         72
        .size:           8
        .value_kind:     by_value
      - .offset:         80
        .size:           8
        .value_kind:     by_value
      - .offset:         88
        .size:           8
        .value_kind:     by_value
      - .address_space:  global
        .offset:         96
        .size:           8
        .value_kind:     global_buffer
    .group_segment_fixed_size: 10752
    .kernarg_segment_align: 8
    .kernarg_segment_size: 104
    .language:       OpenCL C
    .language_version:
      - 2
      - 0
    .max_flat_workgroup_size: 64
    .name:           _ZN7rocprim6detail25device_scan_by_key_kernelILNS0_25lookback_scan_determinismE0ELb1ENS0_26wrapped_scan_by_key_configINS_14default_configEiyEEPiN6hipcub22TransformInputIteratorIyNS7_6CastOpIyEEPylEESB_yNS7_8EqualityENS7_3SumENS0_19lookback_scan_stateINS_5tupleIJybEEELb0ELb0EEEyEEvT2_T3_T4_T5_T6_T7_T8_mmmPKNSG_IJT9_bEEE
    .private_segment_fixed_size: 0
    .sgpr_count:     78
    .sgpr_spill_count: 0
    .symbol:         _ZN7rocprim6detail25device_scan_by_key_kernelILNS0_25lookback_scan_determinismE0ELb1ENS0_26wrapped_scan_by_key_configINS_14default_configEiyEEPiN6hipcub22TransformInputIteratorIyNS7_6CastOpIyEEPylEESB_yNS7_8EqualityENS7_3SumENS0_19lookback_scan_stateINS_5tupleIJybEEELb0ELb0EEEyEEvT2_T3_T4_T5_T6_T7_T8_mmmPKNSG_IJT9_bEEE.kd
    .uniform_work_group_size: 1
    .uses_dynamic_stack: false
    .vgpr_count:     128
    .vgpr_spill_count: 0
    .wavefront_size: 64
  - .agpr_count:     0
    .args:
      - .address_space:  global
        .offset:         0
        .size:           8
        .value_kind:     global_buffer
      - .offset:         8
        .size:           16
        .value_kind:     by_value
      - .address_space:  global
        .offset:         24
        .size:           8
        .value_kind:     global_buffer
      - .offset:         32
        .size:           8
        .value_kind:     by_value
      - .offset:         40
        .size:           1
        .value_kind:     by_value
      - .offset:         41
        .size:           1
        .value_kind:     by_value
      - .offset:         48
        .size:           24
        .value_kind:     by_value
      - .offset:         72
        .size:           8
        .value_kind:     by_value
      - .offset:         80
        .size:           8
        .value_kind:     by_value
      - .offset:         88
        .size:           8
        .value_kind:     by_value
      - .address_space:  global
        .offset:         96
        .size:           8
        .value_kind:     global_buffer
    .group_segment_fixed_size: 0
    .kernarg_segment_align: 8
    .kernarg_segment_size: 104
    .language:       OpenCL C
    .language_version:
      - 2
      - 0
    .max_flat_workgroup_size: 64
    .name:           _ZN7rocprim6detail25device_scan_by_key_kernelILNS0_25lookback_scan_determinismE0ELb1ENS0_26wrapped_scan_by_key_configINS_14default_configEiyEEPiN6hipcub22TransformInputIteratorIyNS7_6CastOpIyEEPylEESB_yNS7_8EqualityENS7_3MinENS0_19lookback_scan_stateINS_5tupleIJybEEELb1ELb0EEEyEEvT2_T3_T4_T5_T6_T7_T8_mmmPKNSG_IJT9_bEEE
    .private_segment_fixed_size: 0
    .sgpr_count:     4
    .sgpr_spill_count: 0
    .symbol:         _ZN7rocprim6detail25device_scan_by_key_kernelILNS0_25lookback_scan_determinismE0ELb1ENS0_26wrapped_scan_by_key_configINS_14default_configEiyEEPiN6hipcub22TransformInputIteratorIyNS7_6CastOpIyEEPylEESB_yNS7_8EqualityENS7_3MinENS0_19lookback_scan_stateINS_5tupleIJybEEELb1ELb0EEEyEEvT2_T3_T4_T5_T6_T7_T8_mmmPKNSG_IJT9_bEEE.kd
    .uniform_work_group_size: 1
    .uses_dynamic_stack: false
    .vgpr_count:     0
    .vgpr_spill_count: 0
    .wavefront_size: 64
  - .agpr_count:     0
    .args:
      - .address_space:  global
        .offset:         0
        .size:           8
        .value_kind:     global_buffer
      - .offset:         8
        .size:           16
        .value_kind:     by_value
      - .address_space:  global
        .offset:         24
        .size:           8
        .value_kind:     global_buffer
      - .offset:         32
        .size:           8
        .value_kind:     by_value
      - .offset:         40
        .size:           1
        .value_kind:     by_value
      - .offset:         41
        .size:           1
        .value_kind:     by_value
      - .offset:         48
        .size:           24
        .value_kind:     by_value
      - .offset:         72
        .size:           8
        .value_kind:     by_value
      - .offset:         80
        .size:           8
        .value_kind:     by_value
      - .offset:         88
        .size:           8
        .value_kind:     by_value
      - .address_space:  global
        .offset:         96
        .size:           8
        .value_kind:     global_buffer
    .group_segment_fixed_size: 10752
    .kernarg_segment_align: 8
    .kernarg_segment_size: 104
    .language:       OpenCL C
    .language_version:
      - 2
      - 0
    .max_flat_workgroup_size: 64
    .name:           _ZN7rocprim6detail25device_scan_by_key_kernelILNS0_25lookback_scan_determinismE0ELb1ENS0_26wrapped_scan_by_key_configINS_14default_configEiyEEPiN6hipcub22TransformInputIteratorIyNS7_6CastOpIyEEPylEESB_yNS7_8EqualityENS7_3MinENS0_19lookback_scan_stateINS_5tupleIJybEEELb0ELb0EEEyEEvT2_T3_T4_T5_T6_T7_T8_mmmPKNSG_IJT9_bEEE
    .private_segment_fixed_size: 0
    .sgpr_count:     78
    .sgpr_spill_count: 0
    .symbol:         _ZN7rocprim6detail25device_scan_by_key_kernelILNS0_25lookback_scan_determinismE0ELb1ENS0_26wrapped_scan_by_key_configINS_14default_configEiyEEPiN6hipcub22TransformInputIteratorIyNS7_6CastOpIyEEPylEESB_yNS7_8EqualityENS7_3MinENS0_19lookback_scan_stateINS_5tupleIJybEEELb0ELb0EEEyEEvT2_T3_T4_T5_T6_T7_T8_mmmPKNSG_IJT9_bEEE.kd
    .uniform_work_group_size: 1
    .uses_dynamic_stack: false
    .vgpr_count:     128
    .vgpr_spill_count: 0
    .wavefront_size: 64
  - .agpr_count:     0
    .args:
      - .address_space:  global
        .offset:         0
        .size:           8
        .value_kind:     global_buffer
      - .offset:         8
        .size:           4
        .value_kind:     by_value
      - .offset:         12
        .size:           4
        .value_kind:     by_value
      - .address_space:  global
        .offset:         16
        .size:           8
        .value_kind:     global_buffer
      - .offset:         24
        .size:           4
        .value_kind:     hidden_block_count_x
      - .offset:         28
        .size:           4
        .value_kind:     hidden_block_count_y
      - .offset:         32
        .size:           4
        .value_kind:     hidden_block_count_z
      - .offset:         36
        .size:           2
        .value_kind:     hidden_group_size_x
      - .offset:         38
        .size:           2
        .value_kind:     hidden_group_size_y
      - .offset:         40
        .size:           2
        .value_kind:     hidden_group_size_z
      - .offset:         42
        .size:           2
        .value_kind:     hidden_remainder_x
      - .offset:         44
        .size:           2
        .value_kind:     hidden_remainder_y
      - .offset:         46
        .size:           2
        .value_kind:     hidden_remainder_z
      - .offset:         64
        .size:           8
        .value_kind:     hidden_global_offset_x
      - .offset:         72
        .size:           8
        .value_kind:     hidden_global_offset_y
      - .offset:         80
        .size:           8
        .value_kind:     hidden_global_offset_z
      - .offset:         88
        .size:           2
        .value_kind:     hidden_grid_dims
    .group_segment_fixed_size: 0
    .kernarg_segment_align: 8
    .kernarg_segment_size: 280
    .language:       OpenCL C
    .language_version:
      - 2
      - 0
    .max_flat_workgroup_size: 256
    .name:           _ZN7rocprim6detail31init_lookback_scan_state_kernelINS0_19lookback_scan_stateIjLb1ELb1EEEEEvT_jjPNS4_10value_typeE
    .private_segment_fixed_size: 0
    .sgpr_count:     16
    .sgpr_spill_count: 0
    .symbol:         _ZN7rocprim6detail31init_lookback_scan_state_kernelINS0_19lookback_scan_stateIjLb1ELb1EEEEEvT_jjPNS4_10value_typeE.kd
    .uniform_work_group_size: 1
    .uses_dynamic_stack: false
    .vgpr_count:     6
    .vgpr_spill_count: 0
    .wavefront_size: 64
  - .agpr_count:     0
    .args:
      - .address_space:  global
        .offset:         0
        .size:           8
        .value_kind:     global_buffer
      - .offset:         8
        .size:           4
        .value_kind:     by_value
      - .offset:         12
        .size:           4
        .value_kind:     by_value
      - .address_space:  global
        .offset:         16
        .size:           8
        .value_kind:     global_buffer
      - .offset:         24
        .size:           4
        .value_kind:     hidden_block_count_x
      - .offset:         28
        .size:           4
        .value_kind:     hidden_block_count_y
      - .offset:         32
        .size:           4
        .value_kind:     hidden_block_count_z
      - .offset:         36
        .size:           2
        .value_kind:     hidden_group_size_x
      - .offset:         38
        .size:           2
        .value_kind:     hidden_group_size_y
      - .offset:         40
        .size:           2
        .value_kind:     hidden_group_size_z
      - .offset:         42
        .size:           2
        .value_kind:     hidden_remainder_x
      - .offset:         44
        .size:           2
        .value_kind:     hidden_remainder_y
      - .offset:         46
        .size:           2
        .value_kind:     hidden_remainder_z
      - .offset:         64
        .size:           8
        .value_kind:     hidden_global_offset_x
      - .offset:         72
        .size:           8
        .value_kind:     hidden_global_offset_y
      - .offset:         80
        .size:           8
        .value_kind:     hidden_global_offset_z
      - .offset:         88
        .size:           2
        .value_kind:     hidden_grid_dims
    .group_segment_fixed_size: 0
    .kernarg_segment_align: 8
    .kernarg_segment_size: 280
    .language:       OpenCL C
    .language_version:
      - 2
      - 0
    .max_flat_workgroup_size: 256
    .name:           _ZN7rocprim6detail31init_lookback_scan_state_kernelINS0_19lookback_scan_stateIjLb0ELb1EEEEEvT_jjPNS4_10value_typeE
    .private_segment_fixed_size: 0
    .sgpr_count:     14
    .sgpr_spill_count: 0
    .symbol:         _ZN7rocprim6detail31init_lookback_scan_state_kernelINS0_19lookback_scan_stateIjLb0ELb1EEEEEvT_jjPNS4_10value_typeE.kd
    .uniform_work_group_size: 1
    .uses_dynamic_stack: false
    .vgpr_count:     6
    .vgpr_spill_count: 0
    .wavefront_size: 64
  - .agpr_count:     0
    .args:
      - .offset:         0
        .size:           4
        .value_kind:     by_value
      - .offset:         8
        .size:           24
        .value_kind:     by_value
      - .offset:         32
        .size:           8
        .value_kind:     by_value
      - .offset:         40
        .size:           4
        .value_kind:     by_value
      - .offset:         44
        .size:           1
        .value_kind:     by_value
      - .address_space:  global
        .offset:         48
        .size:           8
        .value_kind:     global_buffer
      - .offset:         56
        .size:           4
        .value_kind:     by_value
      - .address_space:  global
        .offset:         64
        .size:           8
        .value_kind:     global_buffer
      - .address_space:  global
        .offset:         72
        .size:           8
        .value_kind:     global_buffer
      - .offset:         80
        .size:           1
        .value_kind:     by_value
      - .offset:         81
        .size:           1
        .value_kind:     by_value
    .group_segment_fixed_size: 0
    .kernarg_segment_align: 8
    .kernarg_segment_size: 84
    .language:       OpenCL C
    .language_version:
      - 2
      - 0
    .max_flat_workgroup_size: 128
    .name:           _ZN7rocprim6detail20lookback_scan_kernelILNS0_25lookback_scan_determinismE0ELb0ENS0_19wrapped_scan_configINS_14default_configEjEEN6hipcub21CountingInputIteratorIjlEEN10test_utils21single_index_iteratorIjEENS6_3SumEjjNS0_19lookback_scan_stateIjLb1ELb1EEEEEvT2_T3_mT5_T4_T7_jPT6_SL_bb
    .private_segment_fixed_size: 0
    .sgpr_count:     4
    .sgpr_spill_count: 0
    .symbol:         _ZN7rocprim6detail20lookback_scan_kernelILNS0_25lookback_scan_determinismE0ELb0ENS0_19wrapped_scan_configINS_14default_configEjEEN6hipcub21CountingInputIteratorIjlEEN10test_utils21single_index_iteratorIjEENS6_3SumEjjNS0_19lookback_scan_stateIjLb1ELb1EEEEEvT2_T3_mT5_T4_T7_jPT6_SL_bb.kd
    .uniform_work_group_size: 1
    .uses_dynamic_stack: false
    .vgpr_count:     0
    .vgpr_spill_count: 0
    .wavefront_size: 64
  - .agpr_count:     0
    .args:
      - .offset:         0
        .size:           4
        .value_kind:     by_value
      - .offset:         8
        .size:           24
        .value_kind:     by_value
      - .offset:         32
        .size:           8
        .value_kind:     by_value
      - .offset:         40
        .size:           4
        .value_kind:     by_value
      - .offset:         44
        .size:           1
        .value_kind:     by_value
      - .address_space:  global
        .offset:         48
        .size:           8
        .value_kind:     global_buffer
      - .offset:         56
        .size:           4
        .value_kind:     by_value
      - .address_space:  global
        .offset:         64
        .size:           8
        .value_kind:     global_buffer
      - .address_space:  global
        .offset:         72
        .size:           8
        .value_kind:     global_buffer
      - .offset:         80
        .size:           1
        .value_kind:     by_value
      - .offset:         81
        .size:           1
        .value_kind:     by_value
    .group_segment_fixed_size: 5120
    .kernarg_segment_align: 8
    .kernarg_segment_size: 84
    .language:       OpenCL C
    .language_version:
      - 2
      - 0
    .max_flat_workgroup_size: 128
    .name:           _ZN7rocprim6detail20lookback_scan_kernelILNS0_25lookback_scan_determinismE0ELb0ENS0_19wrapped_scan_configINS_14default_configEjEEN6hipcub21CountingInputIteratorIjlEEN10test_utils21single_index_iteratorIjEENS6_3SumEjjNS0_19lookback_scan_stateIjLb0ELb1EEEEEvT2_T3_mT5_T4_T7_jPT6_SL_bb
    .private_segment_fixed_size: 0
    .sgpr_count:     38
    .sgpr_spill_count: 0
    .symbol:         _ZN7rocprim6detail20lookback_scan_kernelILNS0_25lookback_scan_determinismE0ELb0ENS0_19wrapped_scan_configINS_14default_configEjEEN6hipcub21CountingInputIteratorIjlEEN10test_utils21single_index_iteratorIjEENS6_3SumEjjNS0_19lookback_scan_stateIjLb0ELb1EEEEEvT2_T3_mT5_T4_T7_jPT6_SL_bb.kd
    .uniform_work_group_size: 1
    .uses_dynamic_stack: false
    .vgpr_count:     40
    .vgpr_spill_count: 0
    .wavefront_size: 64
  - .agpr_count:     0
    .args:
      - .address_space:  global
        .offset:         0
        .size:           8
        .value_kind:     global_buffer
      - .offset:         8
        .size:           8
        .value_kind:     by_value
      - .address_space:  global
        .offset:         16
        .size:           8
        .value_kind:     global_buffer
      - .offset:         24
        .size:           1
        .value_kind:     by_value
      - .offset:         32
        .size:           4
        .value_kind:     hidden_block_count_x
      - .offset:         36
        .size:           4
        .value_kind:     hidden_block_count_y
      - .offset:         40
        .size:           4
        .value_kind:     hidden_block_count_z
      - .offset:         44
        .size:           2
        .value_kind:     hidden_group_size_x
      - .offset:         46
        .size:           2
        .value_kind:     hidden_group_size_y
      - .offset:         48
        .size:           2
        .value_kind:     hidden_group_size_z
      - .offset:         50
        .size:           2
        .value_kind:     hidden_remainder_x
      - .offset:         52
        .size:           2
        .value_kind:     hidden_remainder_y
      - .offset:         54
        .size:           2
        .value_kind:     hidden_remainder_z
      - .offset:         72
        .size:           8
        .value_kind:     hidden_global_offset_x
      - .offset:         80
        .size:           8
        .value_kind:     hidden_global_offset_y
      - .offset:         88
        .size:           8
        .value_kind:     hidden_global_offset_z
      - .offset:         96
        .size:           2
        .value_kind:     hidden_grid_dims
    .group_segment_fixed_size: 0
    .kernarg_segment_align: 8
    .kernarg_segment_size: 288
    .language:       OpenCL C
    .language_version:
      - 2
      - 0
    .max_flat_workgroup_size: 1024
    .name:           _ZN7rocprim6detail16transform_kernelINS0_24wrapped_transform_configINS_14default_configEjEEjPjS5_NS_8identityIjEEEEvT1_mT2_T3_
    .private_segment_fixed_size: 0
    .sgpr_count:     16
    .sgpr_spill_count: 0
    .symbol:         _ZN7rocprim6detail16transform_kernelINS0_24wrapped_transform_configINS_14default_configEjEEjPjS5_NS_8identityIjEEEEvT1_mT2_T3_.kd
    .uniform_work_group_size: 1
    .uses_dynamic_stack: false
    .vgpr_count:     7
    .vgpr_spill_count: 0
    .wavefront_size: 64
  - .agpr_count:     0
    .args:
      - .offset:         0
        .size:           4
        .value_kind:     by_value
      - .offset:         8
        .size:           8
        .value_kind:     by_value
      - .offset:         16
        .size:           4
        .value_kind:     by_value
      - .offset:         24
        .size:           24
        .value_kind:     by_value
      - .offset:         48
        .size:           1
        .value_kind:     by_value
    .group_segment_fixed_size: 5120
    .kernarg_segment_align: 8
    .kernarg_segment_size: 52
    .language:       OpenCL C
    .language_version:
      - 2
      - 0
    .max_flat_workgroup_size: 128
    .name:           _ZN7rocprim6detail18single_scan_kernelILb0ENS0_19wrapped_scan_configINS_14default_configEjEEN6hipcub21CountingInputIteratorIjlEEN10test_utils21single_index_iteratorIjEENS5_3SumEjjEEvT1_mT4_T2_T3_
    .private_segment_fixed_size: 0
    .sgpr_count:     32
    .sgpr_spill_count: 0
    .symbol:         _ZN7rocprim6detail18single_scan_kernelILb0ENS0_19wrapped_scan_configINS_14default_configEjEEN6hipcub21CountingInputIteratorIjlEEN10test_utils21single_index_iteratorIjEENS5_3SumEjjEEvT1_mT4_T2_T3_.kd
    .uniform_work_group_size: 1
    .uses_dynamic_stack: false
    .vgpr_count:     21
    .vgpr_spill_count: 0
    .wavefront_size: 64
  - .agpr_count:     0
    .args:
      - .offset:         0
        .size:           4
        .value_kind:     by_value
      - .offset:         8
        .size:           24
        .value_kind:     by_value
      - .offset:         32
        .size:           8
        .value_kind:     by_value
      - .offset:         40
        .size:           4
        .value_kind:     by_value
      - .offset:         44
        .size:           1
        .value_kind:     by_value
      - .address_space:  global
        .offset:         48
        .size:           8
        .value_kind:     global_buffer
      - .offset:         56
        .size:           4
        .value_kind:     by_value
      - .address_space:  global
        .offset:         64
        .size:           8
        .value_kind:     global_buffer
      - .address_space:  global
        .offset:         72
        .size:           8
        .value_kind:     global_buffer
      - .offset:         80
        .size:           1
        .value_kind:     by_value
      - .offset:         81
        .size:           1
        .value_kind:     by_value
    .group_segment_fixed_size: 0
    .kernarg_segment_align: 8
    .kernarg_segment_size: 84
    .language:       OpenCL C
    .language_version:
      - 2
      - 0
    .max_flat_workgroup_size: 128
    .name:           _ZN7rocprim6detail20lookback_scan_kernelILNS0_25lookback_scan_determinismE0ELb1ENS0_19wrapped_scan_configINS_14default_configEjEEN6hipcub21CountingInputIteratorIjlEEN10test_utils21single_index_iteratorIjEENS6_3SumEjjNS0_19lookback_scan_stateIjLb1ELb1EEEEEvT2_T3_mT5_T4_T7_jPT6_SL_bb
    .private_segment_fixed_size: 0
    .sgpr_count:     4
    .sgpr_spill_count: 0
    .symbol:         _ZN7rocprim6detail20lookback_scan_kernelILNS0_25lookback_scan_determinismE0ELb1ENS0_19wrapped_scan_configINS_14default_configEjEEN6hipcub21CountingInputIteratorIjlEEN10test_utils21single_index_iteratorIjEENS6_3SumEjjNS0_19lookback_scan_stateIjLb1ELb1EEEEEvT2_T3_mT5_T4_T7_jPT6_SL_bb.kd
    .uniform_work_group_size: 1
    .uses_dynamic_stack: false
    .vgpr_count:     0
    .vgpr_spill_count: 0
    .wavefront_size: 64
  - .agpr_count:     0
    .args:
      - .offset:         0
        .size:           4
        .value_kind:     by_value
      - .offset:         8
        .size:           24
        .value_kind:     by_value
      - .offset:         32
        .size:           8
        .value_kind:     by_value
      - .offset:         40
        .size:           4
        .value_kind:     by_value
      - .offset:         44
        .size:           1
        .value_kind:     by_value
      - .address_space:  global
        .offset:         48
        .size:           8
        .value_kind:     global_buffer
      - .offset:         56
        .size:           4
        .value_kind:     by_value
      - .address_space:  global
        .offset:         64
        .size:           8
        .value_kind:     global_buffer
      - .address_space:  global
        .offset:         72
        .size:           8
        .value_kind:     global_buffer
      - .offset:         80
        .size:           1
        .value_kind:     by_value
      - .offset:         81
        .size:           1
        .value_kind:     by_value
    .group_segment_fixed_size: 5120
    .kernarg_segment_align: 8
    .kernarg_segment_size: 84
    .language:       OpenCL C
    .language_version:
      - 2
      - 0
    .max_flat_workgroup_size: 128
    .name:           _ZN7rocprim6detail20lookback_scan_kernelILNS0_25lookback_scan_determinismE0ELb1ENS0_19wrapped_scan_configINS_14default_configEjEEN6hipcub21CountingInputIteratorIjlEEN10test_utils21single_index_iteratorIjEENS6_3SumEjjNS0_19lookback_scan_stateIjLb0ELb1EEEEEvT2_T3_mT5_T4_T7_jPT6_SL_bb
    .private_segment_fixed_size: 0
    .sgpr_count:     38
    .sgpr_spill_count: 0
    .symbol:         _ZN7rocprim6detail20lookback_scan_kernelILNS0_25lookback_scan_determinismE0ELb1ENS0_19wrapped_scan_configINS_14default_configEjEEN6hipcub21CountingInputIteratorIjlEEN10test_utils21single_index_iteratorIjEENS6_3SumEjjNS0_19lookback_scan_stateIjLb0ELb1EEEEEvT2_T3_mT5_T4_T7_jPT6_SL_bb.kd
    .uniform_work_group_size: 1
    .uses_dynamic_stack: false
    .vgpr_count:     41
    .vgpr_spill_count: 0
    .wavefront_size: 64
  - .agpr_count:     0
    .args:
      - .offset:         0
        .size:           4
        .value_kind:     by_value
      - .offset:         8
        .size:           8
        .value_kind:     by_value
      - .offset:         16
        .size:           4
        .value_kind:     by_value
      - .offset:         24
        .size:           24
        .value_kind:     by_value
      - .offset:         48
        .size:           1
        .value_kind:     by_value
    .group_segment_fixed_size: 5120
    .kernarg_segment_align: 8
    .kernarg_segment_size: 52
    .language:       OpenCL C
    .language_version:
      - 2
      - 0
    .max_flat_workgroup_size: 128
    .name:           _ZN7rocprim6detail18single_scan_kernelILb1ENS0_19wrapped_scan_configINS_14default_configEjEEN6hipcub21CountingInputIteratorIjlEEN10test_utils21single_index_iteratorIjEENS5_3SumEjjEEvT1_mT4_T2_T3_
    .private_segment_fixed_size: 0
    .sgpr_count:     34
    .sgpr_spill_count: 0
    .symbol:         _ZN7rocprim6detail18single_scan_kernelILb1ENS0_19wrapped_scan_configINS_14default_configEjEEN6hipcub21CountingInputIteratorIjlEEN10test_utils21single_index_iteratorIjEENS5_3SumEjjEEvT1_mT4_T2_T3_.kd
    .uniform_work_group_size: 1
    .uses_dynamic_stack: false
    .vgpr_count:     19
    .vgpr_spill_count: 0
    .wavefront_size: 64
  - .agpr_count:     0
    .args:
      - .address_space:  global
        .offset:         0
        .size:           8
        .value_kind:     global_buffer
      - .offset:         8
        .size:           4
        .value_kind:     by_value
      - .offset:         12
        .size:           4
        .value_kind:     by_value
      - .address_space:  global
        .offset:         16
        .size:           8
        .value_kind:     global_buffer
      - .offset:         24
        .size:           4
        .value_kind:     hidden_block_count_x
      - .offset:         28
        .size:           4
        .value_kind:     hidden_block_count_y
      - .offset:         32
        .size:           4
        .value_kind:     hidden_block_count_z
      - .offset:         36
        .size:           2
        .value_kind:     hidden_group_size_x
      - .offset:         38
        .size:           2
        .value_kind:     hidden_group_size_y
      - .offset:         40
        .size:           2
        .value_kind:     hidden_group_size_z
      - .offset:         42
        .size:           2
        .value_kind:     hidden_remainder_x
      - .offset:         44
        .size:           2
        .value_kind:     hidden_remainder_y
      - .offset:         46
        .size:           2
        .value_kind:     hidden_remainder_z
      - .offset:         64
        .size:           8
        .value_kind:     hidden_global_offset_x
      - .offset:         72
        .size:           8
        .value_kind:     hidden_global_offset_y
      - .offset:         80
        .size:           8
        .value_kind:     hidden_global_offset_z
      - .offset:         88
        .size:           2
        .value_kind:     hidden_grid_dims
    .group_segment_fixed_size: 0
    .kernarg_segment_align: 8
    .kernarg_segment_size: 280
    .language:       OpenCL C
    .language_version:
      - 2
      - 0
    .max_flat_workgroup_size: 256
    .name:           _ZN7rocprim6detail31init_lookback_scan_state_kernelINS0_19lookback_scan_stateIlLb1ELb1EEEEEvT_jjPNS4_10value_typeE
    .private_segment_fixed_size: 0
    .sgpr_count:     18
    .sgpr_spill_count: 0
    .symbol:         _ZN7rocprim6detail31init_lookback_scan_state_kernelINS0_19lookback_scan_stateIlLb1ELb1EEEEEvT_jjPNS4_10value_typeE.kd
    .uniform_work_group_size: 1
    .uses_dynamic_stack: false
    .vgpr_count:     10
    .vgpr_spill_count: 0
    .wavefront_size: 64
  - .agpr_count:     0
    .args:
      - .address_space:  global
        .offset:         0
        .size:           8
        .value_kind:     global_buffer
      - .offset:         8
        .size:           4
        .value_kind:     by_value
      - .offset:         12
        .size:           4
        .value_kind:     by_value
      - .address_space:  global
        .offset:         16
        .size:           8
        .value_kind:     global_buffer
      - .offset:         24
        .size:           4
        .value_kind:     hidden_block_count_x
      - .offset:         28
        .size:           4
        .value_kind:     hidden_block_count_y
      - .offset:         32
        .size:           4
        .value_kind:     hidden_block_count_z
      - .offset:         36
        .size:           2
        .value_kind:     hidden_group_size_x
      - .offset:         38
        .size:           2
        .value_kind:     hidden_group_size_y
      - .offset:         40
        .size:           2
        .value_kind:     hidden_group_size_z
      - .offset:         42
        .size:           2
        .value_kind:     hidden_remainder_x
      - .offset:         44
        .size:           2
        .value_kind:     hidden_remainder_y
      - .offset:         46
        .size:           2
        .value_kind:     hidden_remainder_z
      - .offset:         64
        .size:           8
        .value_kind:     hidden_global_offset_x
      - .offset:         72
        .size:           8
        .value_kind:     hidden_global_offset_y
      - .offset:         80
        .size:           8
        .value_kind:     hidden_global_offset_z
      - .offset:         88
        .size:           2
        .value_kind:     hidden_grid_dims
    .group_segment_fixed_size: 0
    .kernarg_segment_align: 8
    .kernarg_segment_size: 280
    .language:       OpenCL C
    .language_version:
      - 2
      - 0
    .max_flat_workgroup_size: 256
    .name:           _ZN7rocprim6detail31init_lookback_scan_state_kernelINS0_19lookback_scan_stateIlLb0ELb1EEEEEvT_jjPNS4_10value_typeE
    .private_segment_fixed_size: 0
    .sgpr_count:     18
    .sgpr_spill_count: 0
    .symbol:         _ZN7rocprim6detail31init_lookback_scan_state_kernelINS0_19lookback_scan_stateIlLb0ELb1EEEEEvT_jjPNS4_10value_typeE.kd
    .uniform_work_group_size: 1
    .uses_dynamic_stack: false
    .vgpr_count:     10
    .vgpr_spill_count: 0
    .wavefront_size: 64
  - .agpr_count:     0
    .args:
      - .offset:         0
        .size:           16
        .value_kind:     by_value
      - .address_space:  global
        .offset:         16
        .size:           8
        .value_kind:     global_buffer
      - .offset:         24
        .size:           8
        .value_kind:     by_value
      - .address_space:  global
        .offset:         32
        .size:           8
        .value_kind:     global_buffer
      - .offset:         40
        .size:           1
        .value_kind:     by_value
      - .address_space:  global
        .offset:         48
        .size:           8
        .value_kind:     global_buffer
      - .offset:         56
        .size:           4
        .value_kind:     by_value
      - .address_space:  global
        .offset:         64
        .size:           8
        .value_kind:     global_buffer
      - .address_space:  global
        .offset:         72
        .size:           8
        .value_kind:     global_buffer
      - .offset:         80
        .size:           1
        .value_kind:     by_value
      - .offset:         81
        .size:           1
        .value_kind:     by_value
    .group_segment_fixed_size: 0
    .kernarg_segment_align: 8
    .kernarg_segment_size: 84
    .language:       OpenCL C
    .language_version:
      - 2
      - 0
    .max_flat_workgroup_size: 64
    .name:           _ZN7rocprim6detail20lookback_scan_kernelILNS0_25lookback_scan_determinismE0ELb1ENS0_19wrapped_scan_configINS_14default_configElEEN6hipcub22TransformInputIteratorIiNS6_6CastOpIiEEPilEEPlNS6_3SumENS_12future_valueIlSC_EElNS0_19lookback_scan_stateIlLb1ELb1EEEEEvT2_T3_mT5_T4_T7_jPT6_SO_bb
    .private_segment_fixed_size: 0
    .sgpr_count:     4
    .sgpr_spill_count: 0
    .symbol:         _ZN7rocprim6detail20lookback_scan_kernelILNS0_25lookback_scan_determinismE0ELb1ENS0_19wrapped_scan_configINS_14default_configElEEN6hipcub22TransformInputIteratorIiNS6_6CastOpIiEEPilEEPlNS6_3SumENS_12future_valueIlSC_EElNS0_19lookback_scan_stateIlLb1ELb1EEEEEvT2_T3_mT5_T4_T7_jPT6_SO_bb.kd
    .uniform_work_group_size: 1
    .uses_dynamic_stack: false
    .vgpr_count:     0
    .vgpr_spill_count: 0
    .wavefront_size: 64
  - .agpr_count:     0
    .args:
      - .offset:         0
        .size:           16
        .value_kind:     by_value
      - .address_space:  global
        .offset:         16
        .size:           8
        .value_kind:     global_buffer
      - .offset:         24
        .size:           8
        .value_kind:     by_value
      - .address_space:  global
        .offset:         32
        .size:           8
        .value_kind:     global_buffer
      - .offset:         40
        .size:           1
        .value_kind:     by_value
      - .address_space:  global
        .offset:         48
        .size:           8
        .value_kind:     global_buffer
      - .offset:         56
        .size:           4
        .value_kind:     by_value
      - .address_space:  global
        .offset:         64
        .size:           8
        .value_kind:     global_buffer
      - .address_space:  global
        .offset:         72
        .size:           8
        .value_kind:     global_buffer
      - .offset:         80
        .size:           1
        .value_kind:     by_value
      - .offset:         81
        .size:           1
        .value_kind:     by_value
    .group_segment_fixed_size: 10752
    .kernarg_segment_align: 8
    .kernarg_segment_size: 84
    .language:       OpenCL C
    .language_version:
      - 2
      - 0
    .max_flat_workgroup_size: 64
    .name:           _ZN7rocprim6detail20lookback_scan_kernelILNS0_25lookback_scan_determinismE0ELb1ENS0_19wrapped_scan_configINS_14default_configElEEN6hipcub22TransformInputIteratorIiNS6_6CastOpIiEEPilEEPlNS6_3SumENS_12future_valueIlSC_EElNS0_19lookback_scan_stateIlLb0ELb1EEEEEvT2_T3_mT5_T4_T7_jPT6_SO_bb
    .private_segment_fixed_size: 0
    .sgpr_count:     32
    .sgpr_spill_count: 0
    .symbol:         _ZN7rocprim6detail20lookback_scan_kernelILNS0_25lookback_scan_determinismE0ELb1ENS0_19wrapped_scan_configINS_14default_configElEEN6hipcub22TransformInputIteratorIiNS6_6CastOpIiEEPilEEPlNS6_3SumENS_12future_valueIlSC_EElNS0_19lookback_scan_stateIlLb0ELb1EEEEEvT2_T3_mT5_T4_T7_jPT6_SO_bb.kd
    .uniform_work_group_size: 1
    .uses_dynamic_stack: false
    .vgpr_count:     89
    .vgpr_spill_count: 0
    .wavefront_size: 64
  - .agpr_count:     0
    .args:
      - .address_space:  global
        .offset:         0
        .size:           8
        .value_kind:     global_buffer
      - .offset:         8
        .size:           8
        .value_kind:     by_value
      - .address_space:  global
        .offset:         16
        .size:           8
        .value_kind:     global_buffer
      - .offset:         24
        .size:           1
        .value_kind:     by_value
      - .offset:         32
        .size:           4
        .value_kind:     hidden_block_count_x
      - .offset:         36
        .size:           4
        .value_kind:     hidden_block_count_y
      - .offset:         40
        .size:           4
        .value_kind:     hidden_block_count_z
      - .offset:         44
        .size:           2
        .value_kind:     hidden_group_size_x
      - .offset:         46
        .size:           2
        .value_kind:     hidden_group_size_y
      - .offset:         48
        .size:           2
        .value_kind:     hidden_group_size_z
      - .offset:         50
        .size:           2
        .value_kind:     hidden_remainder_x
      - .offset:         52
        .size:           2
        .value_kind:     hidden_remainder_y
      - .offset:         54
        .size:           2
        .value_kind:     hidden_remainder_z
      - .offset:         72
        .size:           8
        .value_kind:     hidden_global_offset_x
      - .offset:         80
        .size:           8
        .value_kind:     hidden_global_offset_y
      - .offset:         88
        .size:           8
        .value_kind:     hidden_global_offset_z
      - .offset:         96
        .size:           2
        .value_kind:     hidden_grid_dims
    .group_segment_fixed_size: 0
    .kernarg_segment_align: 8
    .kernarg_segment_size: 288
    .language:       OpenCL C
    .language_version:
      - 2
      - 0
    .max_flat_workgroup_size: 256
    .name:           _ZN7rocprim6detail16transform_kernelINS0_24wrapped_transform_configINS_14default_configElEElPlS5_NS_8identityIlEEEEvT1_mT2_T3_
    .private_segment_fixed_size: 0
    .sgpr_count:     16
    .sgpr_spill_count: 0
    .symbol:         _ZN7rocprim6detail16transform_kernelINS0_24wrapped_transform_configINS_14default_configElEElPlS5_NS_8identityIlEEEEvT1_mT2_T3_.kd
    .uniform_work_group_size: 1
    .uses_dynamic_stack: false
    .vgpr_count:     8
    .vgpr_spill_count: 0
    .wavefront_size: 64
  - .agpr_count:     0
    .args:
      - .offset:         0
        .size:           16
        .value_kind:     by_value
      - .offset:         16
        .size:           8
        .value_kind:     by_value
      - .address_space:  global
        .offset:         24
        .size:           8
        .value_kind:     global_buffer
      - .address_space:  global
        .offset:         32
        .size:           8
        .value_kind:     global_buffer
      - .offset:         40
        .size:           1
        .value_kind:     by_value
    .group_segment_fixed_size: 10752
    .kernarg_segment_align: 8
    .kernarg_segment_size: 44
    .language:       OpenCL C
    .language_version:
      - 2
      - 0
    .max_flat_workgroup_size: 64
    .name:           _ZN7rocprim6detail18single_scan_kernelILb1ENS0_19wrapped_scan_configINS_14default_configElEEN6hipcub22TransformInputIteratorIiNS5_6CastOpIiEEPilEEPlNS5_3SumENS_12future_valueIlSB_EElEEvT1_mT4_T2_T3_
    .private_segment_fixed_size: 0
    .sgpr_count:     58
    .sgpr_spill_count: 0
    .symbol:         _ZN7rocprim6detail18single_scan_kernelILb1ENS0_19wrapped_scan_configINS_14default_configElEEN6hipcub22TransformInputIteratorIiNS5_6CastOpIiEEPilEEPlNS5_3SumENS_12future_valueIlSB_EElEEvT1_mT4_T2_T3_.kd
    .uniform_work_group_size: 1
    .uses_dynamic_stack: false
    .vgpr_count:     52
    .vgpr_spill_count: 0
    .wavefront_size: 64
  - .agpr_count:     0
    .args:
      - .address_space:  global
        .offset:         0
        .size:           8
        .value_kind:     global_buffer
      - .offset:         8
        .size:           8
        .value_kind:     by_value
    .group_segment_fixed_size: 0
    .kernarg_segment_align: 8
    .kernarg_segment_size: 16
    .language:       OpenCL C
    .language_version:
      - 2
      - 0
    .max_flat_workgroup_size: 1024
    .name:           _ZL18fill_initial_valueIlEvPT_S0_
    .private_segment_fixed_size: 0
    .sgpr_count:     10
    .sgpr_spill_count: 0
    .symbol:         _ZL18fill_initial_valueIlEvPT_S0_.kd
    .uniform_work_group_size: 1
    .uses_dynamic_stack: false
    .vgpr_count:     3
    .vgpr_spill_count: 0
    .wavefront_size: 64
  - .agpr_count:     0
    .args:
      - .offset:         0
        .size:           16
        .value_kind:     by_value
      - .address_space:  global
        .offset:         16
        .size:           8
        .value_kind:     global_buffer
      - .offset:         24
        .size:           8
        .value_kind:     by_value
      - .address_space:  global
        .offset:         32
        .size:           8
        .value_kind:     global_buffer
      - .offset:         40
        .size:           1
        .value_kind:     by_value
      - .address_space:  global
        .offset:         48
        .size:           8
        .value_kind:     global_buffer
      - .offset:         56
        .size:           4
        .value_kind:     by_value
      - .address_space:  global
        .offset:         64
        .size:           8
        .value_kind:     global_buffer
      - .address_space:  global
        .offset:         72
        .size:           8
        .value_kind:     global_buffer
      - .offset:         80
        .size:           1
        .value_kind:     by_value
      - .offset:         81
        .size:           1
        .value_kind:     by_value
    .group_segment_fixed_size: 0
    .kernarg_segment_align: 8
    .kernarg_segment_size: 84
    .language:       OpenCL C
    .language_version:
      - 2
      - 0
    .max_flat_workgroup_size: 64
    .name:           _ZN7rocprim6detail20lookback_scan_kernelILNS0_25lookback_scan_determinismE0ELb1ENS0_19wrapped_scan_configINS_14default_configE6__halfEEN6hipcub22TransformInputIteratorIS5_NS7_6CastOpIS5_EEPS5_lEESB_NS7_3MaxENS_12future_valueIS5_SB_EES5_NS0_19lookback_scan_stateIS5_Lb1ELb1EEEEEvT2_T3_mT5_T4_T7_jPT6_SO_bb
    .private_segment_fixed_size: 0
    .sgpr_count:     4
    .sgpr_spill_count: 0
    .symbol:         _ZN7rocprim6detail20lookback_scan_kernelILNS0_25lookback_scan_determinismE0ELb1ENS0_19wrapped_scan_configINS_14default_configE6__halfEEN6hipcub22TransformInputIteratorIS5_NS7_6CastOpIS5_EEPS5_lEESB_NS7_3MaxENS_12future_valueIS5_SB_EES5_NS0_19lookback_scan_stateIS5_Lb1ELb1EEEEEvT2_T3_mT5_T4_T7_jPT6_SO_bb.kd
    .uniform_work_group_size: 1
    .uses_dynamic_stack: false
    .vgpr_count:     0
    .vgpr_spill_count: 0
    .wavefront_size: 64
  - .agpr_count:     0
    .args:
      - .offset:         0
        .size:           16
        .value_kind:     by_value
      - .address_space:  global
        .offset:         16
        .size:           8
        .value_kind:     global_buffer
      - .offset:         24
        .size:           8
        .value_kind:     by_value
      - .address_space:  global
        .offset:         32
        .size:           8
        .value_kind:     global_buffer
      - .offset:         40
        .size:           1
        .value_kind:     by_value
      - .address_space:  global
        .offset:         48
        .size:           8
        .value_kind:     global_buffer
      - .offset:         56
        .size:           4
        .value_kind:     by_value
      - .address_space:  global
        .offset:         64
        .size:           8
        .value_kind:     global_buffer
      - .address_space:  global
        .offset:         72
        .size:           8
        .value_kind:     global_buffer
      - .offset:         80
        .size:           1
        .value_kind:     by_value
      - .offset:         81
        .size:           1
        .value_kind:     by_value
    .group_segment_fixed_size: 3072
    .kernarg_segment_align: 8
    .kernarg_segment_size: 84
    .language:       OpenCL C
    .language_version:
      - 2
      - 0
    .max_flat_workgroup_size: 64
    .name:           _ZN7rocprim6detail20lookback_scan_kernelILNS0_25lookback_scan_determinismE0ELb1ENS0_19wrapped_scan_configINS_14default_configE6__halfEEN6hipcub22TransformInputIteratorIS5_NS7_6CastOpIS5_EEPS5_lEESB_NS7_3MaxENS_12future_valueIS5_SB_EES5_NS0_19lookback_scan_stateIS5_Lb0ELb1EEEEEvT2_T3_mT5_T4_T7_jPT6_SO_bb
    .private_segment_fixed_size: 0
    .sgpr_count:     36
    .sgpr_spill_count: 0
    .symbol:         _ZN7rocprim6detail20lookback_scan_kernelILNS0_25lookback_scan_determinismE0ELb1ENS0_19wrapped_scan_configINS_14default_configE6__halfEEN6hipcub22TransformInputIteratorIS5_NS7_6CastOpIS5_EEPS5_lEESB_NS7_3MaxENS_12future_valueIS5_SB_EES5_NS0_19lookback_scan_stateIS5_Lb0ELb1EEEEEvT2_T3_mT5_T4_T7_jPT6_SO_bb.kd
    .uniform_work_group_size: 1
    .uses_dynamic_stack: false
    .vgpr_count:     57
    .vgpr_spill_count: 0
    .wavefront_size: 64
  - .agpr_count:     0
    .args:
      - .offset:         0
        .size:           16
        .value_kind:     by_value
      - .offset:         16
        .size:           8
        .value_kind:     by_value
      - .address_space:  global
        .offset:         24
        .size:           8
        .value_kind:     global_buffer
      - .address_space:  global
        .offset:         32
        .size:           8
        .value_kind:     global_buffer
      - .offset:         40
        .size:           1
        .value_kind:     by_value
    .group_segment_fixed_size: 3072
    .kernarg_segment_align: 8
    .kernarg_segment_size: 44
    .language:       OpenCL C
    .language_version:
      - 2
      - 0
    .max_flat_workgroup_size: 64
    .name:           _ZN7rocprim6detail18single_scan_kernelILb1ENS0_19wrapped_scan_configINS_14default_configE6__halfEEN6hipcub22TransformInputIteratorIS4_NS6_6CastOpIS4_EEPS4_lEESA_NS6_3MaxENS_12future_valueIS4_SA_EES4_EEvT1_mT4_T2_T3_
    .private_segment_fixed_size: 0
    .sgpr_count:     60
    .sgpr_spill_count: 0
    .symbol:         _ZN7rocprim6detail18single_scan_kernelILb1ENS0_19wrapped_scan_configINS_14default_configE6__halfEEN6hipcub22TransformInputIteratorIS4_NS6_6CastOpIS4_EEPS4_lEESA_NS6_3MaxENS_12future_valueIS4_SA_EES4_EEvT1_mT4_T2_T3_.kd
    .uniform_work_group_size: 1
    .uses_dynamic_stack: false
    .vgpr_count:     31
    .vgpr_spill_count: 0
    .wavefront_size: 64
  - .agpr_count:     0
    .args:
      - .address_space:  global
        .offset:         0
        .size:           8
        .value_kind:     global_buffer
      - .offset:         8
        .size:           2
        .value_kind:     by_value
    .group_segment_fixed_size: 0
    .kernarg_segment_align: 8
    .kernarg_segment_size: 12
    .language:       OpenCL C
    .language_version:
      - 2
      - 0
    .max_flat_workgroup_size: 1024
    .name:           _ZL18fill_initial_valueI6__halfEvPT_S1_
    .private_segment_fixed_size: 0
    .sgpr_count:     10
    .sgpr_spill_count: 0
    .symbol:         _ZL18fill_initial_valueI6__halfEvPT_S1_.kd
    .uniform_work_group_size: 1
    .uses_dynamic_stack: false
    .vgpr_count:     2
    .vgpr_spill_count: 0
    .wavefront_size: 64
  - .agpr_count:     0
    .args:
      - .offset:         0
        .size:           16
        .value_kind:     by_value
      - .address_space:  global
        .offset:         16
        .size:           8
        .value_kind:     global_buffer
      - .offset:         24
        .size:           8
        .value_kind:     by_value
      - .address_space:  global
        .offset:         32
        .size:           8
        .value_kind:     global_buffer
      - .offset:         40
        .size:           1
        .value_kind:     by_value
      - .address_space:  global
        .offset:         48
        .size:           8
        .value_kind:     global_buffer
      - .offset:         56
        .size:           4
        .value_kind:     by_value
      - .address_space:  global
        .offset:         64
        .size:           8
        .value_kind:     global_buffer
      - .address_space:  global
        .offset:         72
        .size:           8
        .value_kind:     global_buffer
      - .offset:         80
        .size:           1
        .value_kind:     by_value
      - .offset:         81
        .size:           1
        .value_kind:     by_value
    .group_segment_fixed_size: 0
    .kernarg_segment_align: 8
    .kernarg_segment_size: 84
    .language:       OpenCL C
    .language_version:
      - 2
      - 0
    .max_flat_workgroup_size: 64
    .name:           _ZN7rocprim6detail20lookback_scan_kernelILNS0_25lookback_scan_determinismE0ELb1ENS0_19wrapped_scan_configINS_14default_configE12hip_bfloat16EEN6hipcub22TransformInputIteratorIS5_NS7_6CastOpIS5_EEPS5_lEESB_NS7_3MaxENS_12future_valueIS5_SB_EES5_NS0_19lookback_scan_stateIS5_Lb1ELb1EEEEEvT2_T3_mT5_T4_T7_jPT6_SO_bb
    .private_segment_fixed_size: 0
    .sgpr_count:     4
    .sgpr_spill_count: 0
    .symbol:         _ZN7rocprim6detail20lookback_scan_kernelILNS0_25lookback_scan_determinismE0ELb1ENS0_19wrapped_scan_configINS_14default_configE12hip_bfloat16EEN6hipcub22TransformInputIteratorIS5_NS7_6CastOpIS5_EEPS5_lEESB_NS7_3MaxENS_12future_valueIS5_SB_EES5_NS0_19lookback_scan_stateIS5_Lb1ELb1EEEEEvT2_T3_mT5_T4_T7_jPT6_SO_bb.kd
    .uniform_work_group_size: 1
    .uses_dynamic_stack: false
    .vgpr_count:     0
    .vgpr_spill_count: 0
    .wavefront_size: 64
  - .agpr_count:     0
    .args:
      - .offset:         0
        .size:           16
        .value_kind:     by_value
      - .address_space:  global
        .offset:         16
        .size:           8
        .value_kind:     global_buffer
      - .offset:         24
        .size:           8
        .value_kind:     by_value
      - .address_space:  global
        .offset:         32
        .size:           8
        .value_kind:     global_buffer
      - .offset:         40
        .size:           1
        .value_kind:     by_value
      - .address_space:  global
        .offset:         48
        .size:           8
        .value_kind:     global_buffer
      - .offset:         56
        .size:           4
        .value_kind:     by_value
      - .address_space:  global
        .offset:         64
        .size:           8
        .value_kind:     global_buffer
      - .address_space:  global
        .offset:         72
        .size:           8
        .value_kind:     global_buffer
      - .offset:         80
        .size:           1
        .value_kind:     by_value
      - .offset:         81
        .size:           1
        .value_kind:     by_value
    .group_segment_fixed_size: 3072
    .kernarg_segment_align: 8
    .kernarg_segment_size: 84
    .language:       OpenCL C
    .language_version:
      - 2
      - 0
    .max_flat_workgroup_size: 64
    .name:           _ZN7rocprim6detail20lookback_scan_kernelILNS0_25lookback_scan_determinismE0ELb1ENS0_19wrapped_scan_configINS_14default_configE12hip_bfloat16EEN6hipcub22TransformInputIteratorIS5_NS7_6CastOpIS5_EEPS5_lEESB_NS7_3MaxENS_12future_valueIS5_SB_EES5_NS0_19lookback_scan_stateIS5_Lb0ELb1EEEEEvT2_T3_mT5_T4_T7_jPT6_SO_bb
    .private_segment_fixed_size: 0
    .sgpr_count:     36
    .sgpr_spill_count: 0
    .symbol:         _ZN7rocprim6detail20lookback_scan_kernelILNS0_25lookback_scan_determinismE0ELb1ENS0_19wrapped_scan_configINS_14default_configE12hip_bfloat16EEN6hipcub22TransformInputIteratorIS5_NS7_6CastOpIS5_EEPS5_lEESB_NS7_3MaxENS_12future_valueIS5_SB_EES5_NS0_19lookback_scan_stateIS5_Lb0ELb1EEEEEvT2_T3_mT5_T4_T7_jPT6_SO_bb.kd
    .uniform_work_group_size: 1
    .uses_dynamic_stack: false
    .vgpr_count:     82
    .vgpr_spill_count: 0
    .wavefront_size: 64
  - .agpr_count:     0
    .args:
      - .offset:         0
        .size:           16
        .value_kind:     by_value
      - .offset:         16
        .size:           8
        .value_kind:     by_value
      - .address_space:  global
        .offset:         24
        .size:           8
        .value_kind:     global_buffer
      - .address_space:  global
        .offset:         32
        .size:           8
        .value_kind:     global_buffer
      - .offset:         40
        .size:           1
        .value_kind:     by_value
    .group_segment_fixed_size: 3072
    .kernarg_segment_align: 8
    .kernarg_segment_size: 44
    .language:       OpenCL C
    .language_version:
      - 2
      - 0
    .max_flat_workgroup_size: 64
    .name:           _ZN7rocprim6detail18single_scan_kernelILb1ENS0_19wrapped_scan_configINS_14default_configE12hip_bfloat16EEN6hipcub22TransformInputIteratorIS4_NS6_6CastOpIS4_EEPS4_lEESA_NS6_3MaxENS_12future_valueIS4_SA_EES4_EEvT1_mT4_T2_T3_
    .private_segment_fixed_size: 0
    .sgpr_count:     60
    .sgpr_spill_count: 0
    .symbol:         _ZN7rocprim6detail18single_scan_kernelILb1ENS0_19wrapped_scan_configINS_14default_configE12hip_bfloat16EEN6hipcub22TransformInputIteratorIS4_NS6_6CastOpIS4_EEPS4_lEESA_NS6_3MaxENS_12future_valueIS4_SA_EES4_EEvT1_mT4_T2_T3_.kd
    .uniform_work_group_size: 1
    .uses_dynamic_stack: false
    .vgpr_count:     57
    .vgpr_spill_count: 0
    .wavefront_size: 64
  - .agpr_count:     0
    .args:
      - .address_space:  global
        .offset:         0
        .size:           8
        .value_kind:     global_buffer
      - .offset:         8
        .size:           2
        .value_kind:     by_value
    .group_segment_fixed_size: 0
    .kernarg_segment_align: 8
    .kernarg_segment_size: 12
    .language:       OpenCL C
    .language_version:
      - 2
      - 0
    .max_flat_workgroup_size: 1024
    .name:           _ZL18fill_initial_valueI12hip_bfloat16EvPT_S1_
    .private_segment_fixed_size: 0
    .sgpr_count:     10
    .sgpr_spill_count: 0
    .symbol:         _ZL18fill_initial_valueI12hip_bfloat16EvPT_S1_.kd
    .uniform_work_group_size: 1
    .uses_dynamic_stack: false
    .vgpr_count:     2
    .vgpr_spill_count: 0
    .wavefront_size: 64
  - .agpr_count:     0
    .args:
      - .address_space:  global
        .offset:         0
        .size:           8
        .value_kind:     global_buffer
      - .offset:         8
        .size:           4
        .value_kind:     by_value
      - .offset:         12
        .size:           4
        .value_kind:     by_value
      - .address_space:  global
        .offset:         16
        .size:           8
        .value_kind:     global_buffer
      - .offset:         24
        .size:           4
        .value_kind:     hidden_block_count_x
      - .offset:         28
        .size:           4
        .value_kind:     hidden_block_count_y
      - .offset:         32
        .size:           4
        .value_kind:     hidden_block_count_z
      - .offset:         36
        .size:           2
        .value_kind:     hidden_group_size_x
      - .offset:         38
        .size:           2
        .value_kind:     hidden_group_size_y
      - .offset:         40
        .size:           2
        .value_kind:     hidden_group_size_z
      - .offset:         42
        .size:           2
        .value_kind:     hidden_remainder_x
      - .offset:         44
        .size:           2
        .value_kind:     hidden_remainder_y
      - .offset:         46
        .size:           2
        .value_kind:     hidden_remainder_z
      - .offset:         64
        .size:           8
        .value_kind:     hidden_global_offset_x
      - .offset:         72
        .size:           8
        .value_kind:     hidden_global_offset_y
      - .offset:         80
        .size:           8
        .value_kind:     hidden_global_offset_z
      - .offset:         88
        .size:           2
        .value_kind:     hidden_grid_dims
    .group_segment_fixed_size: 0
    .kernarg_segment_align: 8
    .kernarg_segment_size: 280
    .language:       OpenCL C
    .language_version:
      - 2
      - 0
    .max_flat_workgroup_size: 256
    .name:           _ZN7rocprim6detail31init_lookback_scan_state_kernelINS0_19lookback_scan_stateIdLb1ELb1EEEEEvT_jjPNS4_10value_typeE
    .private_segment_fixed_size: 0
    .sgpr_count:     18
    .sgpr_spill_count: 0
    .symbol:         _ZN7rocprim6detail31init_lookback_scan_state_kernelINS0_19lookback_scan_stateIdLb1ELb1EEEEEvT_jjPNS4_10value_typeE.kd
    .uniform_work_group_size: 1
    .uses_dynamic_stack: false
    .vgpr_count:     10
    .vgpr_spill_count: 0
    .wavefront_size: 64
  - .agpr_count:     0
    .args:
      - .address_space:  global
        .offset:         0
        .size:           8
        .value_kind:     global_buffer
      - .offset:         8
        .size:           4
        .value_kind:     by_value
      - .offset:         12
        .size:           4
        .value_kind:     by_value
      - .address_space:  global
        .offset:         16
        .size:           8
        .value_kind:     global_buffer
      - .offset:         24
        .size:           4
        .value_kind:     hidden_block_count_x
      - .offset:         28
        .size:           4
        .value_kind:     hidden_block_count_y
      - .offset:         32
        .size:           4
        .value_kind:     hidden_block_count_z
      - .offset:         36
        .size:           2
        .value_kind:     hidden_group_size_x
      - .offset:         38
        .size:           2
        .value_kind:     hidden_group_size_y
      - .offset:         40
        .size:           2
        .value_kind:     hidden_group_size_z
      - .offset:         42
        .size:           2
        .value_kind:     hidden_remainder_x
      - .offset:         44
        .size:           2
        .value_kind:     hidden_remainder_y
      - .offset:         46
        .size:           2
        .value_kind:     hidden_remainder_z
      - .offset:         64
        .size:           8
        .value_kind:     hidden_global_offset_x
      - .offset:         72
        .size:           8
        .value_kind:     hidden_global_offset_y
      - .offset:         80
        .size:           8
        .value_kind:     hidden_global_offset_z
      - .offset:         88
        .size:           2
        .value_kind:     hidden_grid_dims
    .group_segment_fixed_size: 0
    .kernarg_segment_align: 8
    .kernarg_segment_size: 280
    .language:       OpenCL C
    .language_version:
      - 2
      - 0
    .max_flat_workgroup_size: 256
    .name:           _ZN7rocprim6detail31init_lookback_scan_state_kernelINS0_19lookback_scan_stateIdLb0ELb1EEEEEvT_jjPNS4_10value_typeE
    .private_segment_fixed_size: 0
    .sgpr_count:     18
    .sgpr_spill_count: 0
    .symbol:         _ZN7rocprim6detail31init_lookback_scan_state_kernelINS0_19lookback_scan_stateIdLb0ELb1EEEEEvT_jjPNS4_10value_typeE.kd
    .uniform_work_group_size: 1
    .uses_dynamic_stack: false
    .vgpr_count:     10
    .vgpr_spill_count: 0
    .wavefront_size: 64
  - .agpr_count:     0
    .args:
      - .offset:         0
        .size:           16
        .value_kind:     by_value
      - .address_space:  global
        .offset:         16
        .size:           8
        .value_kind:     global_buffer
      - .offset:         24
        .size:           8
        .value_kind:     by_value
      - .address_space:  global
        .offset:         32
        .size:           8
        .value_kind:     global_buffer
      - .offset:         40
        .size:           1
        .value_kind:     by_value
      - .address_space:  global
        .offset:         48
        .size:           8
        .value_kind:     global_buffer
      - .offset:         56
        .size:           4
        .value_kind:     by_value
      - .address_space:  global
        .offset:         64
        .size:           8
        .value_kind:     global_buffer
      - .address_space:  global
        .offset:         72
        .size:           8
        .value_kind:     global_buffer
      - .offset:         80
        .size:           1
        .value_kind:     by_value
      - .offset:         81
        .size:           1
        .value_kind:     by_value
    .group_segment_fixed_size: 0
    .kernarg_segment_align: 8
    .kernarg_segment_size: 84
    .language:       OpenCL C
    .language_version:
      - 2
      - 0
    .max_flat_workgroup_size: 128
    .name:           _ZN7rocprim6detail20lookback_scan_kernelILNS0_25lookback_scan_determinismE0ELb1ENS0_19wrapped_scan_configINS_14default_configEdEEN6hipcub22TransformInputIteratorIiNS6_6CastOpIiEEPilEEPdNS6_3SumENS_12future_valueIdSC_EEdNS0_19lookback_scan_stateIdLb1ELb1EEEEEvT2_T3_mT5_T4_T7_jPT6_SO_bb
    .private_segment_fixed_size: 0
    .sgpr_count:     4
    .sgpr_spill_count: 0
    .symbol:         _ZN7rocprim6detail20lookback_scan_kernelILNS0_25lookback_scan_determinismE0ELb1ENS0_19wrapped_scan_configINS_14default_configEdEEN6hipcub22TransformInputIteratorIiNS6_6CastOpIiEEPilEEPdNS6_3SumENS_12future_valueIdSC_EEdNS0_19lookback_scan_stateIdLb1ELb1EEEEEvT2_T3_mT5_T4_T7_jPT6_SO_bb.kd
    .uniform_work_group_size: 1
    .uses_dynamic_stack: false
    .vgpr_count:     0
    .vgpr_spill_count: 0
    .wavefront_size: 64
  - .agpr_count:     0
    .args:
      - .offset:         0
        .size:           16
        .value_kind:     by_value
      - .address_space:  global
        .offset:         16
        .size:           8
        .value_kind:     global_buffer
      - .offset:         24
        .size:           8
        .value_kind:     by_value
      - .address_space:  global
        .offset:         32
        .size:           8
        .value_kind:     global_buffer
      - .offset:         40
        .size:           1
        .value_kind:     by_value
      - .address_space:  global
        .offset:         48
        .size:           8
        .value_kind:     global_buffer
      - .offset:         56
        .size:           4
        .value_kind:     by_value
      - .address_space:  global
        .offset:         64
        .size:           8
        .value_kind:     global_buffer
      - .address_space:  global
        .offset:         72
        .size:           8
        .value_kind:     global_buffer
      - .offset:         80
        .size:           1
        .value_kind:     by_value
      - .offset:         81
        .size:           1
        .value_kind:     by_value
    .group_segment_fixed_size: 10240
    .kernarg_segment_align: 8
    .kernarg_segment_size: 84
    .language:       OpenCL C
    .language_version:
      - 2
      - 0
    .max_flat_workgroup_size: 128
    .name:           _ZN7rocprim6detail20lookback_scan_kernelILNS0_25lookback_scan_determinismE0ELb1ENS0_19wrapped_scan_configINS_14default_configEdEEN6hipcub22TransformInputIteratorIiNS6_6CastOpIiEEPilEEPdNS6_3SumENS_12future_valueIdSC_EEdNS0_19lookback_scan_stateIdLb0ELb1EEEEEvT2_T3_mT5_T4_T7_jPT6_SO_bb
    .private_segment_fixed_size: 0
    .sgpr_count:     32
    .sgpr_spill_count: 0
    .symbol:         _ZN7rocprim6detail20lookback_scan_kernelILNS0_25lookback_scan_determinismE0ELb1ENS0_19wrapped_scan_configINS_14default_configEdEEN6hipcub22TransformInputIteratorIiNS6_6CastOpIiEEPilEEPdNS6_3SumENS_12future_valueIdSC_EEdNS0_19lookback_scan_stateIdLb0ELb1EEEEEvT2_T3_mT5_T4_T7_jPT6_SO_bb.kd
    .uniform_work_group_size: 1
    .uses_dynamic_stack: false
    .vgpr_count:     59
    .vgpr_spill_count: 0
    .wavefront_size: 64
  - .agpr_count:     0
    .args:
      - .address_space:  global
        .offset:         0
        .size:           8
        .value_kind:     global_buffer
      - .offset:         8
        .size:           8
        .value_kind:     by_value
      - .address_space:  global
        .offset:         16
        .size:           8
        .value_kind:     global_buffer
      - .offset:         24
        .size:           1
        .value_kind:     by_value
      - .offset:         32
        .size:           4
        .value_kind:     hidden_block_count_x
      - .offset:         36
        .size:           4
        .value_kind:     hidden_block_count_y
      - .offset:         40
        .size:           4
        .value_kind:     hidden_block_count_z
      - .offset:         44
        .size:           2
        .value_kind:     hidden_group_size_x
      - .offset:         46
        .size:           2
        .value_kind:     hidden_group_size_y
      - .offset:         48
        .size:           2
        .value_kind:     hidden_group_size_z
      - .offset:         50
        .size:           2
        .value_kind:     hidden_remainder_x
      - .offset:         52
        .size:           2
        .value_kind:     hidden_remainder_y
      - .offset:         54
        .size:           2
        .value_kind:     hidden_remainder_z
      - .offset:         72
        .size:           8
        .value_kind:     hidden_global_offset_x
      - .offset:         80
        .size:           8
        .value_kind:     hidden_global_offset_y
      - .offset:         88
        .size:           8
        .value_kind:     hidden_global_offset_z
      - .offset:         96
        .size:           2
        .value_kind:     hidden_grid_dims
    .group_segment_fixed_size: 0
    .kernarg_segment_align: 8
    .kernarg_segment_size: 288
    .language:       OpenCL C
    .language_version:
      - 2
      - 0
    .max_flat_workgroup_size: 256
    .name:           _ZN7rocprim6detail16transform_kernelINS0_24wrapped_transform_configINS_14default_configEdEEdPdS5_NS_8identityIdEEEEvT1_mT2_T3_
    .private_segment_fixed_size: 0
    .sgpr_count:     16
    .sgpr_spill_count: 0
    .symbol:         _ZN7rocprim6detail16transform_kernelINS0_24wrapped_transform_configINS_14default_configEdEEdPdS5_NS_8identityIdEEEEvT1_mT2_T3_.kd
    .uniform_work_group_size: 1
    .uses_dynamic_stack: false
    .vgpr_count:     8
    .vgpr_spill_count: 0
    .wavefront_size: 64
  - .agpr_count:     0
    .args:
      - .offset:         0
        .size:           16
        .value_kind:     by_value
      - .offset:         16
        .size:           8
        .value_kind:     by_value
      - .address_space:  global
        .offset:         24
        .size:           8
        .value_kind:     global_buffer
      - .address_space:  global
        .offset:         32
        .size:           8
        .value_kind:     global_buffer
      - .offset:         40
        .size:           1
        .value_kind:     by_value
    .group_segment_fixed_size: 10240
    .kernarg_segment_align: 8
    .kernarg_segment_size: 44
    .language:       OpenCL C
    .language_version:
      - 2
      - 0
    .max_flat_workgroup_size: 128
    .name:           _ZN7rocprim6detail18single_scan_kernelILb1ENS0_19wrapped_scan_configINS_14default_configEdEEN6hipcub22TransformInputIteratorIiNS5_6CastOpIiEEPilEEPdNS5_3SumENS_12future_valueIdSB_EEdEEvT1_mT4_T2_T3_
    .private_segment_fixed_size: 0
    .sgpr_count:     34
    .sgpr_spill_count: 0
    .symbol:         _ZN7rocprim6detail18single_scan_kernelILb1ENS0_19wrapped_scan_configINS_14default_configEdEEN6hipcub22TransformInputIteratorIiNS5_6CastOpIiEEPilEEPdNS5_3SumENS_12future_valueIdSB_EEdEEvT1_mT4_T2_T3_.kd
    .uniform_work_group_size: 1
    .uses_dynamic_stack: false
    .vgpr_count:     40
    .vgpr_spill_count: 0
    .wavefront_size: 64
  - .agpr_count:     0
    .args:
      - .address_space:  global
        .offset:         0
        .size:           8
        .value_kind:     global_buffer
      - .offset:         8
        .size:           8
        .value_kind:     by_value
    .group_segment_fixed_size: 0
    .kernarg_segment_align: 8
    .kernarg_segment_size: 16
    .language:       OpenCL C
    .language_version:
      - 2
      - 0
    .max_flat_workgroup_size: 1024
    .name:           _ZL18fill_initial_valueIdEvPT_S0_
    .private_segment_fixed_size: 0
    .sgpr_count:     10
    .sgpr_spill_count: 0
    .symbol:         _ZL18fill_initial_valueIdEvPT_S0_.kd
    .uniform_work_group_size: 1
    .uses_dynamic_stack: false
    .vgpr_count:     3
    .vgpr_spill_count: 0
    .wavefront_size: 64
  - .agpr_count:     0
    .args:
      - .address_space:  global
        .offset:         0
        .size:           8
        .value_kind:     global_buffer
      - .offset:         8
        .size:           4
        .value_kind:     by_value
      - .offset:         12
        .size:           4
        .value_kind:     by_value
      - .address_space:  global
        .offset:         16
        .size:           8
        .value_kind:     global_buffer
      - .offset:         24
        .size:           4
        .value_kind:     hidden_block_count_x
      - .offset:         28
        .size:           4
        .value_kind:     hidden_block_count_y
      - .offset:         32
        .size:           4
        .value_kind:     hidden_block_count_z
      - .offset:         36
        .size:           2
        .value_kind:     hidden_group_size_x
      - .offset:         38
        .size:           2
        .value_kind:     hidden_group_size_y
      - .offset:         40
        .size:           2
        .value_kind:     hidden_group_size_z
      - .offset:         42
        .size:           2
        .value_kind:     hidden_remainder_x
      - .offset:         44
        .size:           2
        .value_kind:     hidden_remainder_y
      - .offset:         46
        .size:           2
        .value_kind:     hidden_remainder_z
      - .offset:         64
        .size:           8
        .value_kind:     hidden_global_offset_x
      - .offset:         72
        .size:           8
        .value_kind:     hidden_global_offset_y
      - .offset:         80
        .size:           8
        .value_kind:     hidden_global_offset_z
      - .offset:         88
        .size:           2
        .value_kind:     hidden_grid_dims
    .group_segment_fixed_size: 0
    .kernarg_segment_align: 8
    .kernarg_segment_size: 280
    .language:       OpenCL C
    .language_version:
      - 2
      - 0
    .max_flat_workgroup_size: 256
    .name:           _ZN7rocprim6detail31init_lookback_scan_state_kernelINS0_19lookback_scan_stateIfLb1ELb1EEEEEvT_jjPNS4_10value_typeE
    .private_segment_fixed_size: 0
    .sgpr_count:     16
    .sgpr_spill_count: 0
    .symbol:         _ZN7rocprim6detail31init_lookback_scan_state_kernelINS0_19lookback_scan_stateIfLb1ELb1EEEEEvT_jjPNS4_10value_typeE.kd
    .uniform_work_group_size: 1
    .uses_dynamic_stack: false
    .vgpr_count:     6
    .vgpr_spill_count: 0
    .wavefront_size: 64
  - .agpr_count:     0
    .args:
      - .address_space:  global
        .offset:         0
        .size:           8
        .value_kind:     global_buffer
      - .offset:         8
        .size:           4
        .value_kind:     by_value
      - .offset:         12
        .size:           4
        .value_kind:     by_value
      - .address_space:  global
        .offset:         16
        .size:           8
        .value_kind:     global_buffer
      - .offset:         24
        .size:           4
        .value_kind:     hidden_block_count_x
      - .offset:         28
        .size:           4
        .value_kind:     hidden_block_count_y
      - .offset:         32
        .size:           4
        .value_kind:     hidden_block_count_z
      - .offset:         36
        .size:           2
        .value_kind:     hidden_group_size_x
      - .offset:         38
        .size:           2
        .value_kind:     hidden_group_size_y
      - .offset:         40
        .size:           2
        .value_kind:     hidden_group_size_z
      - .offset:         42
        .size:           2
        .value_kind:     hidden_remainder_x
      - .offset:         44
        .size:           2
        .value_kind:     hidden_remainder_y
      - .offset:         46
        .size:           2
        .value_kind:     hidden_remainder_z
      - .offset:         64
        .size:           8
        .value_kind:     hidden_global_offset_x
      - .offset:         72
        .size:           8
        .value_kind:     hidden_global_offset_y
      - .offset:         80
        .size:           8
        .value_kind:     hidden_global_offset_z
      - .offset:         88
        .size:           2
        .value_kind:     hidden_grid_dims
    .group_segment_fixed_size: 0
    .kernarg_segment_align: 8
    .kernarg_segment_size: 280
    .language:       OpenCL C
    .language_version:
      - 2
      - 0
    .max_flat_workgroup_size: 256
    .name:           _ZN7rocprim6detail31init_lookback_scan_state_kernelINS0_19lookback_scan_stateIfLb0ELb1EEEEEvT_jjPNS4_10value_typeE
    .private_segment_fixed_size: 0
    .sgpr_count:     14
    .sgpr_spill_count: 0
    .symbol:         _ZN7rocprim6detail31init_lookback_scan_state_kernelINS0_19lookback_scan_stateIfLb0ELb1EEEEEvT_jjPNS4_10value_typeE.kd
    .uniform_work_group_size: 1
    .uses_dynamic_stack: false
    .vgpr_count:     6
    .vgpr_spill_count: 0
    .wavefront_size: 64
  - .agpr_count:     0
    .args:
      - .offset:         0
        .size:           16
        .value_kind:     by_value
      - .address_space:  global
        .offset:         16
        .size:           8
        .value_kind:     global_buffer
      - .offset:         24
        .size:           8
        .value_kind:     by_value
      - .address_space:  global
        .offset:         32
        .size:           8
        .value_kind:     global_buffer
      - .offset:         40
        .size:           1
        .value_kind:     by_value
      - .address_space:  global
        .offset:         48
        .size:           8
        .value_kind:     global_buffer
      - .offset:         56
        .size:           4
        .value_kind:     by_value
      - .address_space:  global
        .offset:         64
        .size:           8
        .value_kind:     global_buffer
      - .address_space:  global
        .offset:         72
        .size:           8
        .value_kind:     global_buffer
      - .offset:         80
        .size:           1
        .value_kind:     by_value
      - .offset:         81
        .size:           1
        .value_kind:     by_value
    .group_segment_fixed_size: 0
    .kernarg_segment_align: 8
    .kernarg_segment_size: 84
    .language:       OpenCL C
    .language_version:
      - 2
      - 0
    .max_flat_workgroup_size: 128
    .name:           _ZN7rocprim6detail20lookback_scan_kernelILNS0_25lookback_scan_determinismE0ELb1ENS0_19wrapped_scan_configINS_14default_configEfEEN6hipcub22TransformInputIteratorIsNS6_6CastOpIsEEPslEEPfNS6_3MaxENS_12future_valueIfSC_EEfNS0_19lookback_scan_stateIfLb1ELb1EEEEEvT2_T3_mT5_T4_T7_jPT6_SO_bb
    .private_segment_fixed_size: 0
    .sgpr_count:     4
    .sgpr_spill_count: 0
    .symbol:         _ZN7rocprim6detail20lookback_scan_kernelILNS0_25lookback_scan_determinismE0ELb1ENS0_19wrapped_scan_configINS_14default_configEfEEN6hipcub22TransformInputIteratorIsNS6_6CastOpIsEEPslEEPfNS6_3MaxENS_12future_valueIfSC_EEfNS0_19lookback_scan_stateIfLb1ELb1EEEEEvT2_T3_mT5_T4_T7_jPT6_SO_bb.kd
    .uniform_work_group_size: 1
    .uses_dynamic_stack: false
    .vgpr_count:     0
    .vgpr_spill_count: 0
    .wavefront_size: 64
  - .agpr_count:     0
    .args:
      - .offset:         0
        .size:           16
        .value_kind:     by_value
      - .address_space:  global
        .offset:         16
        .size:           8
        .value_kind:     global_buffer
      - .offset:         24
        .size:           8
        .value_kind:     by_value
      - .address_space:  global
        .offset:         32
        .size:           8
        .value_kind:     global_buffer
      - .offset:         40
        .size:           1
        .value_kind:     by_value
      - .address_space:  global
        .offset:         48
        .size:           8
        .value_kind:     global_buffer
      - .offset:         56
        .size:           4
        .value_kind:     by_value
      - .address_space:  global
        .offset:         64
        .size:           8
        .value_kind:     global_buffer
      - .address_space:  global
        .offset:         72
        .size:           8
        .value_kind:     global_buffer
      - .offset:         80
        .size:           1
        .value_kind:     by_value
      - .offset:         81
        .size:           1
        .value_kind:     by_value
    .group_segment_fixed_size: 7168
    .kernarg_segment_align: 8
    .kernarg_segment_size: 84
    .language:       OpenCL C
    .language_version:
      - 2
      - 0
    .max_flat_workgroup_size: 128
    .name:           _ZN7rocprim6detail20lookback_scan_kernelILNS0_25lookback_scan_determinismE0ELb1ENS0_19wrapped_scan_configINS_14default_configEfEEN6hipcub22TransformInputIteratorIsNS6_6CastOpIsEEPslEEPfNS6_3MaxENS_12future_valueIfSC_EEfNS0_19lookback_scan_stateIfLb0ELb1EEEEEvT2_T3_mT5_T4_T7_jPT6_SO_bb
    .private_segment_fixed_size: 0
    .sgpr_count:     40
    .sgpr_spill_count: 0
    .symbol:         _ZN7rocprim6detail20lookback_scan_kernelILNS0_25lookback_scan_determinismE0ELb1ENS0_19wrapped_scan_configINS_14default_configEfEEN6hipcub22TransformInputIteratorIsNS6_6CastOpIsEEPslEEPfNS6_3MaxENS_12future_valueIfSC_EEfNS0_19lookback_scan_stateIfLb0ELb1EEEEEvT2_T3_mT5_T4_T7_jPT6_SO_bb.kd
    .uniform_work_group_size: 1
    .uses_dynamic_stack: false
    .vgpr_count:     44
    .vgpr_spill_count: 0
    .wavefront_size: 64
  - .agpr_count:     0
    .args:
      - .address_space:  global
        .offset:         0
        .size:           8
        .value_kind:     global_buffer
      - .offset:         8
        .size:           8
        .value_kind:     by_value
      - .address_space:  global
        .offset:         16
        .size:           8
        .value_kind:     global_buffer
      - .offset:         24
        .size:           1
        .value_kind:     by_value
      - .offset:         32
        .size:           4
        .value_kind:     hidden_block_count_x
      - .offset:         36
        .size:           4
        .value_kind:     hidden_block_count_y
      - .offset:         40
        .size:           4
        .value_kind:     hidden_block_count_z
      - .offset:         44
        .size:           2
        .value_kind:     hidden_group_size_x
      - .offset:         46
        .size:           2
        .value_kind:     hidden_group_size_y
      - .offset:         48
        .size:           2
        .value_kind:     hidden_group_size_z
      - .offset:         50
        .size:           2
        .value_kind:     hidden_remainder_x
      - .offset:         52
        .size:           2
        .value_kind:     hidden_remainder_y
      - .offset:         54
        .size:           2
        .value_kind:     hidden_remainder_z
      - .offset:         72
        .size:           8
        .value_kind:     hidden_global_offset_x
      - .offset:         80
        .size:           8
        .value_kind:     hidden_global_offset_y
      - .offset:         88
        .size:           8
        .value_kind:     hidden_global_offset_z
      - .offset:         96
        .size:           2
        .value_kind:     hidden_grid_dims
    .group_segment_fixed_size: 0
    .kernarg_segment_align: 8
    .kernarg_segment_size: 288
    .language:       OpenCL C
    .language_version:
      - 2
      - 0
    .max_flat_workgroup_size: 1024
    .name:           _ZN7rocprim6detail16transform_kernelINS0_24wrapped_transform_configINS_14default_configEfEEfPfS5_NS_8identityIfEEEEvT1_mT2_T3_
    .private_segment_fixed_size: 0
    .sgpr_count:     16
    .sgpr_spill_count: 0
    .symbol:         _ZN7rocprim6detail16transform_kernelINS0_24wrapped_transform_configINS_14default_configEfEEfPfS5_NS_8identityIfEEEEvT1_mT2_T3_.kd
    .uniform_work_group_size: 1
    .uses_dynamic_stack: false
    .vgpr_count:     7
    .vgpr_spill_count: 0
    .wavefront_size: 64
  - .agpr_count:     0
    .args:
      - .offset:         0
        .size:           16
        .value_kind:     by_value
      - .offset:         16
        .size:           8
        .value_kind:     by_value
      - .address_space:  global
        .offset:         24
        .size:           8
        .value_kind:     global_buffer
      - .address_space:  global
        .offset:         32
        .size:           8
        .value_kind:     global_buffer
      - .offset:         40
        .size:           1
        .value_kind:     by_value
    .group_segment_fixed_size: 7168
    .kernarg_segment_align: 8
    .kernarg_segment_size: 44
    .language:       OpenCL C
    .language_version:
      - 2
      - 0
    .max_flat_workgroup_size: 128
    .name:           _ZN7rocprim6detail18single_scan_kernelILb1ENS0_19wrapped_scan_configINS_14default_configEfEEN6hipcub22TransformInputIteratorIsNS5_6CastOpIsEEPslEEPfNS5_3MaxENS_12future_valueIfSB_EEfEEvT1_mT4_T2_T3_
    .private_segment_fixed_size: 0
    .sgpr_count:     40
    .sgpr_spill_count: 0
    .symbol:         _ZN7rocprim6detail18single_scan_kernelILb1ENS0_19wrapped_scan_configINS_14default_configEfEEN6hipcub22TransformInputIteratorIsNS5_6CastOpIsEEPslEEPfNS5_3MaxENS_12future_valueIfSB_EEfEEvT1_mT4_T2_T3_.kd
    .uniform_work_group_size: 1
    .uses_dynamic_stack: false
    .vgpr_count:     24
    .vgpr_spill_count: 0
    .wavefront_size: 64
  - .agpr_count:     0
    .args:
      - .address_space:  global
        .offset:         0
        .size:           8
        .value_kind:     global_buffer
      - .offset:         8
        .size:           4
        .value_kind:     by_value
    .group_segment_fixed_size: 0
    .kernarg_segment_align: 8
    .kernarg_segment_size: 12
    .language:       OpenCL C
    .language_version:
      - 2
      - 0
    .max_flat_workgroup_size: 1024
    .name:           _ZL18fill_initial_valueIfEvPT_S0_
    .private_segment_fixed_size: 0
    .sgpr_count:     10
    .sgpr_spill_count: 0
    .symbol:         _ZL18fill_initial_valueIfEvPT_S0_.kd
    .uniform_work_group_size: 1
    .uses_dynamic_stack: false
    .vgpr_count:     2
    .vgpr_spill_count: 0
    .wavefront_size: 64
  - .agpr_count:     0
    .args:
      - .offset:         0
        .size:           16
        .value_kind:     by_value
      - .address_space:  global
        .offset:         16
        .size:           8
        .value_kind:     global_buffer
      - .offset:         24
        .size:           8
        .value_kind:     by_value
      - .address_space:  global
        .offset:         32
        .size:           8
        .value_kind:     global_buffer
      - .offset:         40
        .size:           1
        .value_kind:     by_value
      - .address_space:  global
        .offset:         48
        .size:           8
        .value_kind:     global_buffer
      - .offset:         56
        .size:           4
        .value_kind:     by_value
      - .address_space:  global
        .offset:         64
        .size:           8
        .value_kind:     global_buffer
      - .address_space:  global
        .offset:         72
        .size:           8
        .value_kind:     global_buffer
      - .offset:         80
        .size:           1
        .value_kind:     by_value
      - .offset:         81
        .size:           1
        .value_kind:     by_value
    .group_segment_fixed_size: 0
    .kernarg_segment_align: 8
    .kernarg_segment_size: 84
    .language:       OpenCL C
    .language_version:
      - 2
      - 0
    .max_flat_workgroup_size: 64
    .name:           _ZN7rocprim6detail20lookback_scan_kernelILNS0_25lookback_scan_determinismE0ELb1ENS0_19wrapped_scan_configINS_14default_configEmEEN6hipcub22TransformInputIteratorImNS6_6CastOpImEEPmlEESA_NS6_3SumENS_12future_valueImSA_EEmNS0_19lookback_scan_stateImLb1ELb1EEEEEvT2_T3_mT5_T4_T7_jPT6_SN_bb
    .private_segment_fixed_size: 0
    .sgpr_count:     4
    .sgpr_spill_count: 0
    .symbol:         _ZN7rocprim6detail20lookback_scan_kernelILNS0_25lookback_scan_determinismE0ELb1ENS0_19wrapped_scan_configINS_14default_configEmEEN6hipcub22TransformInputIteratorImNS6_6CastOpImEEPmlEESA_NS6_3SumENS_12future_valueImSA_EEmNS0_19lookback_scan_stateImLb1ELb1EEEEEvT2_T3_mT5_T4_T7_jPT6_SN_bb.kd
    .uniform_work_group_size: 1
    .uses_dynamic_stack: false
    .vgpr_count:     0
    .vgpr_spill_count: 0
    .wavefront_size: 64
  - .agpr_count:     0
    .args:
      - .offset:         0
        .size:           16
        .value_kind:     by_value
      - .address_space:  global
        .offset:         16
        .size:           8
        .value_kind:     global_buffer
      - .offset:         24
        .size:           8
        .value_kind:     by_value
      - .address_space:  global
        .offset:         32
        .size:           8
        .value_kind:     global_buffer
      - .offset:         40
        .size:           1
        .value_kind:     by_value
      - .address_space:  global
        .offset:         48
        .size:           8
        .value_kind:     global_buffer
      - .offset:         56
        .size:           4
        .value_kind:     by_value
      - .address_space:  global
        .offset:         64
        .size:           8
        .value_kind:     global_buffer
      - .address_space:  global
        .offset:         72
        .size:           8
        .value_kind:     global_buffer
      - .offset:         80
        .size:           1
        .value_kind:     by_value
      - .offset:         81
        .size:           1
        .value_kind:     by_value
    .group_segment_fixed_size: 10752
    .kernarg_segment_align: 8
    .kernarg_segment_size: 84
    .language:       OpenCL C
    .language_version:
      - 2
      - 0
    .max_flat_workgroup_size: 64
    .name:           _ZN7rocprim6detail20lookback_scan_kernelILNS0_25lookback_scan_determinismE0ELb1ENS0_19wrapped_scan_configINS_14default_configEmEEN6hipcub22TransformInputIteratorImNS6_6CastOpImEEPmlEESA_NS6_3SumENS_12future_valueImSA_EEmNS0_19lookback_scan_stateImLb0ELb1EEEEEvT2_T3_mT5_T4_T7_jPT6_SN_bb
    .private_segment_fixed_size: 0
    .sgpr_count:     32
    .sgpr_spill_count: 0
    .symbol:         _ZN7rocprim6detail20lookback_scan_kernelILNS0_25lookback_scan_determinismE0ELb1ENS0_19wrapped_scan_configINS_14default_configEmEEN6hipcub22TransformInputIteratorImNS6_6CastOpImEEPmlEESA_NS6_3SumENS_12future_valueImSA_EEmNS0_19lookback_scan_stateImLb0ELb1EEEEEvT2_T3_mT5_T4_T7_jPT6_SN_bb.kd
    .uniform_work_group_size: 1
    .uses_dynamic_stack: false
    .vgpr_count:     89
    .vgpr_spill_count: 0
    .wavefront_size: 64
  - .agpr_count:     0
    .args:
      - .offset:         0
        .size:           16
        .value_kind:     by_value
      - .offset:         16
        .size:           8
        .value_kind:     by_value
      - .address_space:  global
        .offset:         24
        .size:           8
        .value_kind:     global_buffer
      - .address_space:  global
        .offset:         32
        .size:           8
        .value_kind:     global_buffer
      - .offset:         40
        .size:           1
        .value_kind:     by_value
    .group_segment_fixed_size: 10752
    .kernarg_segment_align: 8
    .kernarg_segment_size: 44
    .language:       OpenCL C
    .language_version:
      - 2
      - 0
    .max_flat_workgroup_size: 64
    .name:           _ZN7rocprim6detail18single_scan_kernelILb1ENS0_19wrapped_scan_configINS_14default_configEmEEN6hipcub22TransformInputIteratorImNS5_6CastOpImEEPmlEES9_NS5_3SumENS_12future_valueImS9_EEmEEvT1_mT4_T2_T3_
    .private_segment_fixed_size: 0
    .sgpr_count:     58
    .sgpr_spill_count: 0
    .symbol:         _ZN7rocprim6detail18single_scan_kernelILb1ENS0_19wrapped_scan_configINS_14default_configEmEEN6hipcub22TransformInputIteratorImNS5_6CastOpImEEPmlEES9_NS5_3SumENS_12future_valueImS9_EEmEEvT1_mT4_T2_T3_.kd
    .uniform_work_group_size: 1
    .uses_dynamic_stack: false
    .vgpr_count:     52
    .vgpr_spill_count: 0
    .wavefront_size: 64
  - .agpr_count:     0
    .args:
      - .address_space:  global
        .offset:         0
        .size:           8
        .value_kind:     global_buffer
      - .offset:         8
        .size:           8
        .value_kind:     by_value
    .group_segment_fixed_size: 0
    .kernarg_segment_align: 8
    .kernarg_segment_size: 16
    .language:       OpenCL C
    .language_version:
      - 2
      - 0
    .max_flat_workgroup_size: 1024
    .name:           _ZL18fill_initial_valueImEvPT_S0_
    .private_segment_fixed_size: 0
    .sgpr_count:     10
    .sgpr_spill_count: 0
    .symbol:         _ZL18fill_initial_valueImEvPT_S0_.kd
    .uniform_work_group_size: 1
    .uses_dynamic_stack: false
    .vgpr_count:     3
    .vgpr_spill_count: 0
    .wavefront_size: 64
  - .agpr_count:     0
    .args:
      - .offset:         0
        .size:           16
        .value_kind:     by_value
      - .address_space:  global
        .offset:         16
        .size:           8
        .value_kind:     global_buffer
      - .offset:         24
        .size:           8
        .value_kind:     by_value
      - .address_space:  global
        .offset:         32
        .size:           8
        .value_kind:     global_buffer
      - .offset:         40
        .size:           1
        .value_kind:     by_value
      - .address_space:  global
        .offset:         48
        .size:           8
        .value_kind:     global_buffer
      - .offset:         56
        .size:           4
        .value_kind:     by_value
      - .address_space:  global
        .offset:         64
        .size:           8
        .value_kind:     global_buffer
      - .address_space:  global
        .offset:         72
        .size:           8
        .value_kind:     global_buffer
      - .offset:         80
        .size:           1
        .value_kind:     by_value
      - .offset:         81
        .size:           1
        .value_kind:     by_value
    .group_segment_fixed_size: 0
    .kernarg_segment_align: 8
    .kernarg_segment_size: 84
    .language:       OpenCL C
    .language_version:
      - 2
      - 0
    .max_flat_workgroup_size: 64
    .name:           _ZN7rocprim6detail20lookback_scan_kernelILNS0_25lookback_scan_determinismE0ELb1ENS0_19wrapped_scan_configINS_14default_configEyEEN6hipcub22TransformInputIteratorIyNS6_6CastOpIyEEPylEESA_NS6_3MinENS_12future_valueIySA_EEyNS0_19lookback_scan_stateIyLb1ELb1EEEEEvT2_T3_mT5_T4_T7_jPT6_SN_bb
    .private_segment_fixed_size: 0
    .sgpr_count:     4
    .sgpr_spill_count: 0
    .symbol:         _ZN7rocprim6detail20lookback_scan_kernelILNS0_25lookback_scan_determinismE0ELb1ENS0_19wrapped_scan_configINS_14default_configEyEEN6hipcub22TransformInputIteratorIyNS6_6CastOpIyEEPylEESA_NS6_3MinENS_12future_valueIySA_EEyNS0_19lookback_scan_stateIyLb1ELb1EEEEEvT2_T3_mT5_T4_T7_jPT6_SN_bb.kd
    .uniform_work_group_size: 1
    .uses_dynamic_stack: false
    .vgpr_count:     0
    .vgpr_spill_count: 0
    .wavefront_size: 64
  - .agpr_count:     0
    .args:
      - .offset:         0
        .size:           16
        .value_kind:     by_value
      - .address_space:  global
        .offset:         16
        .size:           8
        .value_kind:     global_buffer
      - .offset:         24
        .size:           8
        .value_kind:     by_value
      - .address_space:  global
        .offset:         32
        .size:           8
        .value_kind:     global_buffer
      - .offset:         40
        .size:           1
        .value_kind:     by_value
      - .address_space:  global
        .offset:         48
        .size:           8
        .value_kind:     global_buffer
      - .offset:         56
        .size:           4
        .value_kind:     by_value
      - .address_space:  global
        .offset:         64
        .size:           8
        .value_kind:     global_buffer
      - .address_space:  global
        .offset:         72
        .size:           8
        .value_kind:     global_buffer
      - .offset:         80
        .size:           1
        .value_kind:     by_value
      - .offset:         81
        .size:           1
        .value_kind:     by_value
    .group_segment_fixed_size: 10752
    .kernarg_segment_align: 8
    .kernarg_segment_size: 84
    .language:       OpenCL C
    .language_version:
      - 2
      - 0
    .max_flat_workgroup_size: 64
    .name:           _ZN7rocprim6detail20lookback_scan_kernelILNS0_25lookback_scan_determinismE0ELb1ENS0_19wrapped_scan_configINS_14default_configEyEEN6hipcub22TransformInputIteratorIyNS6_6CastOpIyEEPylEESA_NS6_3MinENS_12future_valueIySA_EEyNS0_19lookback_scan_stateIyLb0ELb1EEEEEvT2_T3_mT5_T4_T7_jPT6_SN_bb
    .private_segment_fixed_size: 0
    .sgpr_count:     32
    .sgpr_spill_count: 0
    .symbol:         _ZN7rocprim6detail20lookback_scan_kernelILNS0_25lookback_scan_determinismE0ELb1ENS0_19wrapped_scan_configINS_14default_configEyEEN6hipcub22TransformInputIteratorIyNS6_6CastOpIyEEPylEESA_NS6_3MinENS_12future_valueIySA_EEyNS0_19lookback_scan_stateIyLb0ELb1EEEEEvT2_T3_mT5_T4_T7_jPT6_SN_bb.kd
    .uniform_work_group_size: 1
    .uses_dynamic_stack: false
    .vgpr_count:     91
    .vgpr_spill_count: 0
    .wavefront_size: 64
  - .agpr_count:     0
    .args:
      - .offset:         0
        .size:           16
        .value_kind:     by_value
      - .offset:         16
        .size:           8
        .value_kind:     by_value
      - .address_space:  global
        .offset:         24
        .size:           8
        .value_kind:     global_buffer
      - .address_space:  global
        .offset:         32
        .size:           8
        .value_kind:     global_buffer
      - .offset:         40
        .size:           1
        .value_kind:     by_value
    .group_segment_fixed_size: 10752
    .kernarg_segment_align: 8
    .kernarg_segment_size: 44
    .language:       OpenCL C
    .language_version:
      - 2
      - 0
    .max_flat_workgroup_size: 64
    .name:           _ZN7rocprim6detail18single_scan_kernelILb1ENS0_19wrapped_scan_configINS_14default_configEyEEN6hipcub22TransformInputIteratorIyNS5_6CastOpIyEEPylEES9_NS5_3MinENS_12future_valueIyS9_EEyEEvT1_mT4_T2_T3_
    .private_segment_fixed_size: 0
    .sgpr_count:     58
    .sgpr_spill_count: 0
    .symbol:         _ZN7rocprim6detail18single_scan_kernelILb1ENS0_19wrapped_scan_configINS_14default_configEyEEN6hipcub22TransformInputIteratorIyNS5_6CastOpIyEEPylEES9_NS5_3MinENS_12future_valueIyS9_EEyEEvT1_mT4_T2_T3_.kd
    .uniform_work_group_size: 1
    .uses_dynamic_stack: false
    .vgpr_count:     53
    .vgpr_spill_count: 0
    .wavefront_size: 64
  - .agpr_count:     0
    .args:
      - .address_space:  global
        .offset:         0
        .size:           8
        .value_kind:     global_buffer
      - .offset:         8
        .size:           8
        .value_kind:     by_value
    .group_segment_fixed_size: 0
    .kernarg_segment_align: 8
    .kernarg_segment_size: 16
    .language:       OpenCL C
    .language_version:
      - 2
      - 0
    .max_flat_workgroup_size: 1024
    .name:           _ZL18fill_initial_valueIyEvPT_S0_
    .private_segment_fixed_size: 0
    .sgpr_count:     10
    .sgpr_spill_count: 0
    .symbol:         _ZL18fill_initial_valueIyEvPT_S0_.kd
    .uniform_work_group_size: 1
    .uses_dynamic_stack: false
    .vgpr_count:     3
    .vgpr_spill_count: 0
    .wavefront_size: 64
amdhsa.target:   amdgcn-amd-amdhsa--gfx90a
amdhsa.version:
  - 1
  - 2
...

	.end_amdgpu_metadata
